;; amdgpu-corpus repo=ROCm/rocSPARSE kind=compiled arch=gfx1100 opt=O3
	.text
	.amdgcn_target "amdgcn-amd-amdhsa--gfx1100"
	.amdhsa_code_object_version 6
	.section	.text._ZN9rocsparseL20bsrxmvn_17_32_kernelILj17EfiifffEEvT2_20rocsparse_direction_NS_24const_host_device_scalarIT0_EES1_PKS1_PKT1_SA_S7_PKT3_PKT4_S5_PT5_21rocsparse_index_base_b,"axG",@progbits,_ZN9rocsparseL20bsrxmvn_17_32_kernelILj17EfiifffEEvT2_20rocsparse_direction_NS_24const_host_device_scalarIT0_EES1_PKS1_PKT1_SA_S7_PKT3_PKT4_S5_PT5_21rocsparse_index_base_b,comdat
	.globl	_ZN9rocsparseL20bsrxmvn_17_32_kernelILj17EfiifffEEvT2_20rocsparse_direction_NS_24const_host_device_scalarIT0_EES1_PKS1_PKT1_SA_S7_PKT3_PKT4_S5_PT5_21rocsparse_index_base_b ; -- Begin function _ZN9rocsparseL20bsrxmvn_17_32_kernelILj17EfiifffEEvT2_20rocsparse_direction_NS_24const_host_device_scalarIT0_EES1_PKS1_PKT1_SA_S7_PKT3_PKT4_S5_PT5_21rocsparse_index_base_b
	.p2align	8
	.type	_ZN9rocsparseL20bsrxmvn_17_32_kernelILj17EfiifffEEvT2_20rocsparse_direction_NS_24const_host_device_scalarIT0_EES1_PKS1_PKT1_SA_S7_PKT3_PKT4_S5_PT5_21rocsparse_index_base_b,@function
_ZN9rocsparseL20bsrxmvn_17_32_kernelILj17EfiifffEEvT2_20rocsparse_direction_NS_24const_host_device_scalarIT0_EES1_PKS1_PKT1_SA_S7_PKT3_PKT4_S5_PT5_21rocsparse_index_base_b: ; @_ZN9rocsparseL20bsrxmvn_17_32_kernelILj17EfiifffEEvT2_20rocsparse_direction_NS_24const_host_device_scalarIT0_EES1_PKS1_PKT1_SA_S7_PKT3_PKT4_S5_PT5_21rocsparse_index_base_b
; %bb.0:
	s_mov_b32 s8, s15
	s_clause 0x2
	s_load_b64 s[14:15], s[0:1], 0x58
	s_load_b64 s[10:11], s[0:1], 0x8
	;; [unrolled: 1-line block ×3, first 2 shown]
	s_waitcnt lgkmcnt(0)
	s_bitcmp1_b32 s15, 0
	s_cselect_b32 s4, -1, 0
	s_delay_alu instid0(SALU_CYCLE_1)
	s_and_b32 vcc_lo, exec_lo, s4
	s_xor_b32 s4, s4, -1
	s_cbranch_vccnz .LBB0_2
; %bb.1:
	s_load_b32 s10, s[10:11], 0x0
.LBB0_2:
	s_and_not1_b32 vcc_lo, exec_lo, s4
	s_cbranch_vccnz .LBB0_4
; %bb.3:
	s_load_b32 s2, s[2:3], 0x0
.LBB0_4:
	s_waitcnt lgkmcnt(0)
	v_cmp_neq_f32_e64 s3, s10, 0
	v_cmp_neq_f32_e64 s4, s2, 1.0
	s_delay_alu instid0(VALU_DEP_1) | instskip(NEXT) | instid1(SALU_CYCLE_1)
	s_or_b32 s3, s3, s4
	s_and_not1_b32 vcc_lo, exec_lo, s3
	s_cbranch_vccnz .LBB0_42
; %bb.5:
	s_clause 0x1
	s_load_b128 s[4:7], s[0:1], 0x18
	s_load_b64 s[12:13], s[0:1], 0x28
	s_waitcnt lgkmcnt(0)
	s_cmp_eq_u64 s[4:5], 0
	s_cbranch_scc1 .LBB0_7
; %bb.6:
	s_ashr_i32 s9, s8, 31
	s_delay_alu instid0(SALU_CYCLE_1) | instskip(NEXT) | instid1(SALU_CYCLE_1)
	s_lshl_b64 s[8:9], s[8:9], 2
	s_add_u32 s4, s4, s8
	s_addc_u32 s5, s5, s9
	s_load_b32 s3, s[4:5], 0x0
	s_waitcnt lgkmcnt(0)
	s_sub_i32 s8, s3, s14
.LBB0_7:
	s_load_b32 s3, s[0:1], 0x4
	v_mul_u32_u24_e32 v1, 0xf10, v0
	v_dual_mov_b32 v6, 0 :: v_dual_lshlrev_b32 v7, 2, v0
	s_delay_alu instid0(VALU_DEP_2) | instskip(NEXT) | instid1(VALU_DEP_1)
	v_lshrrev_b32_e32 v1, 16, v1
	v_mul_lo_u16 v2, v1, 17
	s_delay_alu instid0(VALU_DEP_1)
	v_sub_nc_u16 v8, v0, v2
	s_waitcnt lgkmcnt(0)
	s_cmp_eq_u32 s3, 1
	s_cselect_b32 vcc_lo, -1, 0
	s_cmp_lg_u32 s3, 1
	s_cselect_b32 s3, -1, 0
	s_ashr_i32 s9, s8, 31
	s_delay_alu instid0(SALU_CYCLE_1) | instskip(NEXT) | instid1(SALU_CYCLE_1)
	s_lshl_b64 s[4:5], s[8:9], 2
	s_add_u32 s6, s6, s4
	s_addc_u32 s7, s7, s5
	s_add_u32 s9, s6, 4
	s_addc_u32 s11, s7, 0
	;; [unrolled: 2-line block ×3, first 2 shown]
	s_cmp_eq_u64 s[12:13], 0
	s_load_b64 s[12:13], s[0:1], 0x50
	s_cselect_b32 s5, s11, s5
	s_cselect_b32 s4, s9, s4
	s_load_b32 s11, s[6:7], 0x0
	s_load_b32 s9, s[4:5], 0x0
	s_waitcnt lgkmcnt(0)
	s_cmp_ge_i32 s11, s9
	s_cbranch_scc1 .LBB0_12
; %bb.8:
	v_mul_lo_u16 v2, v1, 31
	s_clause 0x1
	s_load_b128 s[4:7], s[0:1], 0x30
	s_load_b64 s[0:1], s[0:1], 0x40
	v_and_b32_e32 v5, 0xffff, v0
	s_sub_i32 s11, s11, s14
	v_lshrrev_b16 v2, 9, v2
	v_dual_mov_b32 v6, 0 :: v_dual_and_b32 v3, 0xffff, v8
	s_mul_i32 s16, s11, 0x484
	s_sub_i32 s9, s9, s14
	s_delay_alu instid0(VALU_DEP_2) | instskip(SKIP_2) | instid1(VALU_DEP_2)
	v_mul_lo_u16 v2, v2, 17
	v_mul_u32_u24_e32 v5, 0xe3, v5
	s_mul_hi_i32 s15, s11, 0x484
	v_sub_nc_u16 v1, v1, v2
	s_delay_alu instid0(VALU_DEP_1)
	v_and_b32_e32 v9, 0xff, v1
	v_lshlrev_b32_e32 v4, 2, v0
	s_waitcnt lgkmcnt(0)
	s_add_u32 s6, s6, s16
	s_addc_u32 s7, s7, s15
	v_cndmask_b32_e32 v3, v3, v9, vcc_lo
	v_add_co_u32 v1, s6, s6, v4
	s_delay_alu instid0(VALU_DEP_1)
	v_add_co_ci_u32_e64 v2, null, s7, 0, s6
	v_lshrrev_b32_e32 v9, 16, v5
	s_set_inst_prefetch_distance 0x1
	s_branch .LBB0_10
	.p2align	6
.LBB0_9:                                ;   in Loop: Header=BB0_10 Depth=1
	s_or_b32 exec_lo, exec_lo, s6
	s_add_i32 s11, s11, 1
	s_delay_alu instid0(SALU_CYCLE_1)
	s_cmp_lt_i32 s11, s9
	s_cbranch_scc0 .LBB0_12
.LBB0_10:                               ; =>This Inner Loop Header: Depth=1
	s_delay_alu instid0(VALU_DEP_1) | instskip(SKIP_1) | instid1(VALU_DEP_1)
	v_add_nc_u32_e32 v4, s11, v9
	s_mov_b32 s6, exec_lo
	v_cmpx_gt_i32_e64 s9, v4
	s_cbranch_execz .LBB0_9
; %bb.11:                               ;   in Loop: Header=BB0_10 Depth=1
	v_ashrrev_i32_e32 v5, 31, v4
	s_delay_alu instid0(VALU_DEP_1) | instskip(NEXT) | instid1(VALU_DEP_1)
	v_lshlrev_b64 v[4:5], 2, v[4:5]
	v_add_co_u32 v4, vcc_lo, s4, v4
	s_delay_alu instid0(VALU_DEP_2) | instskip(SKIP_3) | instid1(VALU_DEP_1)
	v_add_co_ci_u32_e32 v5, vcc_lo, s5, v5, vcc_lo
	global_load_b32 v4, v[4:5], off
	s_waitcnt vmcnt(0)
	v_subrev_nc_u32_e32 v10, s14, v4
	v_mad_u64_u32 v[4:5], null, v10, 17, v[3:4]
	s_delay_alu instid0(VALU_DEP_1) | instskip(NEXT) | instid1(VALU_DEP_1)
	v_ashrrev_i32_e32 v5, 31, v4
	v_lshlrev_b64 v[4:5], 2, v[4:5]
	s_delay_alu instid0(VALU_DEP_1) | instskip(NEXT) | instid1(VALU_DEP_2)
	v_add_co_u32 v4, vcc_lo, s0, v4
	v_add_co_ci_u32_e32 v5, vcc_lo, s1, v5, vcc_lo
	global_load_b32 v10, v[1:2], off
	global_load_b32 v4, v[4:5], off
	v_add_co_u32 v1, vcc_lo, 0x484, v1
	v_add_co_ci_u32_e32 v2, vcc_lo, 0, v2, vcc_lo
	s_waitcnt vmcnt(0)
	v_fmac_f32_e32 v6, v10, v4
	s_branch .LBB0_9
.LBB0_12:
	s_set_inst_prefetch_distance 0x2
	s_and_b32 vcc_lo, exec_lo, s3
	ds_store_b32 v7, v6
	s_waitcnt lgkmcnt(0)
	s_barrier
	buffer_gl0_inv
	s_cbranch_vccz .LBB0_24
; %bb.13:
	s_mov_b32 s0, exec_lo
	v_cmpx_eq_u16_e32 0, v8
	s_cbranch_execz .LBB0_15
; %bb.14:
	ds_load_2addr_b32 v[1:2], v7 offset1:16
	s_waitcnt lgkmcnt(0)
	v_add_f32_e32 v1, v2, v1
	ds_store_b32 v7, v1
.LBB0_15:
	s_or_b32 exec_lo, exec_lo, s0
	s_delay_alu instid0(SALU_CYCLE_1)
	s_mov_b32 s0, exec_lo
	s_waitcnt lgkmcnt(0)
	s_barrier
	buffer_gl0_inv
	v_cmpx_gt_u16_e32 8, v8
	s_cbranch_execz .LBB0_17
; %bb.16:
	ds_load_2addr_b32 v[1:2], v7 offset1:8
	s_waitcnt lgkmcnt(0)
	v_add_f32_e32 v1, v2, v1
	ds_store_b32 v7, v1
.LBB0_17:
	s_or_b32 exec_lo, exec_lo, s0
	s_delay_alu instid0(SALU_CYCLE_1)
	s_mov_b32 s0, exec_lo
	s_waitcnt lgkmcnt(0)
	s_barrier
	buffer_gl0_inv
	v_cmpx_gt_u16_e32 4, v8
	;; [unrolled: 14-line block ×3, first 2 shown]
	s_cbranch_execz .LBB0_21
; %bb.20:
	ds_load_2addr_b32 v[1:2], v7 offset1:2
	s_waitcnt lgkmcnt(0)
	v_add_f32_e32 v1, v2, v1
	ds_store_b32 v7, v1
.LBB0_21:
	s_or_b32 exec_lo, exec_lo, s0
	s_mov_b32 s0, 0
	s_mov_b32 s1, 0
	s_mov_b32 s3, exec_lo
	s_waitcnt lgkmcnt(0)
	s_barrier
	buffer_gl0_inv
                                        ; implicit-def: $vgpr1
                                        ; implicit-def: $vgpr2
	v_cmpx_gt_u32_e32 17, v0
	s_xor_b32 s3, exec_lo, s3
; %bb.22:
	v_mad_u32_u24 v1, v0, 17, 1
	v_lshl_add_u32 v2, v0, 6, v7
	s_mov_b32 s1, exec_lo
; %bb.23:
	s_or_b32 exec_lo, exec_lo, s3
	s_delay_alu instid0(SALU_CYCLE_1)
	s_and_b32 vcc_lo, exec_lo, s0
	v_cmp_gt_u32_e64 s0, 17, v0
	s_cbranch_vccnz .LBB0_25
	s_branch .LBB0_36
.LBB0_24:
	s_mov_b32 s1, 0
                                        ; implicit-def: $vgpr1
                                        ; implicit-def: $vgpr2
	v_cmp_gt_u32_e64 s0, 17, v0
	s_cbranch_execz .LBB0_36
.LBB0_25:
	s_delay_alu instid0(VALU_DEP_1)
	s_and_saveexec_b32 s3, s0
	s_cbranch_execz .LBB0_27
; %bb.26:
	ds_load_b32 v1, v7 offset:1088
	ds_load_b32 v2, v7
	s_waitcnt lgkmcnt(0)
	v_add_f32_e32 v1, v1, v2
	ds_store_b32 v7, v1
.LBB0_27:
	s_or_b32 exec_lo, exec_lo, s3
	s_delay_alu instid0(SALU_CYCLE_1)
	s_mov_b32 s3, exec_lo
	s_waitcnt lgkmcnt(0)
	s_barrier
	buffer_gl0_inv
	v_cmpx_gt_u32_e32 0x88, v0
	s_cbranch_execz .LBB0_29
; %bb.28:
	ds_load_2addr_b32 v[1:2], v7 offset1:136
	s_waitcnt lgkmcnt(0)
	v_add_f32_e32 v1, v2, v1
	ds_store_b32 v7, v1
.LBB0_29:
	s_or_b32 exec_lo, exec_lo, s3
	s_delay_alu instid0(SALU_CYCLE_1)
	s_mov_b32 s3, exec_lo
	s_waitcnt lgkmcnt(0)
	s_barrier
	buffer_gl0_inv
	v_cmpx_gt_u32_e32 0x44, v0
	s_cbranch_execz .LBB0_31
; %bb.30:
	ds_load_2addr_b32 v[1:2], v7 offset1:68
	s_waitcnt lgkmcnt(0)
	v_add_f32_e32 v1, v2, v1
	ds_store_b32 v7, v1
.LBB0_31:
	s_or_b32 exec_lo, exec_lo, s3
	s_delay_alu instid0(SALU_CYCLE_1)
	s_mov_b32 s3, exec_lo
	s_waitcnt lgkmcnt(0)
	s_barrier
	buffer_gl0_inv
	v_cmpx_gt_u32_e32 34, v0
	s_cbranch_execz .LBB0_33
; %bb.32:
	ds_load_2addr_b32 v[1:2], v7 offset1:34
	s_waitcnt lgkmcnt(0)
	v_add_f32_e32 v1, v2, v1
	ds_store_b32 v7, v1
.LBB0_33:
	s_or_b32 exec_lo, exec_lo, s3
	s_waitcnt lgkmcnt(0)
	buffer_gl0_inv
                                        ; implicit-def: $vgpr1
	s_and_saveexec_b32 s3, s0
; %bb.34:
	v_add_nc_u32_e32 v1, 17, v0
	s_or_b32 s1, s1, exec_lo
                                        ; implicit-def: $vgpr6
; %bb.35:
	s_or_b32 exec_lo, exec_lo, s3
	v_mov_b32_e32 v2, v7
.LBB0_36:
	s_and_saveexec_b32 s0, s1
	s_cbranch_execz .LBB0_38
; %bb.37:
	v_lshlrev_b32_e32 v1, 2, v1
	ds_load_b32 v2, v2
	ds_load_b32 v1, v1
	s_waitcnt lgkmcnt(0)
	v_add_f32_e32 v6, v2, v1
.LBB0_38:
	s_or_b32 exec_lo, exec_lo, s0
	s_delay_alu instid0(SALU_CYCLE_1)
	s_mov_b32 s0, exec_lo
	v_cmpx_gt_u32_e32 17, v0
	s_cbranch_execz .LBB0_42
; %bb.39:
	v_cmp_eq_f32_e64 s0, s2, 0
	v_mul_f32_e32 v1, s10, v6
	s_delay_alu instid0(VALU_DEP_2)
	s_and_b32 vcc_lo, exec_lo, s0
	s_mov_b32 s0, 0
	s_cbranch_vccz .LBB0_43
; %bb.40:
	s_delay_alu instid0(VALU_DEP_1) | instskip(SKIP_1) | instid1(VALU_DEP_1)
	v_mad_u64_u32 v[2:3], null, s8, 17, v[0:1]
	v_mov_b32_e32 v3, 0
	v_lshlrev_b64 v[2:3], 2, v[2:3]
	s_delay_alu instid0(VALU_DEP_1) | instskip(NEXT) | instid1(VALU_DEP_2)
	v_add_co_u32 v2, vcc_lo, s12, v2
	v_add_co_ci_u32_e32 v3, vcc_lo, s13, v3, vcc_lo
	global_store_b32 v[2:3], v1, off
	s_and_not1_b32 vcc_lo, exec_lo, s0
	s_cbranch_vccnz .LBB0_42
.LBB0_41:
	v_mad_u64_u32 v[2:3], null, s8, 17, v[0:1]
	v_mov_b32_e32 v3, 0
	s_delay_alu instid0(VALU_DEP_1) | instskip(NEXT) | instid1(VALU_DEP_1)
	v_lshlrev_b64 v[2:3], 2, v[2:3]
	v_add_co_u32 v2, vcc_lo, s12, v2
	s_delay_alu instid0(VALU_DEP_2)
	v_add_co_ci_u32_e32 v3, vcc_lo, s13, v3, vcc_lo
	global_load_b32 v0, v[2:3], off
	s_waitcnt vmcnt(0)
	v_fmac_f32_e32 v1, s2, v0
	global_store_b32 v[2:3], v1, off
.LBB0_42:
	s_nop 0
	s_sendmsg sendmsg(MSG_DEALLOC_VGPRS)
	s_endpgm
.LBB0_43:
	s_branch .LBB0_41
	.section	.rodata,"a",@progbits
	.p2align	6, 0x0
	.amdhsa_kernel _ZN9rocsparseL20bsrxmvn_17_32_kernelILj17EfiifffEEvT2_20rocsparse_direction_NS_24const_host_device_scalarIT0_EES1_PKS1_PKT1_SA_S7_PKT3_PKT4_S5_PT5_21rocsparse_index_base_b
		.amdhsa_group_segment_fixed_size 1156
		.amdhsa_private_segment_fixed_size 0
		.amdhsa_kernarg_size 96
		.amdhsa_user_sgpr_count 15
		.amdhsa_user_sgpr_dispatch_ptr 0
		.amdhsa_user_sgpr_queue_ptr 0
		.amdhsa_user_sgpr_kernarg_segment_ptr 1
		.amdhsa_user_sgpr_dispatch_id 0
		.amdhsa_user_sgpr_private_segment_size 0
		.amdhsa_wavefront_size32 1
		.amdhsa_uses_dynamic_stack 0
		.amdhsa_enable_private_segment 0
		.amdhsa_system_sgpr_workgroup_id_x 1
		.amdhsa_system_sgpr_workgroup_id_y 0
		.amdhsa_system_sgpr_workgroup_id_z 0
		.amdhsa_system_sgpr_workgroup_info 0
		.amdhsa_system_vgpr_workitem_id 0
		.amdhsa_next_free_vgpr 11
		.amdhsa_next_free_sgpr 17
		.amdhsa_reserve_vcc 1
		.amdhsa_float_round_mode_32 0
		.amdhsa_float_round_mode_16_64 0
		.amdhsa_float_denorm_mode_32 3
		.amdhsa_float_denorm_mode_16_64 3
		.amdhsa_dx10_clamp 1
		.amdhsa_ieee_mode 1
		.amdhsa_fp16_overflow 0
		.amdhsa_workgroup_processor_mode 1
		.amdhsa_memory_ordered 1
		.amdhsa_forward_progress 0
		.amdhsa_shared_vgpr_count 0
		.amdhsa_exception_fp_ieee_invalid_op 0
		.amdhsa_exception_fp_denorm_src 0
		.amdhsa_exception_fp_ieee_div_zero 0
		.amdhsa_exception_fp_ieee_overflow 0
		.amdhsa_exception_fp_ieee_underflow 0
		.amdhsa_exception_fp_ieee_inexact 0
		.amdhsa_exception_int_div_zero 0
	.end_amdhsa_kernel
	.section	.text._ZN9rocsparseL20bsrxmvn_17_32_kernelILj17EfiifffEEvT2_20rocsparse_direction_NS_24const_host_device_scalarIT0_EES1_PKS1_PKT1_SA_S7_PKT3_PKT4_S5_PT5_21rocsparse_index_base_b,"axG",@progbits,_ZN9rocsparseL20bsrxmvn_17_32_kernelILj17EfiifffEEvT2_20rocsparse_direction_NS_24const_host_device_scalarIT0_EES1_PKS1_PKT1_SA_S7_PKT3_PKT4_S5_PT5_21rocsparse_index_base_b,comdat
.Lfunc_end0:
	.size	_ZN9rocsparseL20bsrxmvn_17_32_kernelILj17EfiifffEEvT2_20rocsparse_direction_NS_24const_host_device_scalarIT0_EES1_PKS1_PKT1_SA_S7_PKT3_PKT4_S5_PT5_21rocsparse_index_base_b, .Lfunc_end0-_ZN9rocsparseL20bsrxmvn_17_32_kernelILj17EfiifffEEvT2_20rocsparse_direction_NS_24const_host_device_scalarIT0_EES1_PKS1_PKT1_SA_S7_PKT3_PKT4_S5_PT5_21rocsparse_index_base_b
                                        ; -- End function
	.section	.AMDGPU.csdata,"",@progbits
; Kernel info:
; codeLenInByte = 1536
; NumSgprs: 19
; NumVgprs: 11
; ScratchSize: 0
; MemoryBound: 0
; FloatMode: 240
; IeeeMode: 1
; LDSByteSize: 1156 bytes/workgroup (compile time only)
; SGPRBlocks: 2
; VGPRBlocks: 1
; NumSGPRsForWavesPerEU: 19
; NumVGPRsForWavesPerEU: 11
; Occupancy: 15
; WaveLimiterHint : 1
; COMPUTE_PGM_RSRC2:SCRATCH_EN: 0
; COMPUTE_PGM_RSRC2:USER_SGPR: 15
; COMPUTE_PGM_RSRC2:TRAP_HANDLER: 0
; COMPUTE_PGM_RSRC2:TGID_X_EN: 1
; COMPUTE_PGM_RSRC2:TGID_Y_EN: 0
; COMPUTE_PGM_RSRC2:TGID_Z_EN: 0
; COMPUTE_PGM_RSRC2:TIDIG_COMP_CNT: 0
	.section	.text._ZN9rocsparseL20bsrxmvn_17_32_kernelILj18EfiifffEEvT2_20rocsparse_direction_NS_24const_host_device_scalarIT0_EES1_PKS1_PKT1_SA_S7_PKT3_PKT4_S5_PT5_21rocsparse_index_base_b,"axG",@progbits,_ZN9rocsparseL20bsrxmvn_17_32_kernelILj18EfiifffEEvT2_20rocsparse_direction_NS_24const_host_device_scalarIT0_EES1_PKS1_PKT1_SA_S7_PKT3_PKT4_S5_PT5_21rocsparse_index_base_b,comdat
	.globl	_ZN9rocsparseL20bsrxmvn_17_32_kernelILj18EfiifffEEvT2_20rocsparse_direction_NS_24const_host_device_scalarIT0_EES1_PKS1_PKT1_SA_S7_PKT3_PKT4_S5_PT5_21rocsparse_index_base_b ; -- Begin function _ZN9rocsparseL20bsrxmvn_17_32_kernelILj18EfiifffEEvT2_20rocsparse_direction_NS_24const_host_device_scalarIT0_EES1_PKS1_PKT1_SA_S7_PKT3_PKT4_S5_PT5_21rocsparse_index_base_b
	.p2align	8
	.type	_ZN9rocsparseL20bsrxmvn_17_32_kernelILj18EfiifffEEvT2_20rocsparse_direction_NS_24const_host_device_scalarIT0_EES1_PKS1_PKT1_SA_S7_PKT3_PKT4_S5_PT5_21rocsparse_index_base_b,@function
_ZN9rocsparseL20bsrxmvn_17_32_kernelILj18EfiifffEEvT2_20rocsparse_direction_NS_24const_host_device_scalarIT0_EES1_PKS1_PKT1_SA_S7_PKT3_PKT4_S5_PT5_21rocsparse_index_base_b: ; @_ZN9rocsparseL20bsrxmvn_17_32_kernelILj18EfiifffEEvT2_20rocsparse_direction_NS_24const_host_device_scalarIT0_EES1_PKS1_PKT1_SA_S7_PKT3_PKT4_S5_PT5_21rocsparse_index_base_b
; %bb.0:
	s_mov_b32 s8, s15
	s_clause 0x2
	s_load_b64 s[14:15], s[0:1], 0x58
	s_load_b64 s[10:11], s[0:1], 0x8
	;; [unrolled: 1-line block ×3, first 2 shown]
	s_waitcnt lgkmcnt(0)
	s_bitcmp1_b32 s15, 0
	s_cselect_b32 s4, -1, 0
	s_delay_alu instid0(SALU_CYCLE_1)
	s_and_b32 vcc_lo, exec_lo, s4
	s_xor_b32 s4, s4, -1
	s_cbranch_vccnz .LBB1_2
; %bb.1:
	s_load_b32 s10, s[10:11], 0x0
.LBB1_2:
	s_and_not1_b32 vcc_lo, exec_lo, s4
	s_cbranch_vccnz .LBB1_4
; %bb.3:
	s_load_b32 s2, s[2:3], 0x0
.LBB1_4:
	s_waitcnt lgkmcnt(0)
	v_cmp_neq_f32_e64 s3, s10, 0
	v_cmp_neq_f32_e64 s4, s2, 1.0
	s_delay_alu instid0(VALU_DEP_1) | instskip(NEXT) | instid1(SALU_CYCLE_1)
	s_or_b32 s3, s3, s4
	s_and_not1_b32 vcc_lo, exec_lo, s3
	s_cbranch_vccnz .LBB1_42
; %bb.5:
	s_clause 0x1
	s_load_b128 s[4:7], s[0:1], 0x18
	s_load_b64 s[12:13], s[0:1], 0x28
	s_waitcnt lgkmcnt(0)
	s_cmp_eq_u64 s[4:5], 0
	s_cbranch_scc1 .LBB1_7
; %bb.6:
	s_ashr_i32 s9, s8, 31
	s_delay_alu instid0(SALU_CYCLE_1) | instskip(NEXT) | instid1(SALU_CYCLE_1)
	s_lshl_b64 s[8:9], s[8:9], 2
	s_add_u32 s4, s4, s8
	s_addc_u32 s5, s5, s9
	s_load_b32 s3, s[4:5], 0x0
	s_waitcnt lgkmcnt(0)
	s_sub_i32 s8, s3, s14
.LBB1_7:
	s_load_b32 s3, s[0:1], 0x4
	v_mul_u32_u24_e32 v1, 0xe39, v0
	v_dual_mov_b32 v6, 0 :: v_dual_lshlrev_b32 v7, 2, v0
	s_delay_alu instid0(VALU_DEP_2) | instskip(NEXT) | instid1(VALU_DEP_1)
	v_lshrrev_b32_e32 v1, 16, v1
	v_mul_lo_u16 v2, v1, 18
	s_delay_alu instid0(VALU_DEP_1)
	v_sub_nc_u16 v8, v0, v2
	s_waitcnt lgkmcnt(0)
	s_cmp_eq_u32 s3, 1
	s_cselect_b32 vcc_lo, -1, 0
	s_cmp_lg_u32 s3, 1
	s_cselect_b32 s3, -1, 0
	s_ashr_i32 s9, s8, 31
	s_delay_alu instid0(SALU_CYCLE_1) | instskip(NEXT) | instid1(SALU_CYCLE_1)
	s_lshl_b64 s[4:5], s[8:9], 2
	s_add_u32 s6, s6, s4
	s_addc_u32 s7, s7, s5
	s_add_u32 s9, s6, 4
	s_addc_u32 s11, s7, 0
	;; [unrolled: 2-line block ×3, first 2 shown]
	s_cmp_eq_u64 s[12:13], 0
	s_load_b64 s[12:13], s[0:1], 0x50
	s_cselect_b32 s5, s11, s5
	s_cselect_b32 s4, s9, s4
	s_load_b32 s11, s[6:7], 0x0
	s_load_b32 s9, s[4:5], 0x0
	s_waitcnt lgkmcnt(0)
	s_cmp_ge_i32 s11, s9
	s_cbranch_scc1 .LBB1_12
; %bb.8:
	v_mul_lo_u16 v2, v1, 15
	s_clause 0x1
	s_load_b128 s[4:7], s[0:1], 0x30
	s_load_b64 s[0:1], s[0:1], 0x40
	v_and_b32_e32 v5, 0xffff, v0
	s_sub_i32 s11, s11, s14
	v_lshrrev_b16 v2, 8, v2
	v_dual_mov_b32 v6, 0 :: v_dual_and_b32 v3, 0xffff, v8
	s_mul_i32 s16, s11, 0x510
	s_sub_i32 s9, s9, s14
	s_delay_alu instid0(VALU_DEP_2) | instskip(SKIP_2) | instid1(VALU_DEP_2)
	v_mul_lo_u16 v2, v2, 18
	v_mul_u32_u24_e32 v5, 0x195, v5
	s_mul_hi_i32 s15, s11, 0x510
	v_sub_nc_u16 v1, v1, v2
	s_delay_alu instid0(VALU_DEP_1)
	v_and_b32_e32 v9, 0xff, v1
	v_lshlrev_b32_e32 v4, 2, v0
	s_waitcnt lgkmcnt(0)
	s_add_u32 s6, s6, s16
	s_addc_u32 s7, s7, s15
	v_cndmask_b32_e32 v3, v3, v9, vcc_lo
	v_add_co_u32 v1, s6, s6, v4
	s_delay_alu instid0(VALU_DEP_1)
	v_add_co_ci_u32_e64 v2, null, s7, 0, s6
	v_lshrrev_b32_e32 v9, 17, v5
	s_set_inst_prefetch_distance 0x1
	s_branch .LBB1_10
	.p2align	6
.LBB1_9:                                ;   in Loop: Header=BB1_10 Depth=1
	s_or_b32 exec_lo, exec_lo, s6
	s_add_i32 s11, s11, 1
	s_delay_alu instid0(SALU_CYCLE_1)
	s_cmp_lt_i32 s11, s9
	s_cbranch_scc0 .LBB1_12
.LBB1_10:                               ; =>This Inner Loop Header: Depth=1
	s_delay_alu instid0(VALU_DEP_1) | instskip(SKIP_1) | instid1(VALU_DEP_1)
	v_add_nc_u32_e32 v4, s11, v9
	s_mov_b32 s6, exec_lo
	v_cmpx_gt_i32_e64 s9, v4
	s_cbranch_execz .LBB1_9
; %bb.11:                               ;   in Loop: Header=BB1_10 Depth=1
	v_ashrrev_i32_e32 v5, 31, v4
	s_delay_alu instid0(VALU_DEP_1) | instskip(NEXT) | instid1(VALU_DEP_1)
	v_lshlrev_b64 v[4:5], 2, v[4:5]
	v_add_co_u32 v4, vcc_lo, s4, v4
	s_delay_alu instid0(VALU_DEP_2) | instskip(SKIP_3) | instid1(VALU_DEP_1)
	v_add_co_ci_u32_e32 v5, vcc_lo, s5, v5, vcc_lo
	global_load_b32 v4, v[4:5], off
	s_waitcnt vmcnt(0)
	v_subrev_nc_u32_e32 v10, s14, v4
	v_mad_u64_u32 v[4:5], null, v10, 18, v[3:4]
	s_delay_alu instid0(VALU_DEP_1) | instskip(NEXT) | instid1(VALU_DEP_1)
	v_ashrrev_i32_e32 v5, 31, v4
	v_lshlrev_b64 v[4:5], 2, v[4:5]
	s_delay_alu instid0(VALU_DEP_1) | instskip(NEXT) | instid1(VALU_DEP_2)
	v_add_co_u32 v4, vcc_lo, s0, v4
	v_add_co_ci_u32_e32 v5, vcc_lo, s1, v5, vcc_lo
	global_load_b32 v10, v[1:2], off
	global_load_b32 v4, v[4:5], off
	v_add_co_u32 v1, vcc_lo, 0x510, v1
	v_add_co_ci_u32_e32 v2, vcc_lo, 0, v2, vcc_lo
	s_waitcnt vmcnt(0)
	v_fmac_f32_e32 v6, v10, v4
	s_branch .LBB1_9
.LBB1_12:
	s_set_inst_prefetch_distance 0x2
	s_and_b32 vcc_lo, exec_lo, s3
	ds_store_b32 v7, v6
	s_waitcnt lgkmcnt(0)
	s_barrier
	buffer_gl0_inv
	s_cbranch_vccz .LBB1_24
; %bb.13:
	v_cmp_gt_u16_e32 vcc_lo, 2, v8
	s_and_saveexec_b32 s0, vcc_lo
	s_cbranch_execz .LBB1_15
; %bb.14:
	ds_load_2addr_b32 v[1:2], v7 offset1:16
	s_waitcnt lgkmcnt(0)
	v_add_f32_e32 v1, v2, v1
	ds_store_b32 v7, v1
.LBB1_15:
	s_or_b32 exec_lo, exec_lo, s0
	s_delay_alu instid0(SALU_CYCLE_1)
	s_mov_b32 s1, exec_lo
	s_waitcnt lgkmcnt(0)
	s_barrier
	buffer_gl0_inv
	v_cmpx_gt_u16_e32 8, v8
	s_cbranch_execz .LBB1_17
; %bb.16:
	ds_load_2addr_b32 v[1:2], v7 offset1:8
	s_waitcnt lgkmcnt(0)
	v_add_f32_e32 v1, v2, v1
	ds_store_b32 v7, v1
.LBB1_17:
	s_or_b32 exec_lo, exec_lo, s1
	s_delay_alu instid0(SALU_CYCLE_1)
	s_mov_b32 s1, exec_lo
	s_waitcnt lgkmcnt(0)
	s_barrier
	buffer_gl0_inv
	v_cmpx_gt_u16_e32 4, v8
	s_cbranch_execz .LBB1_19
; %bb.18:
	ds_load_2addr_b32 v[1:2], v7 offset1:4
	s_waitcnt lgkmcnt(0)
	v_add_f32_e32 v1, v2, v1
	ds_store_b32 v7, v1
.LBB1_19:
	s_or_b32 exec_lo, exec_lo, s1
	s_waitcnt lgkmcnt(0)
	s_barrier
	buffer_gl0_inv
	s_and_saveexec_b32 s0, vcc_lo
	s_cbranch_execz .LBB1_21
; %bb.20:
	ds_load_2addr_b32 v[1:2], v7 offset1:2
	s_waitcnt lgkmcnt(0)
	v_add_f32_e32 v1, v2, v1
	ds_store_b32 v7, v1
.LBB1_21:
	s_or_b32 exec_lo, exec_lo, s0
	s_mov_b32 s0, 0
	s_mov_b32 s1, 0
	s_mov_b32 s3, exec_lo
	s_waitcnt lgkmcnt(0)
	s_barrier
	buffer_gl0_inv
                                        ; implicit-def: $vgpr1
                                        ; implicit-def: $vgpr2
	v_cmpx_gt_u32_e32 18, v0
	s_xor_b32 s3, exec_lo, s3
; %bb.22:
	v_mul_u32_u24_e32 v1, 18, v0
	v_mad_u32_u24 v2, 0x44, v0, v7
	s_mov_b32 s1, exec_lo
	s_delay_alu instid0(VALU_DEP_2)
	v_or_b32_e32 v1, 1, v1
; %bb.23:
	s_or_b32 exec_lo, exec_lo, s3
	s_delay_alu instid0(SALU_CYCLE_1)
	s_and_b32 vcc_lo, exec_lo, s0
	s_cbranch_vccnz .LBB1_25
	s_branch .LBB1_36
.LBB1_24:
	s_mov_b32 s1, 0
                                        ; implicit-def: $vgpr1
                                        ; implicit-def: $vgpr2
	s_cbranch_execz .LBB1_36
.LBB1_25:
	v_cmp_gt_u32_e32 vcc_lo, 36, v0
	s_and_saveexec_b32 s0, vcc_lo
	s_cbranch_execz .LBB1_27
; %bb.26:
	ds_load_b32 v1, v7 offset:1152
	ds_load_b32 v2, v7
	s_waitcnt lgkmcnt(0)
	v_add_f32_e32 v1, v1, v2
	ds_store_b32 v7, v1
.LBB1_27:
	s_or_b32 exec_lo, exec_lo, s0
	s_delay_alu instid0(SALU_CYCLE_1)
	s_mov_b32 s3, exec_lo
	s_waitcnt lgkmcnt(0)
	s_barrier
	buffer_gl0_inv
	v_cmpx_gt_u32_e32 0x90, v0
	s_cbranch_execz .LBB1_29
; %bb.28:
	ds_load_2addr_b32 v[1:2], v7 offset1:144
	s_waitcnt lgkmcnt(0)
	v_add_f32_e32 v1, v2, v1
	ds_store_b32 v7, v1
.LBB1_29:
	s_or_b32 exec_lo, exec_lo, s3
	s_delay_alu instid0(SALU_CYCLE_1)
	s_mov_b32 s3, exec_lo
	s_waitcnt lgkmcnt(0)
	s_barrier
	buffer_gl0_inv
	v_cmpx_gt_u32_e32 0x48, v0
	s_cbranch_execz .LBB1_31
; %bb.30:
	ds_load_2addr_b32 v[1:2], v7 offset1:72
	s_waitcnt lgkmcnt(0)
	v_add_f32_e32 v1, v2, v1
	ds_store_b32 v7, v1
.LBB1_31:
	s_or_b32 exec_lo, exec_lo, s3
	s_waitcnt lgkmcnt(0)
	s_barrier
	buffer_gl0_inv
	s_and_saveexec_b32 s0, vcc_lo
	s_cbranch_execz .LBB1_33
; %bb.32:
	ds_load_2addr_b32 v[1:2], v7 offset1:36
	s_waitcnt lgkmcnt(0)
	v_add_f32_e32 v1, v2, v1
	ds_store_b32 v7, v1
.LBB1_33:
	s_or_b32 exec_lo, exec_lo, s0
	s_delay_alu instid0(SALU_CYCLE_1)
	s_mov_b32 s0, exec_lo
	s_waitcnt lgkmcnt(0)
	buffer_gl0_inv
                                        ; implicit-def: $vgpr1
	v_cmpx_gt_u32_e32 18, v0
; %bb.34:
	v_add_nc_u32_e32 v1, 18, v0
	s_or_b32 s1, s1, exec_lo
                                        ; implicit-def: $vgpr6
; %bb.35:
	s_or_b32 exec_lo, exec_lo, s0
	v_mov_b32_e32 v2, v7
.LBB1_36:
	s_and_saveexec_b32 s0, s1
	s_cbranch_execz .LBB1_38
; %bb.37:
	v_lshlrev_b32_e32 v1, 2, v1
	ds_load_b32 v2, v2
	ds_load_b32 v1, v1
	s_waitcnt lgkmcnt(0)
	v_add_f32_e32 v6, v2, v1
.LBB1_38:
	s_or_b32 exec_lo, exec_lo, s0
	s_delay_alu instid0(SALU_CYCLE_1)
	s_mov_b32 s0, exec_lo
	v_cmpx_gt_u32_e32 18, v0
	s_cbranch_execz .LBB1_42
; %bb.39:
	v_cmp_eq_f32_e64 s0, s2, 0
	v_mul_f32_e32 v1, s10, v6
	s_delay_alu instid0(VALU_DEP_2)
	s_and_b32 vcc_lo, exec_lo, s0
	s_mov_b32 s0, 0
	s_cbranch_vccz .LBB1_43
; %bb.40:
	s_delay_alu instid0(VALU_DEP_1) | instskip(SKIP_1) | instid1(VALU_DEP_1)
	v_mad_u64_u32 v[2:3], null, s8, 18, v[0:1]
	v_mov_b32_e32 v3, 0
	v_lshlrev_b64 v[2:3], 2, v[2:3]
	s_delay_alu instid0(VALU_DEP_1) | instskip(NEXT) | instid1(VALU_DEP_2)
	v_add_co_u32 v2, vcc_lo, s12, v2
	v_add_co_ci_u32_e32 v3, vcc_lo, s13, v3, vcc_lo
	global_store_b32 v[2:3], v1, off
	s_and_not1_b32 vcc_lo, exec_lo, s0
	s_cbranch_vccnz .LBB1_42
.LBB1_41:
	v_mad_u64_u32 v[2:3], null, s8, 18, v[0:1]
	v_mov_b32_e32 v3, 0
	s_delay_alu instid0(VALU_DEP_1) | instskip(NEXT) | instid1(VALU_DEP_1)
	v_lshlrev_b64 v[2:3], 2, v[2:3]
	v_add_co_u32 v2, vcc_lo, s12, v2
	s_delay_alu instid0(VALU_DEP_2)
	v_add_co_ci_u32_e32 v3, vcc_lo, s13, v3, vcc_lo
	global_load_b32 v0, v[2:3], off
	s_waitcnt vmcnt(0)
	v_fmac_f32_e32 v1, s2, v0
	global_store_b32 v[2:3], v1, off
.LBB1_42:
	s_nop 0
	s_sendmsg sendmsg(MSG_DEALLOC_VGPRS)
	s_endpgm
.LBB1_43:
	s_branch .LBB1_41
	.section	.rodata,"a",@progbits
	.p2align	6, 0x0
	.amdhsa_kernel _ZN9rocsparseL20bsrxmvn_17_32_kernelILj18EfiifffEEvT2_20rocsparse_direction_NS_24const_host_device_scalarIT0_EES1_PKS1_PKT1_SA_S7_PKT3_PKT4_S5_PT5_21rocsparse_index_base_b
		.amdhsa_group_segment_fixed_size 1296
		.amdhsa_private_segment_fixed_size 0
		.amdhsa_kernarg_size 96
		.amdhsa_user_sgpr_count 15
		.amdhsa_user_sgpr_dispatch_ptr 0
		.amdhsa_user_sgpr_queue_ptr 0
		.amdhsa_user_sgpr_kernarg_segment_ptr 1
		.amdhsa_user_sgpr_dispatch_id 0
		.amdhsa_user_sgpr_private_segment_size 0
		.amdhsa_wavefront_size32 1
		.amdhsa_uses_dynamic_stack 0
		.amdhsa_enable_private_segment 0
		.amdhsa_system_sgpr_workgroup_id_x 1
		.amdhsa_system_sgpr_workgroup_id_y 0
		.amdhsa_system_sgpr_workgroup_id_z 0
		.amdhsa_system_sgpr_workgroup_info 0
		.amdhsa_system_vgpr_workitem_id 0
		.amdhsa_next_free_vgpr 11
		.amdhsa_next_free_sgpr 17
		.amdhsa_reserve_vcc 1
		.amdhsa_float_round_mode_32 0
		.amdhsa_float_round_mode_16_64 0
		.amdhsa_float_denorm_mode_32 3
		.amdhsa_float_denorm_mode_16_64 3
		.amdhsa_dx10_clamp 1
		.amdhsa_ieee_mode 1
		.amdhsa_fp16_overflow 0
		.amdhsa_workgroup_processor_mode 1
		.amdhsa_memory_ordered 1
		.amdhsa_forward_progress 0
		.amdhsa_shared_vgpr_count 0
		.amdhsa_exception_fp_ieee_invalid_op 0
		.amdhsa_exception_fp_denorm_src 0
		.amdhsa_exception_fp_ieee_div_zero 0
		.amdhsa_exception_fp_ieee_overflow 0
		.amdhsa_exception_fp_ieee_underflow 0
		.amdhsa_exception_fp_ieee_inexact 0
		.amdhsa_exception_int_div_zero 0
	.end_amdhsa_kernel
	.section	.text._ZN9rocsparseL20bsrxmvn_17_32_kernelILj18EfiifffEEvT2_20rocsparse_direction_NS_24const_host_device_scalarIT0_EES1_PKS1_PKT1_SA_S7_PKT3_PKT4_S5_PT5_21rocsparse_index_base_b,"axG",@progbits,_ZN9rocsparseL20bsrxmvn_17_32_kernelILj18EfiifffEEvT2_20rocsparse_direction_NS_24const_host_device_scalarIT0_EES1_PKS1_PKT1_SA_S7_PKT3_PKT4_S5_PT5_21rocsparse_index_base_b,comdat
.Lfunc_end1:
	.size	_ZN9rocsparseL20bsrxmvn_17_32_kernelILj18EfiifffEEvT2_20rocsparse_direction_NS_24const_host_device_scalarIT0_EES1_PKS1_PKT1_SA_S7_PKT3_PKT4_S5_PT5_21rocsparse_index_base_b, .Lfunc_end1-_ZN9rocsparseL20bsrxmvn_17_32_kernelILj18EfiifffEEvT2_20rocsparse_direction_NS_24const_host_device_scalarIT0_EES1_PKS1_PKT1_SA_S7_PKT3_PKT4_S5_PT5_21rocsparse_index_base_b
                                        ; -- End function
	.section	.AMDGPU.csdata,"",@progbits
; Kernel info:
; codeLenInByte = 1520
; NumSgprs: 19
; NumVgprs: 11
; ScratchSize: 0
; MemoryBound: 0
; FloatMode: 240
; IeeeMode: 1
; LDSByteSize: 1296 bytes/workgroup (compile time only)
; SGPRBlocks: 2
; VGPRBlocks: 1
; NumSGPRsForWavesPerEU: 19
; NumVGPRsForWavesPerEU: 11
; Occupancy: 14
; WaveLimiterHint : 1
; COMPUTE_PGM_RSRC2:SCRATCH_EN: 0
; COMPUTE_PGM_RSRC2:USER_SGPR: 15
; COMPUTE_PGM_RSRC2:TRAP_HANDLER: 0
; COMPUTE_PGM_RSRC2:TGID_X_EN: 1
; COMPUTE_PGM_RSRC2:TGID_Y_EN: 0
; COMPUTE_PGM_RSRC2:TGID_Z_EN: 0
; COMPUTE_PGM_RSRC2:TIDIG_COMP_CNT: 0
	.section	.text._ZN9rocsparseL20bsrxmvn_17_32_kernelILj19EfiifffEEvT2_20rocsparse_direction_NS_24const_host_device_scalarIT0_EES1_PKS1_PKT1_SA_S7_PKT3_PKT4_S5_PT5_21rocsparse_index_base_b,"axG",@progbits,_ZN9rocsparseL20bsrxmvn_17_32_kernelILj19EfiifffEEvT2_20rocsparse_direction_NS_24const_host_device_scalarIT0_EES1_PKS1_PKT1_SA_S7_PKT3_PKT4_S5_PT5_21rocsparse_index_base_b,comdat
	.globl	_ZN9rocsparseL20bsrxmvn_17_32_kernelILj19EfiifffEEvT2_20rocsparse_direction_NS_24const_host_device_scalarIT0_EES1_PKS1_PKT1_SA_S7_PKT3_PKT4_S5_PT5_21rocsparse_index_base_b ; -- Begin function _ZN9rocsparseL20bsrxmvn_17_32_kernelILj19EfiifffEEvT2_20rocsparse_direction_NS_24const_host_device_scalarIT0_EES1_PKS1_PKT1_SA_S7_PKT3_PKT4_S5_PT5_21rocsparse_index_base_b
	.p2align	8
	.type	_ZN9rocsparseL20bsrxmvn_17_32_kernelILj19EfiifffEEvT2_20rocsparse_direction_NS_24const_host_device_scalarIT0_EES1_PKS1_PKT1_SA_S7_PKT3_PKT4_S5_PT5_21rocsparse_index_base_b,@function
_ZN9rocsparseL20bsrxmvn_17_32_kernelILj19EfiifffEEvT2_20rocsparse_direction_NS_24const_host_device_scalarIT0_EES1_PKS1_PKT1_SA_S7_PKT3_PKT4_S5_PT5_21rocsparse_index_base_b: ; @_ZN9rocsparseL20bsrxmvn_17_32_kernelILj19EfiifffEEvT2_20rocsparse_direction_NS_24const_host_device_scalarIT0_EES1_PKS1_PKT1_SA_S7_PKT3_PKT4_S5_PT5_21rocsparse_index_base_b
; %bb.0:
	s_mov_b32 s8, s15
	s_clause 0x2
	s_load_b64 s[14:15], s[0:1], 0x58
	s_load_b64 s[10:11], s[0:1], 0x8
	;; [unrolled: 1-line block ×3, first 2 shown]
	s_waitcnt lgkmcnt(0)
	s_bitcmp1_b32 s15, 0
	s_cselect_b32 s4, -1, 0
	s_delay_alu instid0(SALU_CYCLE_1)
	s_and_b32 vcc_lo, exec_lo, s4
	s_xor_b32 s4, s4, -1
	s_cbranch_vccnz .LBB2_2
; %bb.1:
	s_load_b32 s10, s[10:11], 0x0
.LBB2_2:
	s_and_not1_b32 vcc_lo, exec_lo, s4
	s_cbranch_vccnz .LBB2_4
; %bb.3:
	s_load_b32 s2, s[2:3], 0x0
.LBB2_4:
	s_waitcnt lgkmcnt(0)
	v_cmp_neq_f32_e64 s3, s10, 0
	v_cmp_neq_f32_e64 s4, s2, 1.0
	s_delay_alu instid0(VALU_DEP_1) | instskip(NEXT) | instid1(SALU_CYCLE_1)
	s_or_b32 s3, s3, s4
	s_and_not1_b32 vcc_lo, exec_lo, s3
	s_cbranch_vccnz .LBB2_42
; %bb.5:
	s_clause 0x1
	s_load_b128 s[4:7], s[0:1], 0x18
	s_load_b64 s[12:13], s[0:1], 0x28
	s_waitcnt lgkmcnt(0)
	s_cmp_eq_u64 s[4:5], 0
	s_cbranch_scc1 .LBB2_7
; %bb.6:
	s_ashr_i32 s9, s8, 31
	s_delay_alu instid0(SALU_CYCLE_1) | instskip(NEXT) | instid1(SALU_CYCLE_1)
	s_lshl_b64 s[8:9], s[8:9], 2
	s_add_u32 s4, s4, s8
	s_addc_u32 s5, s5, s9
	s_load_b32 s3, s[4:5], 0x0
	s_waitcnt lgkmcnt(0)
	s_sub_i32 s8, s3, s14
.LBB2_7:
	s_load_b32 s3, s[0:1], 0x4
	v_mul_u32_u24_e32 v1, 0xd7a, v0
	v_dual_mov_b32 v6, 0 :: v_dual_lshlrev_b32 v7, 2, v0
	s_delay_alu instid0(VALU_DEP_2) | instskip(NEXT) | instid1(VALU_DEP_1)
	v_lshrrev_b32_e32 v1, 16, v1
	v_mul_lo_u16 v2, v1, 19
	s_delay_alu instid0(VALU_DEP_1)
	v_sub_nc_u16 v8, v0, v2
	s_waitcnt lgkmcnt(0)
	s_cmp_eq_u32 s3, 1
	s_cselect_b32 vcc_lo, -1, 0
	s_cmp_lg_u32 s3, 1
	s_cselect_b32 s3, -1, 0
	s_ashr_i32 s9, s8, 31
	s_delay_alu instid0(SALU_CYCLE_1) | instskip(NEXT) | instid1(SALU_CYCLE_1)
	s_lshl_b64 s[4:5], s[8:9], 2
	s_add_u32 s6, s6, s4
	s_addc_u32 s7, s7, s5
	s_add_u32 s9, s6, 4
	s_addc_u32 s11, s7, 0
	s_add_u32 s4, s12, s4
	s_addc_u32 s5, s13, s5
	s_cmp_eq_u64 s[12:13], 0
	s_load_b64 s[12:13], s[0:1], 0x50
	s_cselect_b32 s5, s11, s5
	s_cselect_b32 s4, s9, s4
	s_load_b32 s11, s[6:7], 0x0
	s_load_b32 s9, s[4:5], 0x0
	s_waitcnt lgkmcnt(0)
	s_cmp_ge_i32 s11, s9
	s_cbranch_scc1 .LBB2_12
; %bb.8:
	v_mul_lo_u16 v2, v1, 14
	s_clause 0x1
	s_load_b128 s[4:7], s[0:1], 0x30
	s_load_b64 s[0:1], s[0:1], 0x40
	v_and_b32_e32 v5, 0xffff, v0
	s_sub_i32 s11, s11, s14
	v_lshrrev_b16 v2, 8, v2
	v_dual_mov_b32 v6, 0 :: v_dual_and_b32 v3, 0xffff, v8
	s_mul_i32 s16, s11, 0x5a4
	s_sub_i32 s9, s9, s14
	s_delay_alu instid0(VALU_DEP_2) | instskip(SKIP_2) | instid1(VALU_DEP_2)
	v_mul_lo_u16 v2, v2, 19
	v_mul_u32_u24_e32 v5, 0xb6, v5
	s_mul_hi_i32 s15, s11, 0x5a4
	v_sub_nc_u16 v1, v1, v2
	s_delay_alu instid0(VALU_DEP_1)
	v_and_b32_e32 v9, 0xff, v1
	v_lshlrev_b32_e32 v4, 2, v0
	s_waitcnt lgkmcnt(0)
	s_add_u32 s6, s6, s16
	s_addc_u32 s7, s7, s15
	v_cndmask_b32_e32 v3, v3, v9, vcc_lo
	v_add_co_u32 v1, s6, s6, v4
	s_delay_alu instid0(VALU_DEP_1)
	v_add_co_ci_u32_e64 v2, null, s7, 0, s6
	v_lshrrev_b32_e32 v9, 16, v5
	s_set_inst_prefetch_distance 0x1
	s_branch .LBB2_10
	.p2align	6
.LBB2_9:                                ;   in Loop: Header=BB2_10 Depth=1
	s_or_b32 exec_lo, exec_lo, s6
	s_add_i32 s11, s11, 1
	s_delay_alu instid0(SALU_CYCLE_1)
	s_cmp_lt_i32 s11, s9
	s_cbranch_scc0 .LBB2_12
.LBB2_10:                               ; =>This Inner Loop Header: Depth=1
	s_delay_alu instid0(VALU_DEP_1) | instskip(SKIP_1) | instid1(VALU_DEP_1)
	v_add_nc_u32_e32 v4, s11, v9
	s_mov_b32 s6, exec_lo
	v_cmpx_gt_i32_e64 s9, v4
	s_cbranch_execz .LBB2_9
; %bb.11:                               ;   in Loop: Header=BB2_10 Depth=1
	v_ashrrev_i32_e32 v5, 31, v4
	s_delay_alu instid0(VALU_DEP_1) | instskip(NEXT) | instid1(VALU_DEP_1)
	v_lshlrev_b64 v[4:5], 2, v[4:5]
	v_add_co_u32 v4, vcc_lo, s4, v4
	s_delay_alu instid0(VALU_DEP_2) | instskip(SKIP_3) | instid1(VALU_DEP_1)
	v_add_co_ci_u32_e32 v5, vcc_lo, s5, v5, vcc_lo
	global_load_b32 v4, v[4:5], off
	s_waitcnt vmcnt(0)
	v_subrev_nc_u32_e32 v10, s14, v4
	v_mad_u64_u32 v[4:5], null, v10, 19, v[3:4]
	s_delay_alu instid0(VALU_DEP_1) | instskip(NEXT) | instid1(VALU_DEP_1)
	v_ashrrev_i32_e32 v5, 31, v4
	v_lshlrev_b64 v[4:5], 2, v[4:5]
	s_delay_alu instid0(VALU_DEP_1) | instskip(NEXT) | instid1(VALU_DEP_2)
	v_add_co_u32 v4, vcc_lo, s0, v4
	v_add_co_ci_u32_e32 v5, vcc_lo, s1, v5, vcc_lo
	global_load_b32 v10, v[1:2], off
	global_load_b32 v4, v[4:5], off
	v_add_co_u32 v1, vcc_lo, 0x5a4, v1
	v_add_co_ci_u32_e32 v2, vcc_lo, 0, v2, vcc_lo
	s_waitcnt vmcnt(0)
	v_fmac_f32_e32 v6, v10, v4
	s_branch .LBB2_9
.LBB2_12:
	s_set_inst_prefetch_distance 0x2
	s_and_b32 vcc_lo, exec_lo, s3
	ds_store_b32 v7, v6
	s_waitcnt lgkmcnt(0)
	s_barrier
	buffer_gl0_inv
	s_cbranch_vccz .LBB2_24
; %bb.13:
	s_mov_b32 s0, exec_lo
	v_cmpx_gt_u16_e32 3, v8
	s_cbranch_execz .LBB2_15
; %bb.14:
	ds_load_2addr_b32 v[1:2], v7 offset1:16
	s_waitcnt lgkmcnt(0)
	v_add_f32_e32 v1, v2, v1
	ds_store_b32 v7, v1
.LBB2_15:
	s_or_b32 exec_lo, exec_lo, s0
	s_delay_alu instid0(SALU_CYCLE_1)
	s_mov_b32 s0, exec_lo
	s_waitcnt lgkmcnt(0)
	s_barrier
	buffer_gl0_inv
	v_cmpx_gt_u16_e32 8, v8
	s_cbranch_execz .LBB2_17
; %bb.16:
	ds_load_2addr_b32 v[1:2], v7 offset1:8
	s_waitcnt lgkmcnt(0)
	v_add_f32_e32 v1, v2, v1
	ds_store_b32 v7, v1
.LBB2_17:
	s_or_b32 exec_lo, exec_lo, s0
	s_delay_alu instid0(SALU_CYCLE_1)
	s_mov_b32 s0, exec_lo
	s_waitcnt lgkmcnt(0)
	s_barrier
	buffer_gl0_inv
	;; [unrolled: 14-line block ×3, first 2 shown]
	v_cmpx_gt_u16_e32 2, v8
	s_cbranch_execz .LBB2_21
; %bb.20:
	ds_load_2addr_b32 v[1:2], v7 offset1:2
	s_waitcnt lgkmcnt(0)
	v_add_f32_e32 v1, v2, v1
	ds_store_b32 v7, v1
.LBB2_21:
	s_or_b32 exec_lo, exec_lo, s0
	s_mov_b32 s1, 0
	s_mov_b32 s0, 0
	s_mov_b32 s3, exec_lo
	s_waitcnt lgkmcnt(0)
	s_barrier
	buffer_gl0_inv
                                        ; implicit-def: $vgpr1
                                        ; implicit-def: $vgpr2
	v_cmpx_gt_u32_e32 19, v0
	s_xor_b32 s3, exec_lo, s3
; %bb.22:
	v_mad_u32_u24 v1, v0, 19, 1
	v_mad_u32_u24 v2, 0x48, v0, v7
	s_mov_b32 s0, exec_lo
; %bb.23:
	s_or_b32 exec_lo, exec_lo, s3
	s_delay_alu instid0(SALU_CYCLE_1)
	s_and_b32 vcc_lo, exec_lo, s1
	s_cbranch_vccnz .LBB2_25
	s_branch .LBB2_36
.LBB2_24:
	s_mov_b32 s0, 0
                                        ; implicit-def: $vgpr1
                                        ; implicit-def: $vgpr2
	s_cbranch_execz .LBB2_36
.LBB2_25:
	s_mov_b32 s1, exec_lo
	v_cmpx_gt_u32_e32 57, v0
	s_cbranch_execz .LBB2_27
; %bb.26:
	ds_load_b32 v1, v7 offset:1216
	ds_load_b32 v2, v7
	s_waitcnt lgkmcnt(0)
	v_add_f32_e32 v1, v1, v2
	ds_store_b32 v7, v1
.LBB2_27:
	s_or_b32 exec_lo, exec_lo, s1
	s_delay_alu instid0(SALU_CYCLE_1)
	s_mov_b32 s1, exec_lo
	s_waitcnt lgkmcnt(0)
	s_barrier
	buffer_gl0_inv
	v_cmpx_gt_u32_e32 0x98, v0
	s_cbranch_execz .LBB2_29
; %bb.28:
	ds_load_2addr_b32 v[1:2], v7 offset1:152
	s_waitcnt lgkmcnt(0)
	v_add_f32_e32 v1, v2, v1
	ds_store_b32 v7, v1
.LBB2_29:
	s_or_b32 exec_lo, exec_lo, s1
	s_delay_alu instid0(SALU_CYCLE_1)
	s_mov_b32 s1, exec_lo
	s_waitcnt lgkmcnt(0)
	s_barrier
	buffer_gl0_inv
	v_cmpx_gt_u32_e32 0x4c, v0
	s_cbranch_execz .LBB2_31
; %bb.30:
	ds_load_2addr_b32 v[1:2], v7 offset1:76
	s_waitcnt lgkmcnt(0)
	v_add_f32_e32 v1, v2, v1
	ds_store_b32 v7, v1
.LBB2_31:
	;; [unrolled: 14-line block ×3, first 2 shown]
	s_or_b32 exec_lo, exec_lo, s1
	s_delay_alu instid0(SALU_CYCLE_1)
	s_mov_b32 s1, exec_lo
	s_waitcnt lgkmcnt(0)
	buffer_gl0_inv
                                        ; implicit-def: $vgpr1
	v_cmpx_gt_u32_e32 19, v0
; %bb.34:
	v_add_nc_u32_e32 v1, 19, v0
	s_or_b32 s0, s0, exec_lo
                                        ; implicit-def: $vgpr6
; %bb.35:
	s_or_b32 exec_lo, exec_lo, s1
	v_mov_b32_e32 v2, v7
.LBB2_36:
	s_and_saveexec_b32 s1, s0
	s_cbranch_execz .LBB2_38
; %bb.37:
	v_lshlrev_b32_e32 v1, 2, v1
	ds_load_b32 v2, v2
	ds_load_b32 v1, v1
	s_waitcnt lgkmcnt(0)
	v_add_f32_e32 v6, v2, v1
.LBB2_38:
	s_or_b32 exec_lo, exec_lo, s1
	s_delay_alu instid0(SALU_CYCLE_1)
	s_mov_b32 s0, exec_lo
	v_cmpx_gt_u32_e32 19, v0
	s_cbranch_execz .LBB2_42
; %bb.39:
	v_cmp_eq_f32_e64 s0, s2, 0
	v_mul_f32_e32 v1, s10, v6
	s_delay_alu instid0(VALU_DEP_2)
	s_and_b32 vcc_lo, exec_lo, s0
	s_mov_b32 s0, 0
	s_cbranch_vccz .LBB2_43
; %bb.40:
	s_delay_alu instid0(VALU_DEP_1) | instskip(SKIP_1) | instid1(VALU_DEP_1)
	v_mad_u64_u32 v[2:3], null, s8, 19, v[0:1]
	v_mov_b32_e32 v3, 0
	v_lshlrev_b64 v[2:3], 2, v[2:3]
	s_delay_alu instid0(VALU_DEP_1) | instskip(NEXT) | instid1(VALU_DEP_2)
	v_add_co_u32 v2, vcc_lo, s12, v2
	v_add_co_ci_u32_e32 v3, vcc_lo, s13, v3, vcc_lo
	global_store_b32 v[2:3], v1, off
	s_and_not1_b32 vcc_lo, exec_lo, s0
	s_cbranch_vccnz .LBB2_42
.LBB2_41:
	v_mad_u64_u32 v[2:3], null, s8, 19, v[0:1]
	v_mov_b32_e32 v3, 0
	s_delay_alu instid0(VALU_DEP_1) | instskip(NEXT) | instid1(VALU_DEP_1)
	v_lshlrev_b64 v[2:3], 2, v[2:3]
	v_add_co_u32 v2, vcc_lo, s12, v2
	s_delay_alu instid0(VALU_DEP_2)
	v_add_co_ci_u32_e32 v3, vcc_lo, s13, v3, vcc_lo
	global_load_b32 v0, v[2:3], off
	s_waitcnt vmcnt(0)
	v_fmac_f32_e32 v1, s2, v0
	global_store_b32 v[2:3], v1, off
.LBB2_42:
	s_nop 0
	s_sendmsg sendmsg(MSG_DEALLOC_VGPRS)
	s_endpgm
.LBB2_43:
	s_branch .LBB2_41
	.section	.rodata,"a",@progbits
	.p2align	6, 0x0
	.amdhsa_kernel _ZN9rocsparseL20bsrxmvn_17_32_kernelILj19EfiifffEEvT2_20rocsparse_direction_NS_24const_host_device_scalarIT0_EES1_PKS1_PKT1_SA_S7_PKT3_PKT4_S5_PT5_21rocsparse_index_base_b
		.amdhsa_group_segment_fixed_size 1444
		.amdhsa_private_segment_fixed_size 0
		.amdhsa_kernarg_size 96
		.amdhsa_user_sgpr_count 15
		.amdhsa_user_sgpr_dispatch_ptr 0
		.amdhsa_user_sgpr_queue_ptr 0
		.amdhsa_user_sgpr_kernarg_segment_ptr 1
		.amdhsa_user_sgpr_dispatch_id 0
		.amdhsa_user_sgpr_private_segment_size 0
		.amdhsa_wavefront_size32 1
		.amdhsa_uses_dynamic_stack 0
		.amdhsa_enable_private_segment 0
		.amdhsa_system_sgpr_workgroup_id_x 1
		.amdhsa_system_sgpr_workgroup_id_y 0
		.amdhsa_system_sgpr_workgroup_id_z 0
		.amdhsa_system_sgpr_workgroup_info 0
		.amdhsa_system_vgpr_workitem_id 0
		.amdhsa_next_free_vgpr 11
		.amdhsa_next_free_sgpr 17
		.amdhsa_reserve_vcc 1
		.amdhsa_float_round_mode_32 0
		.amdhsa_float_round_mode_16_64 0
		.amdhsa_float_denorm_mode_32 3
		.amdhsa_float_denorm_mode_16_64 3
		.amdhsa_dx10_clamp 1
		.amdhsa_ieee_mode 1
		.amdhsa_fp16_overflow 0
		.amdhsa_workgroup_processor_mode 1
		.amdhsa_memory_ordered 1
		.amdhsa_forward_progress 0
		.amdhsa_shared_vgpr_count 0
		.amdhsa_exception_fp_ieee_invalid_op 0
		.amdhsa_exception_fp_denorm_src 0
		.amdhsa_exception_fp_ieee_div_zero 0
		.amdhsa_exception_fp_ieee_overflow 0
		.amdhsa_exception_fp_ieee_underflow 0
		.amdhsa_exception_fp_ieee_inexact 0
		.amdhsa_exception_int_div_zero 0
	.end_amdhsa_kernel
	.section	.text._ZN9rocsparseL20bsrxmvn_17_32_kernelILj19EfiifffEEvT2_20rocsparse_direction_NS_24const_host_device_scalarIT0_EES1_PKS1_PKT1_SA_S7_PKT3_PKT4_S5_PT5_21rocsparse_index_base_b,"axG",@progbits,_ZN9rocsparseL20bsrxmvn_17_32_kernelILj19EfiifffEEvT2_20rocsparse_direction_NS_24const_host_device_scalarIT0_EES1_PKS1_PKT1_SA_S7_PKT3_PKT4_S5_PT5_21rocsparse_index_base_b,comdat
.Lfunc_end2:
	.size	_ZN9rocsparseL20bsrxmvn_17_32_kernelILj19EfiifffEEvT2_20rocsparse_direction_NS_24const_host_device_scalarIT0_EES1_PKS1_PKT1_SA_S7_PKT3_PKT4_S5_PT5_21rocsparse_index_base_b, .Lfunc_end2-_ZN9rocsparseL20bsrxmvn_17_32_kernelILj19EfiifffEEvT2_20rocsparse_direction_NS_24const_host_device_scalarIT0_EES1_PKS1_PKT1_SA_S7_PKT3_PKT4_S5_PT5_21rocsparse_index_base_b
                                        ; -- End function
	.section	.AMDGPU.csdata,"",@progbits
; Kernel info:
; codeLenInByte = 1532
; NumSgprs: 19
; NumVgprs: 11
; ScratchSize: 0
; MemoryBound: 0
; FloatMode: 240
; IeeeMode: 1
; LDSByteSize: 1444 bytes/workgroup (compile time only)
; SGPRBlocks: 2
; VGPRBlocks: 1
; NumSGPRsForWavesPerEU: 19
; NumVGPRsForWavesPerEU: 11
; Occupancy: 15
; WaveLimiterHint : 1
; COMPUTE_PGM_RSRC2:SCRATCH_EN: 0
; COMPUTE_PGM_RSRC2:USER_SGPR: 15
; COMPUTE_PGM_RSRC2:TRAP_HANDLER: 0
; COMPUTE_PGM_RSRC2:TGID_X_EN: 1
; COMPUTE_PGM_RSRC2:TGID_Y_EN: 0
; COMPUTE_PGM_RSRC2:TGID_Z_EN: 0
; COMPUTE_PGM_RSRC2:TIDIG_COMP_CNT: 0
	.section	.text._ZN9rocsparseL20bsrxmvn_17_32_kernelILj20EfiifffEEvT2_20rocsparse_direction_NS_24const_host_device_scalarIT0_EES1_PKS1_PKT1_SA_S7_PKT3_PKT4_S5_PT5_21rocsparse_index_base_b,"axG",@progbits,_ZN9rocsparseL20bsrxmvn_17_32_kernelILj20EfiifffEEvT2_20rocsparse_direction_NS_24const_host_device_scalarIT0_EES1_PKS1_PKT1_SA_S7_PKT3_PKT4_S5_PT5_21rocsparse_index_base_b,comdat
	.globl	_ZN9rocsparseL20bsrxmvn_17_32_kernelILj20EfiifffEEvT2_20rocsparse_direction_NS_24const_host_device_scalarIT0_EES1_PKS1_PKT1_SA_S7_PKT3_PKT4_S5_PT5_21rocsparse_index_base_b ; -- Begin function _ZN9rocsparseL20bsrxmvn_17_32_kernelILj20EfiifffEEvT2_20rocsparse_direction_NS_24const_host_device_scalarIT0_EES1_PKS1_PKT1_SA_S7_PKT3_PKT4_S5_PT5_21rocsparse_index_base_b
	.p2align	8
	.type	_ZN9rocsparseL20bsrxmvn_17_32_kernelILj20EfiifffEEvT2_20rocsparse_direction_NS_24const_host_device_scalarIT0_EES1_PKS1_PKT1_SA_S7_PKT3_PKT4_S5_PT5_21rocsparse_index_base_b,@function
_ZN9rocsparseL20bsrxmvn_17_32_kernelILj20EfiifffEEvT2_20rocsparse_direction_NS_24const_host_device_scalarIT0_EES1_PKS1_PKT1_SA_S7_PKT3_PKT4_S5_PT5_21rocsparse_index_base_b: ; @_ZN9rocsparseL20bsrxmvn_17_32_kernelILj20EfiifffEEvT2_20rocsparse_direction_NS_24const_host_device_scalarIT0_EES1_PKS1_PKT1_SA_S7_PKT3_PKT4_S5_PT5_21rocsparse_index_base_b
; %bb.0:
	s_mov_b32 s8, s15
	s_clause 0x2
	s_load_b64 s[14:15], s[0:1], 0x58
	s_load_b64 s[10:11], s[0:1], 0x8
	;; [unrolled: 1-line block ×3, first 2 shown]
	s_waitcnt lgkmcnt(0)
	s_bitcmp1_b32 s15, 0
	s_cselect_b32 s4, -1, 0
	s_delay_alu instid0(SALU_CYCLE_1)
	s_and_b32 vcc_lo, exec_lo, s4
	s_xor_b32 s4, s4, -1
	s_cbranch_vccnz .LBB3_2
; %bb.1:
	s_load_b32 s10, s[10:11], 0x0
.LBB3_2:
	s_and_not1_b32 vcc_lo, exec_lo, s4
	s_cbranch_vccnz .LBB3_4
; %bb.3:
	s_load_b32 s2, s[2:3], 0x0
.LBB3_4:
	s_waitcnt lgkmcnt(0)
	v_cmp_neq_f32_e64 s3, s10, 0
	v_cmp_neq_f32_e64 s4, s2, 1.0
	s_delay_alu instid0(VALU_DEP_1) | instskip(NEXT) | instid1(SALU_CYCLE_1)
	s_or_b32 s3, s3, s4
	s_and_not1_b32 vcc_lo, exec_lo, s3
	s_cbranch_vccnz .LBB3_42
; %bb.5:
	s_clause 0x1
	s_load_b128 s[4:7], s[0:1], 0x18
	s_load_b64 s[12:13], s[0:1], 0x28
	s_waitcnt lgkmcnt(0)
	s_cmp_eq_u64 s[4:5], 0
	s_cbranch_scc1 .LBB3_7
; %bb.6:
	s_ashr_i32 s9, s8, 31
	s_delay_alu instid0(SALU_CYCLE_1) | instskip(NEXT) | instid1(SALU_CYCLE_1)
	s_lshl_b64 s[8:9], s[8:9], 2
	s_add_u32 s4, s4, s8
	s_addc_u32 s5, s5, s9
	s_load_b32 s3, s[4:5], 0x0
	s_waitcnt lgkmcnt(0)
	s_sub_i32 s8, s3, s14
.LBB3_7:
	s_load_b32 s3, s[0:1], 0x4
	v_mul_u32_u24_e32 v1, 0xccd, v0
	v_dual_mov_b32 v6, 0 :: v_dual_lshlrev_b32 v7, 2, v0
	s_delay_alu instid0(VALU_DEP_2) | instskip(NEXT) | instid1(VALU_DEP_1)
	v_lshrrev_b32_e32 v1, 16, v1
	v_mul_lo_u16 v2, v1, 20
	s_delay_alu instid0(VALU_DEP_1)
	v_sub_nc_u16 v8, v0, v2
	s_waitcnt lgkmcnt(0)
	s_cmp_eq_u32 s3, 1
	s_cselect_b32 vcc_lo, -1, 0
	s_cmp_lg_u32 s3, 1
	s_cselect_b32 s3, -1, 0
	s_ashr_i32 s9, s8, 31
	s_delay_alu instid0(SALU_CYCLE_1) | instskip(NEXT) | instid1(SALU_CYCLE_1)
	s_lshl_b64 s[4:5], s[8:9], 2
	s_add_u32 s6, s6, s4
	s_addc_u32 s7, s7, s5
	s_add_u32 s9, s6, 4
	s_addc_u32 s11, s7, 0
	;; [unrolled: 2-line block ×3, first 2 shown]
	s_cmp_eq_u64 s[12:13], 0
	s_load_b64 s[12:13], s[0:1], 0x50
	s_cselect_b32 s5, s11, s5
	s_cselect_b32 s4, s9, s4
	s_load_b32 s11, s[6:7], 0x0
	s_load_b32 s9, s[4:5], 0x0
	s_waitcnt lgkmcnt(0)
	s_cmp_ge_i32 s11, s9
	s_cbranch_scc1 .LBB3_12
; %bb.8:
	v_mul_lo_u16 v2, v1, 13
	s_clause 0x1
	s_load_b128 s[4:7], s[0:1], 0x30
	s_load_b64 s[0:1], s[0:1], 0x40
	v_and_b32_e32 v5, 0xffff, v0
	s_sub_i32 s11, s11, s14
	v_lshrrev_b16 v2, 8, v2
	v_dual_mov_b32 v6, 0 :: v_dual_and_b32 v3, 0xffff, v8
	s_mul_i32 s16, s11, 0x640
	s_sub_i32 s9, s9, s14
	s_delay_alu instid0(VALU_DEP_2) | instskip(SKIP_2) | instid1(VALU_DEP_2)
	v_mul_lo_u16 v2, v2, 20
	v_mul_u32_u24_e32 v5, 0xa4, v5
	s_mul_hi_i32 s15, s11, 0x640
	v_sub_nc_u16 v1, v1, v2
	s_delay_alu instid0(VALU_DEP_1)
	v_and_b32_e32 v9, 0xff, v1
	v_lshlrev_b32_e32 v4, 2, v0
	s_waitcnt lgkmcnt(0)
	s_add_u32 s6, s6, s16
	s_addc_u32 s7, s7, s15
	v_cndmask_b32_e32 v3, v3, v9, vcc_lo
	v_add_co_u32 v1, s6, s6, v4
	s_delay_alu instid0(VALU_DEP_1)
	v_add_co_ci_u32_e64 v2, null, s7, 0, s6
	v_lshrrev_b32_e32 v9, 16, v5
	s_set_inst_prefetch_distance 0x1
	s_branch .LBB3_10
	.p2align	6
.LBB3_9:                                ;   in Loop: Header=BB3_10 Depth=1
	s_or_b32 exec_lo, exec_lo, s6
	s_add_i32 s11, s11, 1
	s_delay_alu instid0(SALU_CYCLE_1)
	s_cmp_lt_i32 s11, s9
	s_cbranch_scc0 .LBB3_12
.LBB3_10:                               ; =>This Inner Loop Header: Depth=1
	s_delay_alu instid0(VALU_DEP_1) | instskip(SKIP_1) | instid1(VALU_DEP_1)
	v_add_nc_u32_e32 v4, s11, v9
	s_mov_b32 s6, exec_lo
	v_cmpx_gt_i32_e64 s9, v4
	s_cbranch_execz .LBB3_9
; %bb.11:                               ;   in Loop: Header=BB3_10 Depth=1
	v_ashrrev_i32_e32 v5, 31, v4
	s_delay_alu instid0(VALU_DEP_1) | instskip(NEXT) | instid1(VALU_DEP_1)
	v_lshlrev_b64 v[4:5], 2, v[4:5]
	v_add_co_u32 v4, vcc_lo, s4, v4
	s_delay_alu instid0(VALU_DEP_2) | instskip(SKIP_3) | instid1(VALU_DEP_1)
	v_add_co_ci_u32_e32 v5, vcc_lo, s5, v5, vcc_lo
	global_load_b32 v4, v[4:5], off
	s_waitcnt vmcnt(0)
	v_subrev_nc_u32_e32 v10, s14, v4
	v_mad_u64_u32 v[4:5], null, v10, 20, v[3:4]
	s_delay_alu instid0(VALU_DEP_1) | instskip(NEXT) | instid1(VALU_DEP_1)
	v_ashrrev_i32_e32 v5, 31, v4
	v_lshlrev_b64 v[4:5], 2, v[4:5]
	s_delay_alu instid0(VALU_DEP_1) | instskip(NEXT) | instid1(VALU_DEP_2)
	v_add_co_u32 v4, vcc_lo, s0, v4
	v_add_co_ci_u32_e32 v5, vcc_lo, s1, v5, vcc_lo
	global_load_b32 v10, v[1:2], off
	global_load_b32 v4, v[4:5], off
	v_add_co_u32 v1, vcc_lo, 0x640, v1
	v_add_co_ci_u32_e32 v2, vcc_lo, 0, v2, vcc_lo
	s_waitcnt vmcnt(0)
	v_fmac_f32_e32 v6, v10, v4
	s_branch .LBB3_9
.LBB3_12:
	s_set_inst_prefetch_distance 0x2
	s_and_b32 vcc_lo, exec_lo, s3
	ds_store_b32 v7, v6
	s_waitcnt lgkmcnt(0)
	s_barrier
	buffer_gl0_inv
	s_cbranch_vccz .LBB3_24
; %bb.13:
	v_cmp_gt_u16_e32 vcc_lo, 4, v8
	s_and_saveexec_b32 s0, vcc_lo
	s_cbranch_execz .LBB3_15
; %bb.14:
	ds_load_2addr_b32 v[1:2], v7 offset1:16
	s_waitcnt lgkmcnt(0)
	v_add_f32_e32 v1, v2, v1
	ds_store_b32 v7, v1
.LBB3_15:
	s_or_b32 exec_lo, exec_lo, s0
	s_delay_alu instid0(SALU_CYCLE_1)
	s_mov_b32 s1, exec_lo
	s_waitcnt lgkmcnt(0)
	s_barrier
	buffer_gl0_inv
	v_cmpx_gt_u16_e32 8, v8
	s_cbranch_execz .LBB3_17
; %bb.16:
	ds_load_2addr_b32 v[1:2], v7 offset1:8
	s_waitcnt lgkmcnt(0)
	v_add_f32_e32 v1, v2, v1
	ds_store_b32 v7, v1
.LBB3_17:
	s_or_b32 exec_lo, exec_lo, s1
	s_waitcnt lgkmcnt(0)
	s_barrier
	buffer_gl0_inv
	s_and_saveexec_b32 s0, vcc_lo
	s_cbranch_execz .LBB3_19
; %bb.18:
	ds_load_2addr_b32 v[1:2], v7 offset1:4
	s_waitcnt lgkmcnt(0)
	v_add_f32_e32 v1, v2, v1
	ds_store_b32 v7, v1
.LBB3_19:
	s_or_b32 exec_lo, exec_lo, s0
	s_delay_alu instid0(SALU_CYCLE_1)
	s_mov_b32 s0, exec_lo
	s_waitcnt lgkmcnt(0)
	s_barrier
	buffer_gl0_inv
	v_cmpx_gt_u16_e32 2, v8
	s_cbranch_execz .LBB3_21
; %bb.20:
	ds_load_2addr_b32 v[1:2], v7 offset1:2
	s_waitcnt lgkmcnt(0)
	v_add_f32_e32 v1, v2, v1
	ds_store_b32 v7, v1
.LBB3_21:
	s_or_b32 exec_lo, exec_lo, s0
	s_mov_b32 s0, 0
	s_mov_b32 s1, 0
	s_mov_b32 s3, exec_lo
	s_waitcnt lgkmcnt(0)
	s_barrier
	buffer_gl0_inv
                                        ; implicit-def: $vgpr1
                                        ; implicit-def: $vgpr2
	v_cmpx_gt_u32_e32 20, v0
	s_xor_b32 s3, exec_lo, s3
; %bb.22:
	v_mul_u32_u24_e32 v1, 20, v0
	v_mad_u32_u24 v2, 0x4c, v0, v7
	s_mov_b32 s1, exec_lo
	s_delay_alu instid0(VALU_DEP_2)
	v_or_b32_e32 v1, 1, v1
; %bb.23:
	s_or_b32 exec_lo, exec_lo, s3
	s_delay_alu instid0(SALU_CYCLE_1)
	s_and_b32 vcc_lo, exec_lo, s0
	s_cbranch_vccnz .LBB3_25
	s_branch .LBB3_36
.LBB3_24:
	s_mov_b32 s1, 0
                                        ; implicit-def: $vgpr1
                                        ; implicit-def: $vgpr2
	s_cbranch_execz .LBB3_36
.LBB3_25:
	v_cmp_gt_u32_e32 vcc_lo, 0x50, v0
	s_and_saveexec_b32 s0, vcc_lo
	s_cbranch_execz .LBB3_27
; %bb.26:
	ds_load_2addr_stride64_b32 v[1:2], v7 offset1:5
	s_waitcnt lgkmcnt(0)
	v_add_f32_e32 v1, v2, v1
	ds_store_b32 v7, v1
.LBB3_27:
	s_or_b32 exec_lo, exec_lo, s0
	s_delay_alu instid0(SALU_CYCLE_1)
	s_mov_b32 s3, exec_lo
	s_waitcnt lgkmcnt(0)
	s_barrier
	buffer_gl0_inv
	v_cmpx_gt_u32_e32 0xa0, v0
	s_cbranch_execz .LBB3_29
; %bb.28:
	ds_load_2addr_b32 v[1:2], v7 offset1:160
	s_waitcnt lgkmcnt(0)
	v_add_f32_e32 v1, v2, v1
	ds_store_b32 v7, v1
.LBB3_29:
	s_or_b32 exec_lo, exec_lo, s3
	s_waitcnt lgkmcnt(0)
	s_barrier
	buffer_gl0_inv
	s_and_saveexec_b32 s0, vcc_lo
	s_cbranch_execz .LBB3_31
; %bb.30:
	ds_load_2addr_b32 v[1:2], v7 offset1:80
	s_waitcnt lgkmcnt(0)
	v_add_f32_e32 v1, v2, v1
	ds_store_b32 v7, v1
.LBB3_31:
	s_or_b32 exec_lo, exec_lo, s0
	s_delay_alu instid0(SALU_CYCLE_1)
	s_mov_b32 s0, exec_lo
	s_waitcnt lgkmcnt(0)
	s_barrier
	buffer_gl0_inv
	v_cmpx_gt_u32_e32 40, v0
	s_cbranch_execz .LBB3_33
; %bb.32:
	ds_load_2addr_b32 v[1:2], v7 offset1:40
	s_waitcnt lgkmcnt(0)
	v_add_f32_e32 v1, v2, v1
	ds_store_b32 v7, v1
.LBB3_33:
	s_or_b32 exec_lo, exec_lo, s0
	s_delay_alu instid0(SALU_CYCLE_1)
	s_mov_b32 s0, exec_lo
	s_waitcnt lgkmcnt(0)
	buffer_gl0_inv
                                        ; implicit-def: $vgpr1
	v_cmpx_gt_u32_e32 20, v0
; %bb.34:
	v_add_nc_u32_e32 v1, 20, v0
	s_or_b32 s1, s1, exec_lo
                                        ; implicit-def: $vgpr6
; %bb.35:
	s_or_b32 exec_lo, exec_lo, s0
	v_mov_b32_e32 v2, v7
.LBB3_36:
	s_and_saveexec_b32 s0, s1
	s_cbranch_execz .LBB3_38
; %bb.37:
	v_lshlrev_b32_e32 v1, 2, v1
	ds_load_b32 v2, v2
	ds_load_b32 v1, v1
	s_waitcnt lgkmcnt(0)
	v_add_f32_e32 v6, v2, v1
.LBB3_38:
	s_or_b32 exec_lo, exec_lo, s0
	s_delay_alu instid0(SALU_CYCLE_1)
	s_mov_b32 s0, exec_lo
	v_cmpx_gt_u32_e32 20, v0
	s_cbranch_execz .LBB3_42
; %bb.39:
	v_cmp_eq_f32_e64 s0, s2, 0
	v_mul_f32_e32 v1, s10, v6
	s_delay_alu instid0(VALU_DEP_2)
	s_and_b32 vcc_lo, exec_lo, s0
	s_mov_b32 s0, 0
	s_cbranch_vccz .LBB3_43
; %bb.40:
	s_delay_alu instid0(VALU_DEP_1) | instskip(SKIP_1) | instid1(VALU_DEP_1)
	v_mad_u64_u32 v[2:3], null, s8, 20, v[0:1]
	v_mov_b32_e32 v3, 0
	v_lshlrev_b64 v[2:3], 2, v[2:3]
	s_delay_alu instid0(VALU_DEP_1) | instskip(NEXT) | instid1(VALU_DEP_2)
	v_add_co_u32 v2, vcc_lo, s12, v2
	v_add_co_ci_u32_e32 v3, vcc_lo, s13, v3, vcc_lo
	global_store_b32 v[2:3], v1, off
	s_and_not1_b32 vcc_lo, exec_lo, s0
	s_cbranch_vccnz .LBB3_42
.LBB3_41:
	v_mad_u64_u32 v[2:3], null, s8, 20, v[0:1]
	v_mov_b32_e32 v3, 0
	s_delay_alu instid0(VALU_DEP_1) | instskip(NEXT) | instid1(VALU_DEP_1)
	v_lshlrev_b64 v[2:3], 2, v[2:3]
	v_add_co_u32 v2, vcc_lo, s12, v2
	s_delay_alu instid0(VALU_DEP_2)
	v_add_co_ci_u32_e32 v3, vcc_lo, s13, v3, vcc_lo
	global_load_b32 v0, v[2:3], off
	s_waitcnt vmcnt(0)
	v_fmac_f32_e32 v1, s2, v0
	global_store_b32 v[2:3], v1, off
.LBB3_42:
	s_nop 0
	s_sendmsg sendmsg(MSG_DEALLOC_VGPRS)
	s_endpgm
.LBB3_43:
	s_branch .LBB3_41
	.section	.rodata,"a",@progbits
	.p2align	6, 0x0
	.amdhsa_kernel _ZN9rocsparseL20bsrxmvn_17_32_kernelILj20EfiifffEEvT2_20rocsparse_direction_NS_24const_host_device_scalarIT0_EES1_PKS1_PKT1_SA_S7_PKT3_PKT4_S5_PT5_21rocsparse_index_base_b
		.amdhsa_group_segment_fixed_size 1600
		.amdhsa_private_segment_fixed_size 0
		.amdhsa_kernarg_size 96
		.amdhsa_user_sgpr_count 15
		.amdhsa_user_sgpr_dispatch_ptr 0
		.amdhsa_user_sgpr_queue_ptr 0
		.amdhsa_user_sgpr_kernarg_segment_ptr 1
		.amdhsa_user_sgpr_dispatch_id 0
		.amdhsa_user_sgpr_private_segment_size 0
		.amdhsa_wavefront_size32 1
		.amdhsa_uses_dynamic_stack 0
		.amdhsa_enable_private_segment 0
		.amdhsa_system_sgpr_workgroup_id_x 1
		.amdhsa_system_sgpr_workgroup_id_y 0
		.amdhsa_system_sgpr_workgroup_id_z 0
		.amdhsa_system_sgpr_workgroup_info 0
		.amdhsa_system_vgpr_workitem_id 0
		.amdhsa_next_free_vgpr 11
		.amdhsa_next_free_sgpr 17
		.amdhsa_reserve_vcc 1
		.amdhsa_float_round_mode_32 0
		.amdhsa_float_round_mode_16_64 0
		.amdhsa_float_denorm_mode_32 3
		.amdhsa_float_denorm_mode_16_64 3
		.amdhsa_dx10_clamp 1
		.amdhsa_ieee_mode 1
		.amdhsa_fp16_overflow 0
		.amdhsa_workgroup_processor_mode 1
		.amdhsa_memory_ordered 1
		.amdhsa_forward_progress 0
		.amdhsa_shared_vgpr_count 0
		.amdhsa_exception_fp_ieee_invalid_op 0
		.amdhsa_exception_fp_denorm_src 0
		.amdhsa_exception_fp_ieee_div_zero 0
		.amdhsa_exception_fp_ieee_overflow 0
		.amdhsa_exception_fp_ieee_underflow 0
		.amdhsa_exception_fp_ieee_inexact 0
		.amdhsa_exception_int_div_zero 0
	.end_amdhsa_kernel
	.section	.text._ZN9rocsparseL20bsrxmvn_17_32_kernelILj20EfiifffEEvT2_20rocsparse_direction_NS_24const_host_device_scalarIT0_EES1_PKS1_PKT1_SA_S7_PKT3_PKT4_S5_PT5_21rocsparse_index_base_b,"axG",@progbits,_ZN9rocsparseL20bsrxmvn_17_32_kernelILj20EfiifffEEvT2_20rocsparse_direction_NS_24const_host_device_scalarIT0_EES1_PKS1_PKT1_SA_S7_PKT3_PKT4_S5_PT5_21rocsparse_index_base_b,comdat
.Lfunc_end3:
	.size	_ZN9rocsparseL20bsrxmvn_17_32_kernelILj20EfiifffEEvT2_20rocsparse_direction_NS_24const_host_device_scalarIT0_EES1_PKS1_PKT1_SA_S7_PKT3_PKT4_S5_PT5_21rocsparse_index_base_b, .Lfunc_end3-_ZN9rocsparseL20bsrxmvn_17_32_kernelILj20EfiifffEEvT2_20rocsparse_direction_NS_24const_host_device_scalarIT0_EES1_PKS1_PKT1_SA_S7_PKT3_PKT4_S5_PT5_21rocsparse_index_base_b
                                        ; -- End function
	.section	.AMDGPU.csdata,"",@progbits
; Kernel info:
; codeLenInByte = 1512
; NumSgprs: 19
; NumVgprs: 11
; ScratchSize: 0
; MemoryBound: 0
; FloatMode: 240
; IeeeMode: 1
; LDSByteSize: 1600 bytes/workgroup (compile time only)
; SGPRBlocks: 2
; VGPRBlocks: 1
; NumSGPRsForWavesPerEU: 19
; NumVGPRsForWavesPerEU: 11
; Occupancy: 13
; WaveLimiterHint : 1
; COMPUTE_PGM_RSRC2:SCRATCH_EN: 0
; COMPUTE_PGM_RSRC2:USER_SGPR: 15
; COMPUTE_PGM_RSRC2:TRAP_HANDLER: 0
; COMPUTE_PGM_RSRC2:TGID_X_EN: 1
; COMPUTE_PGM_RSRC2:TGID_Y_EN: 0
; COMPUTE_PGM_RSRC2:TGID_Z_EN: 0
; COMPUTE_PGM_RSRC2:TIDIG_COMP_CNT: 0
	.section	.text._ZN9rocsparseL20bsrxmvn_17_32_kernelILj21EfiifffEEvT2_20rocsparse_direction_NS_24const_host_device_scalarIT0_EES1_PKS1_PKT1_SA_S7_PKT3_PKT4_S5_PT5_21rocsparse_index_base_b,"axG",@progbits,_ZN9rocsparseL20bsrxmvn_17_32_kernelILj21EfiifffEEvT2_20rocsparse_direction_NS_24const_host_device_scalarIT0_EES1_PKS1_PKT1_SA_S7_PKT3_PKT4_S5_PT5_21rocsparse_index_base_b,comdat
	.globl	_ZN9rocsparseL20bsrxmvn_17_32_kernelILj21EfiifffEEvT2_20rocsparse_direction_NS_24const_host_device_scalarIT0_EES1_PKS1_PKT1_SA_S7_PKT3_PKT4_S5_PT5_21rocsparse_index_base_b ; -- Begin function _ZN9rocsparseL20bsrxmvn_17_32_kernelILj21EfiifffEEvT2_20rocsparse_direction_NS_24const_host_device_scalarIT0_EES1_PKS1_PKT1_SA_S7_PKT3_PKT4_S5_PT5_21rocsparse_index_base_b
	.p2align	8
	.type	_ZN9rocsparseL20bsrxmvn_17_32_kernelILj21EfiifffEEvT2_20rocsparse_direction_NS_24const_host_device_scalarIT0_EES1_PKS1_PKT1_SA_S7_PKT3_PKT4_S5_PT5_21rocsparse_index_base_b,@function
_ZN9rocsparseL20bsrxmvn_17_32_kernelILj21EfiifffEEvT2_20rocsparse_direction_NS_24const_host_device_scalarIT0_EES1_PKS1_PKT1_SA_S7_PKT3_PKT4_S5_PT5_21rocsparse_index_base_b: ; @_ZN9rocsparseL20bsrxmvn_17_32_kernelILj21EfiifffEEvT2_20rocsparse_direction_NS_24const_host_device_scalarIT0_EES1_PKS1_PKT1_SA_S7_PKT3_PKT4_S5_PT5_21rocsparse_index_base_b
; %bb.0:
	s_mov_b32 s8, s15
	s_clause 0x2
	s_load_b64 s[14:15], s[0:1], 0x58
	s_load_b64 s[10:11], s[0:1], 0x8
	;; [unrolled: 1-line block ×3, first 2 shown]
	s_waitcnt lgkmcnt(0)
	s_bitcmp1_b32 s15, 0
	s_cselect_b32 s4, -1, 0
	s_delay_alu instid0(SALU_CYCLE_1)
	s_and_b32 vcc_lo, exec_lo, s4
	s_xor_b32 s4, s4, -1
	s_cbranch_vccnz .LBB4_2
; %bb.1:
	s_load_b32 s10, s[10:11], 0x0
.LBB4_2:
	s_and_not1_b32 vcc_lo, exec_lo, s4
	s_cbranch_vccnz .LBB4_4
; %bb.3:
	s_load_b32 s2, s[2:3], 0x0
.LBB4_4:
	s_waitcnt lgkmcnt(0)
	v_cmp_neq_f32_e64 s3, s10, 0
	v_cmp_neq_f32_e64 s4, s2, 1.0
	s_delay_alu instid0(VALU_DEP_1) | instskip(NEXT) | instid1(SALU_CYCLE_1)
	s_or_b32 s3, s3, s4
	s_and_not1_b32 vcc_lo, exec_lo, s3
	s_cbranch_vccnz .LBB4_42
; %bb.5:
	s_clause 0x1
	s_load_b128 s[4:7], s[0:1], 0x18
	s_load_b64 s[12:13], s[0:1], 0x28
	s_waitcnt lgkmcnt(0)
	s_cmp_eq_u64 s[4:5], 0
	s_cbranch_scc1 .LBB4_7
; %bb.6:
	s_ashr_i32 s9, s8, 31
	s_delay_alu instid0(SALU_CYCLE_1) | instskip(NEXT) | instid1(SALU_CYCLE_1)
	s_lshl_b64 s[8:9], s[8:9], 2
	s_add_u32 s4, s4, s8
	s_addc_u32 s5, s5, s9
	s_load_b32 s3, s[4:5], 0x0
	s_waitcnt lgkmcnt(0)
	s_sub_i32 s8, s3, s14
.LBB4_7:
	s_load_b32 s3, s[0:1], 0x4
	v_mul_u32_u24_e32 v1, 0xc31, v0
	v_dual_mov_b32 v6, 0 :: v_dual_lshlrev_b32 v7, 2, v0
	s_delay_alu instid0(VALU_DEP_2) | instskip(NEXT) | instid1(VALU_DEP_1)
	v_lshrrev_b32_e32 v1, 16, v1
	v_mul_lo_u16 v2, v1, 21
	s_delay_alu instid0(VALU_DEP_1)
	v_sub_nc_u16 v8, v0, v2
	s_waitcnt lgkmcnt(0)
	s_cmp_eq_u32 s3, 1
	s_cselect_b32 vcc_lo, -1, 0
	s_cmp_lg_u32 s3, 1
	s_cselect_b32 s3, -1, 0
	s_ashr_i32 s9, s8, 31
	s_delay_alu instid0(SALU_CYCLE_1) | instskip(NEXT) | instid1(SALU_CYCLE_1)
	s_lshl_b64 s[4:5], s[8:9], 2
	s_add_u32 s6, s6, s4
	s_addc_u32 s7, s7, s5
	s_add_u32 s9, s6, 4
	s_addc_u32 s11, s7, 0
	;; [unrolled: 2-line block ×3, first 2 shown]
	s_cmp_eq_u64 s[12:13], 0
	s_load_b64 s[12:13], s[0:1], 0x50
	s_cselect_b32 s5, s11, s5
	s_cselect_b32 s4, s9, s4
	s_load_b32 s11, s[6:7], 0x0
	s_load_b32 s9, s[4:5], 0x0
	s_waitcnt lgkmcnt(0)
	s_cmp_ge_i32 s11, s9
	s_cbranch_scc1 .LBB4_12
; %bb.8:
	v_mul_lo_u16 v2, v1, 25
	s_clause 0x1
	s_load_b128 s[4:7], s[0:1], 0x30
	s_load_b64 s[0:1], s[0:1], 0x40
	v_and_b32_e32 v5, 0xffff, v0
	s_sub_i32 s11, s11, s14
	v_lshrrev_b16 v2, 9, v2
	v_dual_mov_b32 v6, 0 :: v_dual_and_b32 v3, 0xffff, v8
	s_mul_i32 s16, s11, 0x6e4
	s_sub_i32 s9, s9, s14
	s_delay_alu instid0(VALU_DEP_2) | instskip(SKIP_2) | instid1(VALU_DEP_2)
	v_mul_lo_u16 v2, v2, 21
	v_mul_u32_u24_e32 v5, 0x253, v5
	s_mul_hi_i32 s15, s11, 0x6e4
	v_sub_nc_u16 v1, v1, v2
	s_delay_alu instid0(VALU_DEP_1)
	v_and_b32_e32 v9, 0xff, v1
	v_lshlrev_b32_e32 v4, 2, v0
	s_waitcnt lgkmcnt(0)
	s_add_u32 s6, s6, s16
	s_addc_u32 s7, s7, s15
	v_cndmask_b32_e32 v3, v3, v9, vcc_lo
	v_add_co_u32 v1, s6, s6, v4
	s_delay_alu instid0(VALU_DEP_1)
	v_add_co_ci_u32_e64 v2, null, s7, 0, s6
	v_lshrrev_b32_e32 v9, 18, v5
	s_set_inst_prefetch_distance 0x1
	s_branch .LBB4_10
	.p2align	6
.LBB4_9:                                ;   in Loop: Header=BB4_10 Depth=1
	s_or_b32 exec_lo, exec_lo, s6
	s_add_i32 s11, s11, 1
	s_delay_alu instid0(SALU_CYCLE_1)
	s_cmp_lt_i32 s11, s9
	s_cbranch_scc0 .LBB4_12
.LBB4_10:                               ; =>This Inner Loop Header: Depth=1
	s_delay_alu instid0(VALU_DEP_1) | instskip(SKIP_1) | instid1(VALU_DEP_1)
	v_add_nc_u32_e32 v4, s11, v9
	s_mov_b32 s6, exec_lo
	v_cmpx_gt_i32_e64 s9, v4
	s_cbranch_execz .LBB4_9
; %bb.11:                               ;   in Loop: Header=BB4_10 Depth=1
	v_ashrrev_i32_e32 v5, 31, v4
	s_delay_alu instid0(VALU_DEP_1) | instskip(NEXT) | instid1(VALU_DEP_1)
	v_lshlrev_b64 v[4:5], 2, v[4:5]
	v_add_co_u32 v4, vcc_lo, s4, v4
	s_delay_alu instid0(VALU_DEP_2) | instskip(SKIP_3) | instid1(VALU_DEP_1)
	v_add_co_ci_u32_e32 v5, vcc_lo, s5, v5, vcc_lo
	global_load_b32 v4, v[4:5], off
	s_waitcnt vmcnt(0)
	v_subrev_nc_u32_e32 v10, s14, v4
	v_mad_u64_u32 v[4:5], null, v10, 21, v[3:4]
	s_delay_alu instid0(VALU_DEP_1) | instskip(NEXT) | instid1(VALU_DEP_1)
	v_ashrrev_i32_e32 v5, 31, v4
	v_lshlrev_b64 v[4:5], 2, v[4:5]
	s_delay_alu instid0(VALU_DEP_1) | instskip(NEXT) | instid1(VALU_DEP_2)
	v_add_co_u32 v4, vcc_lo, s0, v4
	v_add_co_ci_u32_e32 v5, vcc_lo, s1, v5, vcc_lo
	global_load_b32 v10, v[1:2], off
	global_load_b32 v4, v[4:5], off
	v_add_co_u32 v1, vcc_lo, 0x6e4, v1
	v_add_co_ci_u32_e32 v2, vcc_lo, 0, v2, vcc_lo
	s_waitcnt vmcnt(0)
	v_fmac_f32_e32 v6, v10, v4
	s_branch .LBB4_9
.LBB4_12:
	s_set_inst_prefetch_distance 0x2
	s_and_b32 vcc_lo, exec_lo, s3
	ds_store_b32 v7, v6
	s_waitcnt lgkmcnt(0)
	s_barrier
	buffer_gl0_inv
	s_cbranch_vccz .LBB4_24
; %bb.13:
	s_mov_b32 s0, exec_lo
	v_cmpx_gt_u16_e32 5, v8
	s_cbranch_execz .LBB4_15
; %bb.14:
	ds_load_2addr_b32 v[1:2], v7 offset1:16
	s_waitcnt lgkmcnt(0)
	v_add_f32_e32 v1, v2, v1
	ds_store_b32 v7, v1
.LBB4_15:
	s_or_b32 exec_lo, exec_lo, s0
	s_delay_alu instid0(SALU_CYCLE_1)
	s_mov_b32 s0, exec_lo
	s_waitcnt lgkmcnt(0)
	s_barrier
	buffer_gl0_inv
	v_cmpx_gt_u16_e32 8, v8
	s_cbranch_execz .LBB4_17
; %bb.16:
	ds_load_2addr_b32 v[1:2], v7 offset1:8
	s_waitcnt lgkmcnt(0)
	v_add_f32_e32 v1, v2, v1
	ds_store_b32 v7, v1
.LBB4_17:
	s_or_b32 exec_lo, exec_lo, s0
	s_delay_alu instid0(SALU_CYCLE_1)
	s_mov_b32 s0, exec_lo
	s_waitcnt lgkmcnt(0)
	s_barrier
	buffer_gl0_inv
	;; [unrolled: 14-line block ×3, first 2 shown]
	v_cmpx_gt_u16_e32 2, v8
	s_cbranch_execz .LBB4_21
; %bb.20:
	ds_load_2addr_b32 v[1:2], v7 offset1:2
	s_waitcnt lgkmcnt(0)
	v_add_f32_e32 v1, v2, v1
	ds_store_b32 v7, v1
.LBB4_21:
	s_or_b32 exec_lo, exec_lo, s0
	s_mov_b32 s1, 0
	s_mov_b32 s0, 0
	s_mov_b32 s3, exec_lo
	s_waitcnt lgkmcnt(0)
	s_barrier
	buffer_gl0_inv
                                        ; implicit-def: $vgpr1
                                        ; implicit-def: $vgpr2
	v_cmpx_gt_u32_e32 21, v0
	s_xor_b32 s3, exec_lo, s3
; %bb.22:
	v_mad_u32_u24 v1, v0, 21, 1
	v_mad_u32_u24 v2, 0x50, v0, v7
	s_mov_b32 s0, exec_lo
; %bb.23:
	s_or_b32 exec_lo, exec_lo, s3
	s_delay_alu instid0(SALU_CYCLE_1)
	s_and_b32 vcc_lo, exec_lo, s1
	s_cbranch_vccnz .LBB4_25
	s_branch .LBB4_36
.LBB4_24:
	s_mov_b32 s0, 0
                                        ; implicit-def: $vgpr1
                                        ; implicit-def: $vgpr2
	s_cbranch_execz .LBB4_36
.LBB4_25:
	s_mov_b32 s1, exec_lo
	v_cmpx_gt_u32_e32 0x69, v0
	s_cbranch_execz .LBB4_27
; %bb.26:
	ds_load_b32 v1, v7 offset:1344
	ds_load_b32 v2, v7
	s_waitcnt lgkmcnt(0)
	v_add_f32_e32 v1, v1, v2
	ds_store_b32 v7, v1
.LBB4_27:
	s_or_b32 exec_lo, exec_lo, s1
	s_delay_alu instid0(SALU_CYCLE_1)
	s_mov_b32 s1, exec_lo
	s_waitcnt lgkmcnt(0)
	s_barrier
	buffer_gl0_inv
	v_cmpx_gt_u32_e32 0xa8, v0
	s_cbranch_execz .LBB4_29
; %bb.28:
	ds_load_2addr_b32 v[1:2], v7 offset1:168
	s_waitcnt lgkmcnt(0)
	v_add_f32_e32 v1, v2, v1
	ds_store_b32 v7, v1
.LBB4_29:
	s_or_b32 exec_lo, exec_lo, s1
	s_delay_alu instid0(SALU_CYCLE_1)
	s_mov_b32 s1, exec_lo
	s_waitcnt lgkmcnt(0)
	s_barrier
	buffer_gl0_inv
	v_cmpx_gt_u32_e32 0x54, v0
	s_cbranch_execz .LBB4_31
; %bb.30:
	ds_load_2addr_b32 v[1:2], v7 offset1:84
	s_waitcnt lgkmcnt(0)
	v_add_f32_e32 v1, v2, v1
	ds_store_b32 v7, v1
.LBB4_31:
	s_or_b32 exec_lo, exec_lo, s1
	s_delay_alu instid0(SALU_CYCLE_1)
	s_mov_b32 s1, exec_lo
	s_waitcnt lgkmcnt(0)
	s_barrier
	buffer_gl0_inv
	v_cmpx_gt_u32_e32 42, v0
	s_cbranch_execz .LBB4_33
; %bb.32:
	ds_load_2addr_b32 v[1:2], v7 offset1:42
	s_waitcnt lgkmcnt(0)
	v_add_f32_e32 v1, v2, v1
	ds_store_b32 v7, v1
.LBB4_33:
	s_or_b32 exec_lo, exec_lo, s1
	s_delay_alu instid0(SALU_CYCLE_1)
	s_mov_b32 s1, exec_lo
	s_waitcnt lgkmcnt(0)
	buffer_gl0_inv
                                        ; implicit-def: $vgpr1
	v_cmpx_gt_u32_e32 21, v0
; %bb.34:
	v_add_nc_u32_e32 v1, 21, v0
	s_or_b32 s0, s0, exec_lo
                                        ; implicit-def: $vgpr6
; %bb.35:
	s_or_b32 exec_lo, exec_lo, s1
	v_mov_b32_e32 v2, v7
.LBB4_36:
	s_and_saveexec_b32 s1, s0
	s_cbranch_execz .LBB4_38
; %bb.37:
	v_lshlrev_b32_e32 v1, 2, v1
	ds_load_b32 v2, v2
	ds_load_b32 v1, v1
	s_waitcnt lgkmcnt(0)
	v_add_f32_e32 v6, v2, v1
.LBB4_38:
	s_or_b32 exec_lo, exec_lo, s1
	s_delay_alu instid0(SALU_CYCLE_1)
	s_mov_b32 s0, exec_lo
	v_cmpx_gt_u32_e32 21, v0
	s_cbranch_execz .LBB4_42
; %bb.39:
	v_cmp_eq_f32_e64 s0, s2, 0
	v_mul_f32_e32 v1, s10, v6
	s_delay_alu instid0(VALU_DEP_2)
	s_and_b32 vcc_lo, exec_lo, s0
	s_mov_b32 s0, 0
	s_cbranch_vccz .LBB4_43
; %bb.40:
	s_delay_alu instid0(VALU_DEP_1) | instskip(SKIP_1) | instid1(VALU_DEP_1)
	v_mad_u64_u32 v[2:3], null, s8, 21, v[0:1]
	v_mov_b32_e32 v3, 0
	v_lshlrev_b64 v[2:3], 2, v[2:3]
	s_delay_alu instid0(VALU_DEP_1) | instskip(NEXT) | instid1(VALU_DEP_2)
	v_add_co_u32 v2, vcc_lo, s12, v2
	v_add_co_ci_u32_e32 v3, vcc_lo, s13, v3, vcc_lo
	global_store_b32 v[2:3], v1, off
	s_and_not1_b32 vcc_lo, exec_lo, s0
	s_cbranch_vccnz .LBB4_42
.LBB4_41:
	v_mad_u64_u32 v[2:3], null, s8, 21, v[0:1]
	v_mov_b32_e32 v3, 0
	s_delay_alu instid0(VALU_DEP_1) | instskip(NEXT) | instid1(VALU_DEP_1)
	v_lshlrev_b64 v[2:3], 2, v[2:3]
	v_add_co_u32 v2, vcc_lo, s12, v2
	s_delay_alu instid0(VALU_DEP_2)
	v_add_co_ci_u32_e32 v3, vcc_lo, s13, v3, vcc_lo
	global_load_b32 v0, v[2:3], off
	s_waitcnt vmcnt(0)
	v_fmac_f32_e32 v1, s2, v0
	global_store_b32 v[2:3], v1, off
.LBB4_42:
	s_nop 0
	s_sendmsg sendmsg(MSG_DEALLOC_VGPRS)
	s_endpgm
.LBB4_43:
	s_branch .LBB4_41
	.section	.rodata,"a",@progbits
	.p2align	6, 0x0
	.amdhsa_kernel _ZN9rocsparseL20bsrxmvn_17_32_kernelILj21EfiifffEEvT2_20rocsparse_direction_NS_24const_host_device_scalarIT0_EES1_PKS1_PKT1_SA_S7_PKT3_PKT4_S5_PT5_21rocsparse_index_base_b
		.amdhsa_group_segment_fixed_size 1764
		.amdhsa_private_segment_fixed_size 0
		.amdhsa_kernarg_size 96
		.amdhsa_user_sgpr_count 15
		.amdhsa_user_sgpr_dispatch_ptr 0
		.amdhsa_user_sgpr_queue_ptr 0
		.amdhsa_user_sgpr_kernarg_segment_ptr 1
		.amdhsa_user_sgpr_dispatch_id 0
		.amdhsa_user_sgpr_private_segment_size 0
		.amdhsa_wavefront_size32 1
		.amdhsa_uses_dynamic_stack 0
		.amdhsa_enable_private_segment 0
		.amdhsa_system_sgpr_workgroup_id_x 1
		.amdhsa_system_sgpr_workgroup_id_y 0
		.amdhsa_system_sgpr_workgroup_id_z 0
		.amdhsa_system_sgpr_workgroup_info 0
		.amdhsa_system_vgpr_workitem_id 0
		.amdhsa_next_free_vgpr 11
		.amdhsa_next_free_sgpr 17
		.amdhsa_reserve_vcc 1
		.amdhsa_float_round_mode_32 0
		.amdhsa_float_round_mode_16_64 0
		.amdhsa_float_denorm_mode_32 3
		.amdhsa_float_denorm_mode_16_64 3
		.amdhsa_dx10_clamp 1
		.amdhsa_ieee_mode 1
		.amdhsa_fp16_overflow 0
		.amdhsa_workgroup_processor_mode 1
		.amdhsa_memory_ordered 1
		.amdhsa_forward_progress 0
		.amdhsa_shared_vgpr_count 0
		.amdhsa_exception_fp_ieee_invalid_op 0
		.amdhsa_exception_fp_denorm_src 0
		.amdhsa_exception_fp_ieee_div_zero 0
		.amdhsa_exception_fp_ieee_overflow 0
		.amdhsa_exception_fp_ieee_underflow 0
		.amdhsa_exception_fp_ieee_inexact 0
		.amdhsa_exception_int_div_zero 0
	.end_amdhsa_kernel
	.section	.text._ZN9rocsparseL20bsrxmvn_17_32_kernelILj21EfiifffEEvT2_20rocsparse_direction_NS_24const_host_device_scalarIT0_EES1_PKS1_PKT1_SA_S7_PKT3_PKT4_S5_PT5_21rocsparse_index_base_b,"axG",@progbits,_ZN9rocsparseL20bsrxmvn_17_32_kernelILj21EfiifffEEvT2_20rocsparse_direction_NS_24const_host_device_scalarIT0_EES1_PKS1_PKT1_SA_S7_PKT3_PKT4_S5_PT5_21rocsparse_index_base_b,comdat
.Lfunc_end4:
	.size	_ZN9rocsparseL20bsrxmvn_17_32_kernelILj21EfiifffEEvT2_20rocsparse_direction_NS_24const_host_device_scalarIT0_EES1_PKS1_PKT1_SA_S7_PKT3_PKT4_S5_PT5_21rocsparse_index_base_b, .Lfunc_end4-_ZN9rocsparseL20bsrxmvn_17_32_kernelILj21EfiifffEEvT2_20rocsparse_direction_NS_24const_host_device_scalarIT0_EES1_PKS1_PKT1_SA_S7_PKT3_PKT4_S5_PT5_21rocsparse_index_base_b
                                        ; -- End function
	.section	.AMDGPU.csdata,"",@progbits
; Kernel info:
; codeLenInByte = 1536
; NumSgprs: 19
; NumVgprs: 11
; ScratchSize: 0
; MemoryBound: 0
; FloatMode: 240
; IeeeMode: 1
; LDSByteSize: 1764 bytes/workgroup (compile time only)
; SGPRBlocks: 2
; VGPRBlocks: 1
; NumSGPRsForWavesPerEU: 19
; NumVGPRsForWavesPerEU: 11
; Occupancy: 14
; WaveLimiterHint : 1
; COMPUTE_PGM_RSRC2:SCRATCH_EN: 0
; COMPUTE_PGM_RSRC2:USER_SGPR: 15
; COMPUTE_PGM_RSRC2:TRAP_HANDLER: 0
; COMPUTE_PGM_RSRC2:TGID_X_EN: 1
; COMPUTE_PGM_RSRC2:TGID_Y_EN: 0
; COMPUTE_PGM_RSRC2:TGID_Z_EN: 0
; COMPUTE_PGM_RSRC2:TIDIG_COMP_CNT: 0
	.section	.text._ZN9rocsparseL20bsrxmvn_17_32_kernelILj22EfiifffEEvT2_20rocsparse_direction_NS_24const_host_device_scalarIT0_EES1_PKS1_PKT1_SA_S7_PKT3_PKT4_S5_PT5_21rocsparse_index_base_b,"axG",@progbits,_ZN9rocsparseL20bsrxmvn_17_32_kernelILj22EfiifffEEvT2_20rocsparse_direction_NS_24const_host_device_scalarIT0_EES1_PKS1_PKT1_SA_S7_PKT3_PKT4_S5_PT5_21rocsparse_index_base_b,comdat
	.globl	_ZN9rocsparseL20bsrxmvn_17_32_kernelILj22EfiifffEEvT2_20rocsparse_direction_NS_24const_host_device_scalarIT0_EES1_PKS1_PKT1_SA_S7_PKT3_PKT4_S5_PT5_21rocsparse_index_base_b ; -- Begin function _ZN9rocsparseL20bsrxmvn_17_32_kernelILj22EfiifffEEvT2_20rocsparse_direction_NS_24const_host_device_scalarIT0_EES1_PKS1_PKT1_SA_S7_PKT3_PKT4_S5_PT5_21rocsparse_index_base_b
	.p2align	8
	.type	_ZN9rocsparseL20bsrxmvn_17_32_kernelILj22EfiifffEEvT2_20rocsparse_direction_NS_24const_host_device_scalarIT0_EES1_PKS1_PKT1_SA_S7_PKT3_PKT4_S5_PT5_21rocsparse_index_base_b,@function
_ZN9rocsparseL20bsrxmvn_17_32_kernelILj22EfiifffEEvT2_20rocsparse_direction_NS_24const_host_device_scalarIT0_EES1_PKS1_PKT1_SA_S7_PKT3_PKT4_S5_PT5_21rocsparse_index_base_b: ; @_ZN9rocsparseL20bsrxmvn_17_32_kernelILj22EfiifffEEvT2_20rocsparse_direction_NS_24const_host_device_scalarIT0_EES1_PKS1_PKT1_SA_S7_PKT3_PKT4_S5_PT5_21rocsparse_index_base_b
; %bb.0:
	s_mov_b32 s8, s15
	s_clause 0x2
	s_load_b64 s[14:15], s[0:1], 0x58
	s_load_b64 s[10:11], s[0:1], 0x8
	;; [unrolled: 1-line block ×3, first 2 shown]
	s_waitcnt lgkmcnt(0)
	s_bitcmp1_b32 s15, 0
	s_cselect_b32 s4, -1, 0
	s_delay_alu instid0(SALU_CYCLE_1)
	s_and_b32 vcc_lo, exec_lo, s4
	s_xor_b32 s4, s4, -1
	s_cbranch_vccnz .LBB5_2
; %bb.1:
	s_load_b32 s10, s[10:11], 0x0
.LBB5_2:
	s_and_not1_b32 vcc_lo, exec_lo, s4
	s_cbranch_vccnz .LBB5_4
; %bb.3:
	s_load_b32 s2, s[2:3], 0x0
.LBB5_4:
	s_waitcnt lgkmcnt(0)
	v_cmp_neq_f32_e64 s3, s10, 0
	v_cmp_neq_f32_e64 s4, s2, 1.0
	s_delay_alu instid0(VALU_DEP_1) | instskip(NEXT) | instid1(SALU_CYCLE_1)
	s_or_b32 s3, s3, s4
	s_and_not1_b32 vcc_lo, exec_lo, s3
	s_cbranch_vccnz .LBB5_42
; %bb.5:
	s_clause 0x1
	s_load_b128 s[4:7], s[0:1], 0x18
	s_load_b64 s[12:13], s[0:1], 0x28
	s_waitcnt lgkmcnt(0)
	s_cmp_eq_u64 s[4:5], 0
	s_cbranch_scc1 .LBB5_7
; %bb.6:
	s_ashr_i32 s9, s8, 31
	s_delay_alu instid0(SALU_CYCLE_1) | instskip(NEXT) | instid1(SALU_CYCLE_1)
	s_lshl_b64 s[8:9], s[8:9], 2
	s_add_u32 s4, s4, s8
	s_addc_u32 s5, s5, s9
	s_load_b32 s3, s[4:5], 0x0
	s_waitcnt lgkmcnt(0)
	s_sub_i32 s8, s3, s14
.LBB5_7:
	s_load_b32 s3, s[0:1], 0x4
	v_mul_u32_u24_e32 v1, 0xba3, v0
	v_dual_mov_b32 v6, 0 :: v_dual_lshlrev_b32 v7, 2, v0
	s_delay_alu instid0(VALU_DEP_2) | instskip(NEXT) | instid1(VALU_DEP_1)
	v_lshrrev_b32_e32 v1, 16, v1
	v_mul_lo_u16 v2, v1, 22
	s_delay_alu instid0(VALU_DEP_1)
	v_sub_nc_u16 v8, v0, v2
	s_waitcnt lgkmcnt(0)
	s_cmp_eq_u32 s3, 1
	s_cselect_b32 vcc_lo, -1, 0
	s_cmp_lg_u32 s3, 1
	s_cselect_b32 s3, -1, 0
	s_ashr_i32 s9, s8, 31
	s_delay_alu instid0(SALU_CYCLE_1) | instskip(NEXT) | instid1(SALU_CYCLE_1)
	s_lshl_b64 s[4:5], s[8:9], 2
	s_add_u32 s6, s6, s4
	s_addc_u32 s7, s7, s5
	s_add_u32 s9, s6, 4
	s_addc_u32 s11, s7, 0
	;; [unrolled: 2-line block ×3, first 2 shown]
	s_cmp_eq_u64 s[12:13], 0
	s_load_b64 s[12:13], s[0:1], 0x50
	s_cselect_b32 s5, s11, s5
	s_cselect_b32 s4, s9, s4
	s_load_b32 s11, s[6:7], 0x0
	s_load_b32 s9, s[4:5], 0x0
	s_waitcnt lgkmcnt(0)
	s_cmp_ge_i32 s11, s9
	s_cbranch_scc1 .LBB5_12
; %bb.8:
	v_mul_lo_u16 v2, v1, 12
	s_clause 0x1
	s_load_b128 s[4:7], s[0:1], 0x30
	s_load_b64 s[0:1], s[0:1], 0x40
	v_and_b32_e32 v5, 0xffff, v0
	s_sub_i32 s11, s11, s14
	v_lshrrev_b16 v2, 8, v2
	v_dual_mov_b32 v6, 0 :: v_dual_and_b32 v3, 0xffff, v8
	s_mul_i32 s16, s11, 0x790
	s_sub_i32 s9, s9, s14
	s_delay_alu instid0(VALU_DEP_2) | instskip(SKIP_2) | instid1(VALU_DEP_2)
	v_mul_lo_u16 v2, v2, 22
	v_mul_u32_u24_e32 v5, 0x10f, v5
	s_mul_hi_i32 s15, s11, 0x790
	v_sub_nc_u16 v1, v1, v2
	s_delay_alu instid0(VALU_DEP_1)
	v_and_b32_e32 v9, 0xff, v1
	v_lshlrev_b32_e32 v4, 2, v0
	s_waitcnt lgkmcnt(0)
	s_add_u32 s6, s6, s16
	s_addc_u32 s7, s7, s15
	v_cndmask_b32_e32 v3, v3, v9, vcc_lo
	v_add_co_u32 v1, s6, s6, v4
	s_delay_alu instid0(VALU_DEP_1)
	v_add_co_ci_u32_e64 v2, null, s7, 0, s6
	v_lshrrev_b32_e32 v9, 17, v5
	s_set_inst_prefetch_distance 0x1
	s_branch .LBB5_10
	.p2align	6
.LBB5_9:                                ;   in Loop: Header=BB5_10 Depth=1
	s_or_b32 exec_lo, exec_lo, s6
	s_add_i32 s11, s11, 1
	s_delay_alu instid0(SALU_CYCLE_1)
	s_cmp_lt_i32 s11, s9
	s_cbranch_scc0 .LBB5_12
.LBB5_10:                               ; =>This Inner Loop Header: Depth=1
	s_delay_alu instid0(VALU_DEP_1) | instskip(SKIP_1) | instid1(VALU_DEP_1)
	v_add_nc_u32_e32 v4, s11, v9
	s_mov_b32 s6, exec_lo
	v_cmpx_gt_i32_e64 s9, v4
	s_cbranch_execz .LBB5_9
; %bb.11:                               ;   in Loop: Header=BB5_10 Depth=1
	v_ashrrev_i32_e32 v5, 31, v4
	s_delay_alu instid0(VALU_DEP_1) | instskip(NEXT) | instid1(VALU_DEP_1)
	v_lshlrev_b64 v[4:5], 2, v[4:5]
	v_add_co_u32 v4, vcc_lo, s4, v4
	s_delay_alu instid0(VALU_DEP_2) | instskip(SKIP_3) | instid1(VALU_DEP_1)
	v_add_co_ci_u32_e32 v5, vcc_lo, s5, v5, vcc_lo
	global_load_b32 v4, v[4:5], off
	s_waitcnt vmcnt(0)
	v_subrev_nc_u32_e32 v10, s14, v4
	v_mad_u64_u32 v[4:5], null, v10, 22, v[3:4]
	s_delay_alu instid0(VALU_DEP_1) | instskip(NEXT) | instid1(VALU_DEP_1)
	v_ashrrev_i32_e32 v5, 31, v4
	v_lshlrev_b64 v[4:5], 2, v[4:5]
	s_delay_alu instid0(VALU_DEP_1) | instskip(NEXT) | instid1(VALU_DEP_2)
	v_add_co_u32 v4, vcc_lo, s0, v4
	v_add_co_ci_u32_e32 v5, vcc_lo, s1, v5, vcc_lo
	global_load_b32 v10, v[1:2], off
	global_load_b32 v4, v[4:5], off
	v_add_co_u32 v1, vcc_lo, 0x790, v1
	v_add_co_ci_u32_e32 v2, vcc_lo, 0, v2, vcc_lo
	s_waitcnt vmcnt(0)
	v_fmac_f32_e32 v6, v10, v4
	s_branch .LBB5_9
.LBB5_12:
	s_set_inst_prefetch_distance 0x2
	s_and_b32 vcc_lo, exec_lo, s3
	ds_store_b32 v7, v6
	s_waitcnt lgkmcnt(0)
	s_barrier
	buffer_gl0_inv
	s_cbranch_vccz .LBB5_24
; %bb.13:
	s_mov_b32 s0, exec_lo
	v_cmpx_gt_u16_e32 6, v8
	s_cbranch_execz .LBB5_15
; %bb.14:
	ds_load_2addr_b32 v[1:2], v7 offset1:16
	s_waitcnt lgkmcnt(0)
	v_add_f32_e32 v1, v2, v1
	ds_store_b32 v7, v1
.LBB5_15:
	s_or_b32 exec_lo, exec_lo, s0
	s_delay_alu instid0(SALU_CYCLE_1)
	s_mov_b32 s0, exec_lo
	s_waitcnt lgkmcnt(0)
	s_barrier
	buffer_gl0_inv
	v_cmpx_gt_u16_e32 8, v8
	s_cbranch_execz .LBB5_17
; %bb.16:
	ds_load_2addr_b32 v[1:2], v7 offset1:8
	s_waitcnt lgkmcnt(0)
	v_add_f32_e32 v1, v2, v1
	ds_store_b32 v7, v1
.LBB5_17:
	s_or_b32 exec_lo, exec_lo, s0
	s_delay_alu instid0(SALU_CYCLE_1)
	s_mov_b32 s0, exec_lo
	s_waitcnt lgkmcnt(0)
	s_barrier
	buffer_gl0_inv
	;; [unrolled: 14-line block ×3, first 2 shown]
	v_cmpx_gt_u16_e32 2, v8
	s_cbranch_execz .LBB5_21
; %bb.20:
	ds_load_2addr_b32 v[1:2], v7 offset1:2
	s_waitcnt lgkmcnt(0)
	v_add_f32_e32 v1, v2, v1
	ds_store_b32 v7, v1
.LBB5_21:
	s_or_b32 exec_lo, exec_lo, s0
	s_mov_b32 s1, 0
	s_mov_b32 s0, 0
	s_mov_b32 s3, exec_lo
	s_waitcnt lgkmcnt(0)
	s_barrier
	buffer_gl0_inv
                                        ; implicit-def: $vgpr1
                                        ; implicit-def: $vgpr2
	v_cmpx_gt_u32_e32 22, v0
	s_xor_b32 s3, exec_lo, s3
; %bb.22:
	v_mul_u32_u24_e32 v1, 22, v0
	v_mad_u32_u24 v2, 0x54, v0, v7
	s_mov_b32 s0, exec_lo
	s_delay_alu instid0(VALU_DEP_2)
	v_or_b32_e32 v1, 1, v1
; %bb.23:
	s_or_b32 exec_lo, exec_lo, s3
	s_delay_alu instid0(SALU_CYCLE_1)
	s_and_b32 vcc_lo, exec_lo, s1
	s_cbranch_vccnz .LBB5_25
	s_branch .LBB5_36
.LBB5_24:
	s_mov_b32 s0, 0
                                        ; implicit-def: $vgpr1
                                        ; implicit-def: $vgpr2
	s_cbranch_execz .LBB5_36
.LBB5_25:
	s_mov_b32 s1, exec_lo
	v_cmpx_gt_u32_e32 0x84, v0
	s_cbranch_execz .LBB5_27
; %bb.26:
	ds_load_b32 v1, v7 offset:1408
	ds_load_b32 v2, v7
	s_waitcnt lgkmcnt(0)
	v_add_f32_e32 v1, v1, v2
	ds_store_b32 v7, v1
.LBB5_27:
	s_or_b32 exec_lo, exec_lo, s1
	s_delay_alu instid0(SALU_CYCLE_1)
	s_mov_b32 s1, exec_lo
	s_waitcnt lgkmcnt(0)
	s_barrier
	buffer_gl0_inv
	v_cmpx_gt_u32_e32 0xb0, v0
	s_cbranch_execz .LBB5_29
; %bb.28:
	ds_load_2addr_b32 v[1:2], v7 offset1:176
	s_waitcnt lgkmcnt(0)
	v_add_f32_e32 v1, v2, v1
	ds_store_b32 v7, v1
.LBB5_29:
	s_or_b32 exec_lo, exec_lo, s1
	s_delay_alu instid0(SALU_CYCLE_1)
	s_mov_b32 s1, exec_lo
	s_waitcnt lgkmcnt(0)
	s_barrier
	buffer_gl0_inv
	v_cmpx_gt_u32_e32 0x58, v0
	s_cbranch_execz .LBB5_31
; %bb.30:
	ds_load_2addr_b32 v[1:2], v7 offset1:88
	s_waitcnt lgkmcnt(0)
	v_add_f32_e32 v1, v2, v1
	ds_store_b32 v7, v1
.LBB5_31:
	;; [unrolled: 14-line block ×3, first 2 shown]
	s_or_b32 exec_lo, exec_lo, s1
	s_delay_alu instid0(SALU_CYCLE_1)
	s_mov_b32 s1, exec_lo
	s_waitcnt lgkmcnt(0)
	buffer_gl0_inv
                                        ; implicit-def: $vgpr1
	v_cmpx_gt_u32_e32 22, v0
; %bb.34:
	v_add_nc_u32_e32 v1, 22, v0
	s_or_b32 s0, s0, exec_lo
                                        ; implicit-def: $vgpr6
; %bb.35:
	s_or_b32 exec_lo, exec_lo, s1
	v_mov_b32_e32 v2, v7
.LBB5_36:
	s_and_saveexec_b32 s1, s0
	s_cbranch_execz .LBB5_38
; %bb.37:
	v_lshlrev_b32_e32 v1, 2, v1
	ds_load_b32 v2, v2
	ds_load_b32 v1, v1
	s_waitcnt lgkmcnt(0)
	v_add_f32_e32 v6, v2, v1
.LBB5_38:
	s_or_b32 exec_lo, exec_lo, s1
	s_delay_alu instid0(SALU_CYCLE_1)
	s_mov_b32 s0, exec_lo
	v_cmpx_gt_u32_e32 22, v0
	s_cbranch_execz .LBB5_42
; %bb.39:
	v_cmp_eq_f32_e64 s0, s2, 0
	v_mul_f32_e32 v1, s10, v6
	s_delay_alu instid0(VALU_DEP_2)
	s_and_b32 vcc_lo, exec_lo, s0
	s_mov_b32 s0, 0
	s_cbranch_vccz .LBB5_43
; %bb.40:
	s_delay_alu instid0(VALU_DEP_1) | instskip(SKIP_1) | instid1(VALU_DEP_1)
	v_mad_u64_u32 v[2:3], null, s8, 22, v[0:1]
	v_mov_b32_e32 v3, 0
	v_lshlrev_b64 v[2:3], 2, v[2:3]
	s_delay_alu instid0(VALU_DEP_1) | instskip(NEXT) | instid1(VALU_DEP_2)
	v_add_co_u32 v2, vcc_lo, s12, v2
	v_add_co_ci_u32_e32 v3, vcc_lo, s13, v3, vcc_lo
	global_store_b32 v[2:3], v1, off
	s_and_not1_b32 vcc_lo, exec_lo, s0
	s_cbranch_vccnz .LBB5_42
.LBB5_41:
	v_mad_u64_u32 v[2:3], null, s8, 22, v[0:1]
	v_mov_b32_e32 v3, 0
	s_delay_alu instid0(VALU_DEP_1) | instskip(NEXT) | instid1(VALU_DEP_1)
	v_lshlrev_b64 v[2:3], 2, v[2:3]
	v_add_co_u32 v2, vcc_lo, s12, v2
	s_delay_alu instid0(VALU_DEP_2)
	v_add_co_ci_u32_e32 v3, vcc_lo, s13, v3, vcc_lo
	global_load_b32 v0, v[2:3], off
	s_waitcnt vmcnt(0)
	v_fmac_f32_e32 v1, s2, v0
	global_store_b32 v[2:3], v1, off
.LBB5_42:
	s_nop 0
	s_sendmsg sendmsg(MSG_DEALLOC_VGPRS)
	s_endpgm
.LBB5_43:
	s_branch .LBB5_41
	.section	.rodata,"a",@progbits
	.p2align	6, 0x0
	.amdhsa_kernel _ZN9rocsparseL20bsrxmvn_17_32_kernelILj22EfiifffEEvT2_20rocsparse_direction_NS_24const_host_device_scalarIT0_EES1_PKS1_PKT1_SA_S7_PKT3_PKT4_S5_PT5_21rocsparse_index_base_b
		.amdhsa_group_segment_fixed_size 1936
		.amdhsa_private_segment_fixed_size 0
		.amdhsa_kernarg_size 96
		.amdhsa_user_sgpr_count 15
		.amdhsa_user_sgpr_dispatch_ptr 0
		.amdhsa_user_sgpr_queue_ptr 0
		.amdhsa_user_sgpr_kernarg_segment_ptr 1
		.amdhsa_user_sgpr_dispatch_id 0
		.amdhsa_user_sgpr_private_segment_size 0
		.amdhsa_wavefront_size32 1
		.amdhsa_uses_dynamic_stack 0
		.amdhsa_enable_private_segment 0
		.amdhsa_system_sgpr_workgroup_id_x 1
		.amdhsa_system_sgpr_workgroup_id_y 0
		.amdhsa_system_sgpr_workgroup_id_z 0
		.amdhsa_system_sgpr_workgroup_info 0
		.amdhsa_system_vgpr_workitem_id 0
		.amdhsa_next_free_vgpr 11
		.amdhsa_next_free_sgpr 17
		.amdhsa_reserve_vcc 1
		.amdhsa_float_round_mode_32 0
		.amdhsa_float_round_mode_16_64 0
		.amdhsa_float_denorm_mode_32 3
		.amdhsa_float_denorm_mode_16_64 3
		.amdhsa_dx10_clamp 1
		.amdhsa_ieee_mode 1
		.amdhsa_fp16_overflow 0
		.amdhsa_workgroup_processor_mode 1
		.amdhsa_memory_ordered 1
		.amdhsa_forward_progress 0
		.amdhsa_shared_vgpr_count 0
		.amdhsa_exception_fp_ieee_invalid_op 0
		.amdhsa_exception_fp_denorm_src 0
		.amdhsa_exception_fp_ieee_div_zero 0
		.amdhsa_exception_fp_ieee_overflow 0
		.amdhsa_exception_fp_ieee_underflow 0
		.amdhsa_exception_fp_ieee_inexact 0
		.amdhsa_exception_int_div_zero 0
	.end_amdhsa_kernel
	.section	.text._ZN9rocsparseL20bsrxmvn_17_32_kernelILj22EfiifffEEvT2_20rocsparse_direction_NS_24const_host_device_scalarIT0_EES1_PKS1_PKT1_SA_S7_PKT3_PKT4_S5_PT5_21rocsparse_index_base_b,"axG",@progbits,_ZN9rocsparseL20bsrxmvn_17_32_kernelILj22EfiifffEEvT2_20rocsparse_direction_NS_24const_host_device_scalarIT0_EES1_PKS1_PKT1_SA_S7_PKT3_PKT4_S5_PT5_21rocsparse_index_base_b,comdat
.Lfunc_end5:
	.size	_ZN9rocsparseL20bsrxmvn_17_32_kernelILj22EfiifffEEvT2_20rocsparse_direction_NS_24const_host_device_scalarIT0_EES1_PKS1_PKT1_SA_S7_PKT3_PKT4_S5_PT5_21rocsparse_index_base_b, .Lfunc_end5-_ZN9rocsparseL20bsrxmvn_17_32_kernelILj22EfiifffEEvT2_20rocsparse_direction_NS_24const_host_device_scalarIT0_EES1_PKS1_PKT1_SA_S7_PKT3_PKT4_S5_PT5_21rocsparse_index_base_b
                                        ; -- End function
	.section	.AMDGPU.csdata,"",@progbits
; Kernel info:
; codeLenInByte = 1540
; NumSgprs: 19
; NumVgprs: 11
; ScratchSize: 0
; MemoryBound: 0
; FloatMode: 240
; IeeeMode: 1
; LDSByteSize: 1936 bytes/workgroup (compile time only)
; SGPRBlocks: 2
; VGPRBlocks: 1
; NumSGPRsForWavesPerEU: 19
; NumVGPRsForWavesPerEU: 11
; Occupancy: 16
; WaveLimiterHint : 1
; COMPUTE_PGM_RSRC2:SCRATCH_EN: 0
; COMPUTE_PGM_RSRC2:USER_SGPR: 15
; COMPUTE_PGM_RSRC2:TRAP_HANDLER: 0
; COMPUTE_PGM_RSRC2:TGID_X_EN: 1
; COMPUTE_PGM_RSRC2:TGID_Y_EN: 0
; COMPUTE_PGM_RSRC2:TGID_Z_EN: 0
; COMPUTE_PGM_RSRC2:TIDIG_COMP_CNT: 0
	.section	.text._ZN9rocsparseL20bsrxmvn_17_32_kernelILj23EfiifffEEvT2_20rocsparse_direction_NS_24const_host_device_scalarIT0_EES1_PKS1_PKT1_SA_S7_PKT3_PKT4_S5_PT5_21rocsparse_index_base_b,"axG",@progbits,_ZN9rocsparseL20bsrxmvn_17_32_kernelILj23EfiifffEEvT2_20rocsparse_direction_NS_24const_host_device_scalarIT0_EES1_PKS1_PKT1_SA_S7_PKT3_PKT4_S5_PT5_21rocsparse_index_base_b,comdat
	.globl	_ZN9rocsparseL20bsrxmvn_17_32_kernelILj23EfiifffEEvT2_20rocsparse_direction_NS_24const_host_device_scalarIT0_EES1_PKS1_PKT1_SA_S7_PKT3_PKT4_S5_PT5_21rocsparse_index_base_b ; -- Begin function _ZN9rocsparseL20bsrxmvn_17_32_kernelILj23EfiifffEEvT2_20rocsparse_direction_NS_24const_host_device_scalarIT0_EES1_PKS1_PKT1_SA_S7_PKT3_PKT4_S5_PT5_21rocsparse_index_base_b
	.p2align	8
	.type	_ZN9rocsparseL20bsrxmvn_17_32_kernelILj23EfiifffEEvT2_20rocsparse_direction_NS_24const_host_device_scalarIT0_EES1_PKS1_PKT1_SA_S7_PKT3_PKT4_S5_PT5_21rocsparse_index_base_b,@function
_ZN9rocsparseL20bsrxmvn_17_32_kernelILj23EfiifffEEvT2_20rocsparse_direction_NS_24const_host_device_scalarIT0_EES1_PKS1_PKT1_SA_S7_PKT3_PKT4_S5_PT5_21rocsparse_index_base_b: ; @_ZN9rocsparseL20bsrxmvn_17_32_kernelILj23EfiifffEEvT2_20rocsparse_direction_NS_24const_host_device_scalarIT0_EES1_PKS1_PKT1_SA_S7_PKT3_PKT4_S5_PT5_21rocsparse_index_base_b
; %bb.0:
	s_mov_b32 s8, s15
	s_clause 0x2
	s_load_b64 s[14:15], s[0:1], 0x58
	s_load_b64 s[10:11], s[0:1], 0x8
	;; [unrolled: 1-line block ×3, first 2 shown]
	s_waitcnt lgkmcnt(0)
	s_bitcmp1_b32 s15, 0
	s_cselect_b32 s4, -1, 0
	s_delay_alu instid0(SALU_CYCLE_1)
	s_and_b32 vcc_lo, exec_lo, s4
	s_xor_b32 s4, s4, -1
	s_cbranch_vccnz .LBB6_2
; %bb.1:
	s_load_b32 s10, s[10:11], 0x0
.LBB6_2:
	s_and_not1_b32 vcc_lo, exec_lo, s4
	s_cbranch_vccnz .LBB6_4
; %bb.3:
	s_load_b32 s2, s[2:3], 0x0
.LBB6_4:
	s_waitcnt lgkmcnt(0)
	v_cmp_neq_f32_e64 s3, s10, 0
	v_cmp_neq_f32_e64 s4, s2, 1.0
	s_delay_alu instid0(VALU_DEP_1) | instskip(NEXT) | instid1(SALU_CYCLE_1)
	s_or_b32 s3, s3, s4
	s_and_not1_b32 vcc_lo, exec_lo, s3
	s_cbranch_vccnz .LBB6_42
; %bb.5:
	s_clause 0x1
	s_load_b128 s[4:7], s[0:1], 0x18
	s_load_b64 s[12:13], s[0:1], 0x28
	s_waitcnt lgkmcnt(0)
	s_cmp_eq_u64 s[4:5], 0
	s_cbranch_scc1 .LBB6_7
; %bb.6:
	s_ashr_i32 s9, s8, 31
	s_delay_alu instid0(SALU_CYCLE_1) | instskip(NEXT) | instid1(SALU_CYCLE_1)
	s_lshl_b64 s[8:9], s[8:9], 2
	s_add_u32 s4, s4, s8
	s_addc_u32 s5, s5, s9
	s_load_b32 s3, s[4:5], 0x0
	s_waitcnt lgkmcnt(0)
	s_sub_i32 s8, s3, s14
.LBB6_7:
	s_load_b32 s3, s[0:1], 0x4
	v_mul_u32_u24_e32 v1, 0xb22, v0
	v_dual_mov_b32 v6, 0 :: v_dual_lshlrev_b32 v7, 2, v0
	s_delay_alu instid0(VALU_DEP_2) | instskip(NEXT) | instid1(VALU_DEP_1)
	v_lshrrev_b32_e32 v1, 16, v1
	v_mul_lo_u16 v2, v1, 23
	s_delay_alu instid0(VALU_DEP_1)
	v_sub_nc_u16 v8, v0, v2
	s_waitcnt lgkmcnt(0)
	s_cmp_eq_u32 s3, 1
	s_cselect_b32 vcc_lo, -1, 0
	s_cmp_lg_u32 s3, 1
	s_cselect_b32 s3, -1, 0
	s_ashr_i32 s9, s8, 31
	s_delay_alu instid0(SALU_CYCLE_1) | instskip(NEXT) | instid1(SALU_CYCLE_1)
	s_lshl_b64 s[4:5], s[8:9], 2
	s_add_u32 s6, s6, s4
	s_addc_u32 s7, s7, s5
	s_add_u32 s9, s6, 4
	s_addc_u32 s11, s7, 0
	;; [unrolled: 2-line block ×3, first 2 shown]
	s_cmp_eq_u64 s[12:13], 0
	s_load_b64 s[12:13], s[0:1], 0x50
	s_cselect_b32 s5, s11, s5
	s_cselect_b32 s4, s9, s4
	s_load_b32 s9, s[6:7], 0x0
	s_load_b32 s11, s[4:5], 0x0
	s_waitcnt lgkmcnt(0)
	s_cmp_ge_i32 s9, s11
	s_cbranch_scc1 .LBB6_12
; %bb.8:
	s_clause 0x1
	s_load_b128 s[4:7], s[0:1], 0x30
	s_load_b64 s[16:17], s[0:1], 0x40
	v_dual_mov_b32 v6, 0 :: v_dual_and_b32 v1, 0xffff, v1
	v_cmp_gt_u32_e64 s0, 0x211, v0
	v_and_b32_e32 v3, 0xffff, v8
	s_sub_i32 s9, s9, s14
	s_delay_alu instid0(VALU_DEP_3) | instskip(SKIP_2) | instid1(VALU_DEP_1)
	v_subrev_nc_u32_e32 v2, 23, v1
	s_sub_i32 s1, s11, s14
	s_mul_i32 s11, s9, 0x844
	v_cndmask_b32_e64 v1, v2, v1, s0
	v_lshlrev_b32_e32 v2, 2, v0
	s_mul_hi_i32 s0, s9, 0x844
	s_delay_alu instid0(VALU_DEP_2)
	v_cndmask_b32_e32 v1, v3, v1, vcc_lo
	v_cmp_lt_u32_e32 vcc_lo, 0x210, v0
	s_waitcnt lgkmcnt(0)
	s_add_u32 s6, s6, s11
	s_addc_u32 s0, s7, s0
	v_add_co_u32 v2, s6, s6, v2
	s_delay_alu instid0(VALU_DEP_1)
	v_add_co_ci_u32_e64 v3, null, s0, 0, s6
	v_cndmask_b32_e64 v9, 0, 1, vcc_lo
	s_set_inst_prefetch_distance 0x1
	s_branch .LBB6_10
	.p2align	6
.LBB6_9:                                ;   in Loop: Header=BB6_10 Depth=1
	s_or_b32 exec_lo, exec_lo, s0
	s_add_i32 s9, s9, 1
	s_delay_alu instid0(SALU_CYCLE_1)
	s_cmp_lt_i32 s9, s1
	s_cbranch_scc0 .LBB6_12
.LBB6_10:                               ; =>This Inner Loop Header: Depth=1
	s_delay_alu instid0(VALU_DEP_1) | instskip(SKIP_1) | instid1(VALU_DEP_1)
	v_add_nc_u32_e32 v4, s9, v9
	s_mov_b32 s0, exec_lo
	v_cmpx_gt_i32_e64 s1, v4
	s_cbranch_execz .LBB6_9
; %bb.11:                               ;   in Loop: Header=BB6_10 Depth=1
	v_ashrrev_i32_e32 v5, 31, v4
	s_delay_alu instid0(VALU_DEP_1) | instskip(NEXT) | instid1(VALU_DEP_1)
	v_lshlrev_b64 v[4:5], 2, v[4:5]
	v_add_co_u32 v4, vcc_lo, s4, v4
	s_delay_alu instid0(VALU_DEP_2) | instskip(SKIP_3) | instid1(VALU_DEP_1)
	v_add_co_ci_u32_e32 v5, vcc_lo, s5, v5, vcc_lo
	global_load_b32 v4, v[4:5], off
	s_waitcnt vmcnt(0)
	v_subrev_nc_u32_e32 v10, s14, v4
	v_mad_u64_u32 v[4:5], null, v10, 23, v[1:2]
	s_delay_alu instid0(VALU_DEP_1) | instskip(NEXT) | instid1(VALU_DEP_1)
	v_ashrrev_i32_e32 v5, 31, v4
	v_lshlrev_b64 v[4:5], 2, v[4:5]
	s_delay_alu instid0(VALU_DEP_1) | instskip(NEXT) | instid1(VALU_DEP_2)
	v_add_co_u32 v4, vcc_lo, s16, v4
	v_add_co_ci_u32_e32 v5, vcc_lo, s17, v5, vcc_lo
	global_load_b32 v10, v[2:3], off
	global_load_b32 v4, v[4:5], off
	v_add_co_u32 v2, vcc_lo, 0x844, v2
	v_add_co_ci_u32_e32 v3, vcc_lo, 0, v3, vcc_lo
	s_waitcnt vmcnt(0)
	v_fmac_f32_e32 v6, v10, v4
	s_branch .LBB6_9
.LBB6_12:
	s_set_inst_prefetch_distance 0x2
	s_and_b32 vcc_lo, exec_lo, s3
	ds_store_b32 v7, v6
	s_waitcnt lgkmcnt(0)
	s_barrier
	buffer_gl0_inv
	s_cbranch_vccz .LBB6_24
; %bb.13:
	s_mov_b32 s0, exec_lo
	v_cmpx_gt_u16_e32 7, v8
	s_cbranch_execz .LBB6_15
; %bb.14:
	ds_load_2addr_b32 v[1:2], v7 offset1:16
	s_waitcnt lgkmcnt(0)
	v_add_f32_e32 v1, v2, v1
	ds_store_b32 v7, v1
.LBB6_15:
	s_or_b32 exec_lo, exec_lo, s0
	s_delay_alu instid0(SALU_CYCLE_1)
	s_mov_b32 s0, exec_lo
	s_waitcnt lgkmcnt(0)
	s_barrier
	buffer_gl0_inv
	v_cmpx_gt_u16_e32 8, v8
	s_cbranch_execz .LBB6_17
; %bb.16:
	ds_load_2addr_b32 v[1:2], v7 offset1:8
	s_waitcnt lgkmcnt(0)
	v_add_f32_e32 v1, v2, v1
	ds_store_b32 v7, v1
.LBB6_17:
	s_or_b32 exec_lo, exec_lo, s0
	s_delay_alu instid0(SALU_CYCLE_1)
	s_mov_b32 s0, exec_lo
	s_waitcnt lgkmcnt(0)
	s_barrier
	buffer_gl0_inv
	v_cmpx_gt_u16_e32 4, v8
	s_cbranch_execz .LBB6_19
; %bb.18:
	ds_load_2addr_b32 v[1:2], v7 offset1:4
	s_waitcnt lgkmcnt(0)
	v_add_f32_e32 v1, v2, v1
	ds_store_b32 v7, v1
.LBB6_19:
	s_or_b32 exec_lo, exec_lo, s0
	s_delay_alu instid0(SALU_CYCLE_1)
	s_mov_b32 s0, exec_lo
	s_waitcnt lgkmcnt(0)
	s_barrier
	buffer_gl0_inv
	v_cmpx_gt_u16_e32 2, v8
	s_cbranch_execz .LBB6_21
; %bb.20:
	ds_load_2addr_b32 v[1:2], v7 offset1:2
	s_waitcnt lgkmcnt(0)
	v_add_f32_e32 v1, v2, v1
	ds_store_b32 v7, v1
.LBB6_21:
	s_or_b32 exec_lo, exec_lo, s0
	s_mov_b32 s1, 0
	s_mov_b32 s0, 0
	s_mov_b32 s3, exec_lo
	s_waitcnt lgkmcnt(0)
	s_barrier
	buffer_gl0_inv
                                        ; implicit-def: $vgpr1
                                        ; implicit-def: $vgpr2
	v_cmpx_gt_u32_e32 23, v0
	s_xor_b32 s3, exec_lo, s3
; %bb.22:
	v_mad_u32_u24 v1, v0, 23, 1
	v_mad_u32_u24 v2, 0x58, v0, v7
	s_mov_b32 s0, exec_lo
; %bb.23:
	s_or_b32 exec_lo, exec_lo, s3
	s_delay_alu instid0(SALU_CYCLE_1)
	s_and_b32 vcc_lo, exec_lo, s1
	s_cbranch_vccnz .LBB6_25
	s_branch .LBB6_36
.LBB6_24:
	s_mov_b32 s0, 0
                                        ; implicit-def: $vgpr1
                                        ; implicit-def: $vgpr2
	s_cbranch_execz .LBB6_36
.LBB6_25:
	s_mov_b32 s1, exec_lo
	v_cmpx_gt_u32_e32 0xa1, v0
	s_cbranch_execz .LBB6_27
; %bb.26:
	ds_load_b32 v1, v7 offset:1472
	ds_load_b32 v2, v7
	s_waitcnt lgkmcnt(0)
	v_add_f32_e32 v1, v1, v2
	ds_store_b32 v7, v1
.LBB6_27:
	s_or_b32 exec_lo, exec_lo, s1
	s_delay_alu instid0(SALU_CYCLE_1)
	s_mov_b32 s1, exec_lo
	s_waitcnt lgkmcnt(0)
	s_barrier
	buffer_gl0_inv
	v_cmpx_gt_u32_e32 0xb8, v0
	s_cbranch_execz .LBB6_29
; %bb.28:
	ds_load_2addr_b32 v[1:2], v7 offset1:184
	s_waitcnt lgkmcnt(0)
	v_add_f32_e32 v1, v2, v1
	ds_store_b32 v7, v1
.LBB6_29:
	s_or_b32 exec_lo, exec_lo, s1
	s_delay_alu instid0(SALU_CYCLE_1)
	s_mov_b32 s1, exec_lo
	s_waitcnt lgkmcnt(0)
	s_barrier
	buffer_gl0_inv
	v_cmpx_gt_u32_e32 0x5c, v0
	s_cbranch_execz .LBB6_31
; %bb.30:
	ds_load_2addr_b32 v[1:2], v7 offset1:92
	s_waitcnt lgkmcnt(0)
	v_add_f32_e32 v1, v2, v1
	ds_store_b32 v7, v1
.LBB6_31:
	s_or_b32 exec_lo, exec_lo, s1
	s_delay_alu instid0(SALU_CYCLE_1)
	s_mov_b32 s1, exec_lo
	s_waitcnt lgkmcnt(0)
	s_barrier
	buffer_gl0_inv
	v_cmpx_gt_u32_e32 46, v0
	s_cbranch_execz .LBB6_33
; %bb.32:
	ds_load_2addr_b32 v[1:2], v7 offset1:46
	s_waitcnt lgkmcnt(0)
	v_add_f32_e32 v1, v2, v1
	ds_store_b32 v7, v1
.LBB6_33:
	s_or_b32 exec_lo, exec_lo, s1
	s_delay_alu instid0(SALU_CYCLE_1)
	s_mov_b32 s1, exec_lo
	s_waitcnt lgkmcnt(0)
	buffer_gl0_inv
                                        ; implicit-def: $vgpr1
	v_cmpx_gt_u32_e32 23, v0
; %bb.34:
	v_add_nc_u32_e32 v1, 23, v0
	s_or_b32 s0, s0, exec_lo
                                        ; implicit-def: $vgpr6
; %bb.35:
	s_or_b32 exec_lo, exec_lo, s1
	v_mov_b32_e32 v2, v7
.LBB6_36:
	s_and_saveexec_b32 s1, s0
	s_cbranch_execz .LBB6_38
; %bb.37:
	v_lshlrev_b32_e32 v1, 2, v1
	ds_load_b32 v2, v2
	ds_load_b32 v1, v1
	s_waitcnt lgkmcnt(0)
	v_add_f32_e32 v6, v2, v1
.LBB6_38:
	s_or_b32 exec_lo, exec_lo, s1
	s_delay_alu instid0(SALU_CYCLE_1)
	s_mov_b32 s0, exec_lo
	v_cmpx_gt_u32_e32 23, v0
	s_cbranch_execz .LBB6_42
; %bb.39:
	v_cmp_eq_f32_e64 s0, s2, 0
	v_mul_f32_e32 v1, s10, v6
	s_delay_alu instid0(VALU_DEP_2)
	s_and_b32 vcc_lo, exec_lo, s0
	s_mov_b32 s0, 0
	s_cbranch_vccz .LBB6_43
; %bb.40:
	s_delay_alu instid0(VALU_DEP_1) | instskip(SKIP_1) | instid1(VALU_DEP_1)
	v_mad_u64_u32 v[2:3], null, s8, 23, v[0:1]
	v_mov_b32_e32 v3, 0
	v_lshlrev_b64 v[2:3], 2, v[2:3]
	s_delay_alu instid0(VALU_DEP_1) | instskip(NEXT) | instid1(VALU_DEP_2)
	v_add_co_u32 v2, vcc_lo, s12, v2
	v_add_co_ci_u32_e32 v3, vcc_lo, s13, v3, vcc_lo
	global_store_b32 v[2:3], v1, off
	s_and_not1_b32 vcc_lo, exec_lo, s0
	s_cbranch_vccnz .LBB6_42
.LBB6_41:
	v_mad_u64_u32 v[2:3], null, s8, 23, v[0:1]
	v_mov_b32_e32 v3, 0
	s_delay_alu instid0(VALU_DEP_1) | instskip(NEXT) | instid1(VALU_DEP_1)
	v_lshlrev_b64 v[2:3], 2, v[2:3]
	v_add_co_u32 v2, vcc_lo, s12, v2
	s_delay_alu instid0(VALU_DEP_2)
	v_add_co_ci_u32_e32 v3, vcc_lo, s13, v3, vcc_lo
	global_load_b32 v0, v[2:3], off
	s_waitcnt vmcnt(0)
	v_fmac_f32_e32 v1, s2, v0
	global_store_b32 v[2:3], v1, off
.LBB6_42:
	s_nop 0
	s_sendmsg sendmsg(MSG_DEALLOC_VGPRS)
	s_endpgm
.LBB6_43:
	s_branch .LBB6_41
	.section	.rodata,"a",@progbits
	.p2align	6, 0x0
	.amdhsa_kernel _ZN9rocsparseL20bsrxmvn_17_32_kernelILj23EfiifffEEvT2_20rocsparse_direction_NS_24const_host_device_scalarIT0_EES1_PKS1_PKT1_SA_S7_PKT3_PKT4_S5_PT5_21rocsparse_index_base_b
		.amdhsa_group_segment_fixed_size 2116
		.amdhsa_private_segment_fixed_size 0
		.amdhsa_kernarg_size 96
		.amdhsa_user_sgpr_count 15
		.amdhsa_user_sgpr_dispatch_ptr 0
		.amdhsa_user_sgpr_queue_ptr 0
		.amdhsa_user_sgpr_kernarg_segment_ptr 1
		.amdhsa_user_sgpr_dispatch_id 0
		.amdhsa_user_sgpr_private_segment_size 0
		.amdhsa_wavefront_size32 1
		.amdhsa_uses_dynamic_stack 0
		.amdhsa_enable_private_segment 0
		.amdhsa_system_sgpr_workgroup_id_x 1
		.amdhsa_system_sgpr_workgroup_id_y 0
		.amdhsa_system_sgpr_workgroup_id_z 0
		.amdhsa_system_sgpr_workgroup_info 0
		.amdhsa_system_vgpr_workitem_id 0
		.amdhsa_next_free_vgpr 11
		.amdhsa_next_free_sgpr 18
		.amdhsa_reserve_vcc 1
		.amdhsa_float_round_mode_32 0
		.amdhsa_float_round_mode_16_64 0
		.amdhsa_float_denorm_mode_32 3
		.amdhsa_float_denorm_mode_16_64 3
		.amdhsa_dx10_clamp 1
		.amdhsa_ieee_mode 1
		.amdhsa_fp16_overflow 0
		.amdhsa_workgroup_processor_mode 1
		.amdhsa_memory_ordered 1
		.amdhsa_forward_progress 0
		.amdhsa_shared_vgpr_count 0
		.amdhsa_exception_fp_ieee_invalid_op 0
		.amdhsa_exception_fp_denorm_src 0
		.amdhsa_exception_fp_ieee_div_zero 0
		.amdhsa_exception_fp_ieee_overflow 0
		.amdhsa_exception_fp_ieee_underflow 0
		.amdhsa_exception_fp_ieee_inexact 0
		.amdhsa_exception_int_div_zero 0
	.end_amdhsa_kernel
	.section	.text._ZN9rocsparseL20bsrxmvn_17_32_kernelILj23EfiifffEEvT2_20rocsparse_direction_NS_24const_host_device_scalarIT0_EES1_PKS1_PKT1_SA_S7_PKT3_PKT4_S5_PT5_21rocsparse_index_base_b,"axG",@progbits,_ZN9rocsparseL20bsrxmvn_17_32_kernelILj23EfiifffEEvT2_20rocsparse_direction_NS_24const_host_device_scalarIT0_EES1_PKS1_PKT1_SA_S7_PKT3_PKT4_S5_PT5_21rocsparse_index_base_b,comdat
.Lfunc_end6:
	.size	_ZN9rocsparseL20bsrxmvn_17_32_kernelILj23EfiifffEEvT2_20rocsparse_direction_NS_24const_host_device_scalarIT0_EES1_PKS1_PKT1_SA_S7_PKT3_PKT4_S5_PT5_21rocsparse_index_base_b, .Lfunc_end6-_ZN9rocsparseL20bsrxmvn_17_32_kernelILj23EfiifffEEvT2_20rocsparse_direction_NS_24const_host_device_scalarIT0_EES1_PKS1_PKT1_SA_S7_PKT3_PKT4_S5_PT5_21rocsparse_index_base_b
                                        ; -- End function
	.section	.AMDGPU.csdata,"",@progbits
; Kernel info:
; codeLenInByte = 1524
; NumSgprs: 20
; NumVgprs: 11
; ScratchSize: 0
; MemoryBound: 0
; FloatMode: 240
; IeeeMode: 1
; LDSByteSize: 2116 bytes/workgroup (compile time only)
; SGPRBlocks: 2
; VGPRBlocks: 1
; NumSGPRsForWavesPerEU: 20
; NumVGPRsForWavesPerEU: 11
; Occupancy: 13
; WaveLimiterHint : 1
; COMPUTE_PGM_RSRC2:SCRATCH_EN: 0
; COMPUTE_PGM_RSRC2:USER_SGPR: 15
; COMPUTE_PGM_RSRC2:TRAP_HANDLER: 0
; COMPUTE_PGM_RSRC2:TGID_X_EN: 1
; COMPUTE_PGM_RSRC2:TGID_Y_EN: 0
; COMPUTE_PGM_RSRC2:TGID_Z_EN: 0
; COMPUTE_PGM_RSRC2:TIDIG_COMP_CNT: 0
	.section	.text._ZN9rocsparseL20bsrxmvn_17_32_kernelILj24EfiifffEEvT2_20rocsparse_direction_NS_24const_host_device_scalarIT0_EES1_PKS1_PKT1_SA_S7_PKT3_PKT4_S5_PT5_21rocsparse_index_base_b,"axG",@progbits,_ZN9rocsparseL20bsrxmvn_17_32_kernelILj24EfiifffEEvT2_20rocsparse_direction_NS_24const_host_device_scalarIT0_EES1_PKS1_PKT1_SA_S7_PKT3_PKT4_S5_PT5_21rocsparse_index_base_b,comdat
	.globl	_ZN9rocsparseL20bsrxmvn_17_32_kernelILj24EfiifffEEvT2_20rocsparse_direction_NS_24const_host_device_scalarIT0_EES1_PKS1_PKT1_SA_S7_PKT3_PKT4_S5_PT5_21rocsparse_index_base_b ; -- Begin function _ZN9rocsparseL20bsrxmvn_17_32_kernelILj24EfiifffEEvT2_20rocsparse_direction_NS_24const_host_device_scalarIT0_EES1_PKS1_PKT1_SA_S7_PKT3_PKT4_S5_PT5_21rocsparse_index_base_b
	.p2align	8
	.type	_ZN9rocsparseL20bsrxmvn_17_32_kernelILj24EfiifffEEvT2_20rocsparse_direction_NS_24const_host_device_scalarIT0_EES1_PKS1_PKT1_SA_S7_PKT3_PKT4_S5_PT5_21rocsparse_index_base_b,@function
_ZN9rocsparseL20bsrxmvn_17_32_kernelILj24EfiifffEEvT2_20rocsparse_direction_NS_24const_host_device_scalarIT0_EES1_PKS1_PKT1_SA_S7_PKT3_PKT4_S5_PT5_21rocsparse_index_base_b: ; @_ZN9rocsparseL20bsrxmvn_17_32_kernelILj24EfiifffEEvT2_20rocsparse_direction_NS_24const_host_device_scalarIT0_EES1_PKS1_PKT1_SA_S7_PKT3_PKT4_S5_PT5_21rocsparse_index_base_b
; %bb.0:
	s_mov_b32 s8, s15
	s_clause 0x2
	s_load_b64 s[14:15], s[0:1], 0x58
	s_load_b64 s[10:11], s[0:1], 0x8
	;; [unrolled: 1-line block ×3, first 2 shown]
	s_waitcnt lgkmcnt(0)
	s_bitcmp1_b32 s15, 0
	s_cselect_b32 s4, -1, 0
	s_delay_alu instid0(SALU_CYCLE_1)
	s_and_b32 vcc_lo, exec_lo, s4
	s_xor_b32 s4, s4, -1
	s_cbranch_vccnz .LBB7_2
; %bb.1:
	s_load_b32 s10, s[10:11], 0x0
.LBB7_2:
	s_and_not1_b32 vcc_lo, exec_lo, s4
	s_cbranch_vccnz .LBB7_4
; %bb.3:
	s_load_b32 s2, s[2:3], 0x0
.LBB7_4:
	s_waitcnt lgkmcnt(0)
	v_cmp_neq_f32_e64 s3, s10, 0
	v_cmp_neq_f32_e64 s4, s2, 1.0
	s_delay_alu instid0(VALU_DEP_1) | instskip(NEXT) | instid1(SALU_CYCLE_1)
	s_or_b32 s3, s3, s4
	s_and_not1_b32 vcc_lo, exec_lo, s3
	s_cbranch_vccnz .LBB7_42
; %bb.5:
	s_clause 0x1
	s_load_b128 s[4:7], s[0:1], 0x18
	s_load_b64 s[12:13], s[0:1], 0x28
	s_waitcnt lgkmcnt(0)
	s_cmp_eq_u64 s[4:5], 0
	s_cbranch_scc1 .LBB7_7
; %bb.6:
	s_ashr_i32 s9, s8, 31
	s_delay_alu instid0(SALU_CYCLE_1) | instskip(NEXT) | instid1(SALU_CYCLE_1)
	s_lshl_b64 s[8:9], s[8:9], 2
	s_add_u32 s4, s4, s8
	s_addc_u32 s5, s5, s9
	s_load_b32 s3, s[4:5], 0x0
	s_waitcnt lgkmcnt(0)
	s_sub_i32 s8, s3, s14
.LBB7_7:
	s_load_b32 s3, s[0:1], 0x4
	v_mul_u32_u24_e32 v1, 0xaab, v0
	v_dual_mov_b32 v6, 0 :: v_dual_lshlrev_b32 v7, 2, v0
	s_delay_alu instid0(VALU_DEP_2) | instskip(NEXT) | instid1(VALU_DEP_1)
	v_lshrrev_b32_e32 v1, 16, v1
	v_mul_lo_u16 v2, v1, 24
	s_delay_alu instid0(VALU_DEP_1)
	v_sub_nc_u16 v8, v0, v2
	s_waitcnt lgkmcnt(0)
	s_cmp_eq_u32 s3, 1
	s_cselect_b32 vcc_lo, -1, 0
	s_cmp_lg_u32 s3, 1
	s_cselect_b32 s3, -1, 0
	s_ashr_i32 s9, s8, 31
	s_delay_alu instid0(SALU_CYCLE_1) | instskip(NEXT) | instid1(SALU_CYCLE_1)
	s_lshl_b64 s[4:5], s[8:9], 2
	s_add_u32 s6, s6, s4
	s_addc_u32 s7, s7, s5
	s_add_u32 s9, s6, 4
	s_addc_u32 s11, s7, 0
	;; [unrolled: 2-line block ×3, first 2 shown]
	s_cmp_eq_u64 s[12:13], 0
	s_load_b64 s[12:13], s[0:1], 0x50
	s_cselect_b32 s5, s11, s5
	s_cselect_b32 s4, s9, s4
	s_load_b32 s9, s[6:7], 0x0
	s_load_b32 s11, s[4:5], 0x0
	s_waitcnt lgkmcnt(0)
	s_cmp_ge_i32 s9, s11
	s_cbranch_scc1 .LBB7_12
; %bb.8:
	s_clause 0x1
	s_load_b128 s[4:7], s[0:1], 0x30
	s_load_b64 s[16:17], s[0:1], 0x40
	v_dual_mov_b32 v6, 0 :: v_dual_and_b32 v1, 0xffff, v1
	v_cmp_gt_u32_e64 s0, 0x240, v0
	v_and_b32_e32 v3, 0xffff, v8
	s_sub_i32 s9, s9, s14
	s_delay_alu instid0(VALU_DEP_3) | instskip(SKIP_2) | instid1(VALU_DEP_1)
	v_subrev_nc_u32_e32 v2, 24, v1
	s_sub_i32 s1, s11, s14
	s_mul_i32 s11, s9, 0x900
	v_cndmask_b32_e64 v1, v2, v1, s0
	v_lshlrev_b32_e32 v2, 2, v0
	s_mul_hi_i32 s0, s9, 0x900
	s_delay_alu instid0(VALU_DEP_2)
	v_cndmask_b32_e32 v1, v3, v1, vcc_lo
	v_cmp_lt_u32_e32 vcc_lo, 0x23f, v0
	s_waitcnt lgkmcnt(0)
	s_add_u32 s6, s6, s11
	s_addc_u32 s0, s7, s0
	v_add_co_u32 v2, s6, s6, v2
	s_delay_alu instid0(VALU_DEP_1)
	v_add_co_ci_u32_e64 v3, null, s0, 0, s6
	v_cndmask_b32_e64 v9, 0, 1, vcc_lo
	s_set_inst_prefetch_distance 0x1
	s_branch .LBB7_10
	.p2align	6
.LBB7_9:                                ;   in Loop: Header=BB7_10 Depth=1
	s_or_b32 exec_lo, exec_lo, s0
	s_add_i32 s9, s9, 1
	s_delay_alu instid0(SALU_CYCLE_1)
	s_cmp_lt_i32 s9, s1
	s_cbranch_scc0 .LBB7_12
.LBB7_10:                               ; =>This Inner Loop Header: Depth=1
	s_delay_alu instid0(VALU_DEP_1) | instskip(SKIP_1) | instid1(VALU_DEP_1)
	v_add_nc_u32_e32 v4, s9, v9
	s_mov_b32 s0, exec_lo
	v_cmpx_gt_i32_e64 s1, v4
	s_cbranch_execz .LBB7_9
; %bb.11:                               ;   in Loop: Header=BB7_10 Depth=1
	v_ashrrev_i32_e32 v5, 31, v4
	s_delay_alu instid0(VALU_DEP_1) | instskip(NEXT) | instid1(VALU_DEP_1)
	v_lshlrev_b64 v[4:5], 2, v[4:5]
	v_add_co_u32 v4, vcc_lo, s4, v4
	s_delay_alu instid0(VALU_DEP_2) | instskip(SKIP_3) | instid1(VALU_DEP_1)
	v_add_co_ci_u32_e32 v5, vcc_lo, s5, v5, vcc_lo
	global_load_b32 v4, v[4:5], off
	s_waitcnt vmcnt(0)
	v_subrev_nc_u32_e32 v10, s14, v4
	v_mad_u64_u32 v[4:5], null, v10, 24, v[1:2]
	s_delay_alu instid0(VALU_DEP_1) | instskip(NEXT) | instid1(VALU_DEP_1)
	v_ashrrev_i32_e32 v5, 31, v4
	v_lshlrev_b64 v[4:5], 2, v[4:5]
	s_delay_alu instid0(VALU_DEP_1) | instskip(NEXT) | instid1(VALU_DEP_2)
	v_add_co_u32 v4, vcc_lo, s16, v4
	v_add_co_ci_u32_e32 v5, vcc_lo, s17, v5, vcc_lo
	global_load_b32 v10, v[2:3], off
	global_load_b32 v4, v[4:5], off
	v_add_co_u32 v2, vcc_lo, 0x900, v2
	v_add_co_ci_u32_e32 v3, vcc_lo, 0, v3, vcc_lo
	s_waitcnt vmcnt(0)
	v_fmac_f32_e32 v6, v10, v4
	s_branch .LBB7_9
.LBB7_12:
	s_set_inst_prefetch_distance 0x2
	s_and_b32 vcc_lo, exec_lo, s3
	ds_store_b32 v7, v6
	s_waitcnt lgkmcnt(0)
	s_barrier
	buffer_gl0_inv
	s_cbranch_vccz .LBB7_24
; %bb.13:
	v_cmp_gt_u16_e32 vcc_lo, 8, v8
	s_and_saveexec_b32 s0, vcc_lo
	s_cbranch_execz .LBB7_15
; %bb.14:
	ds_load_2addr_b32 v[1:2], v7 offset1:16
	s_waitcnt lgkmcnt(0)
	v_add_f32_e32 v1, v2, v1
	ds_store_b32 v7, v1
.LBB7_15:
	s_or_b32 exec_lo, exec_lo, s0
	s_waitcnt lgkmcnt(0)
	s_barrier
	buffer_gl0_inv
	s_and_saveexec_b32 s0, vcc_lo
	s_cbranch_execz .LBB7_17
; %bb.16:
	ds_load_2addr_b32 v[1:2], v7 offset1:8
	s_waitcnt lgkmcnt(0)
	v_add_f32_e32 v1, v2, v1
	ds_store_b32 v7, v1
.LBB7_17:
	s_or_b32 exec_lo, exec_lo, s0
	s_delay_alu instid0(SALU_CYCLE_1)
	s_mov_b32 s0, exec_lo
	s_waitcnt lgkmcnt(0)
	s_barrier
	buffer_gl0_inv
	v_cmpx_gt_u16_e32 4, v8
	s_cbranch_execz .LBB7_19
; %bb.18:
	ds_load_2addr_b32 v[1:2], v7 offset1:4
	s_waitcnt lgkmcnt(0)
	v_add_f32_e32 v1, v2, v1
	ds_store_b32 v7, v1
.LBB7_19:
	s_or_b32 exec_lo, exec_lo, s0
	s_delay_alu instid0(SALU_CYCLE_1)
	s_mov_b32 s0, exec_lo
	s_waitcnt lgkmcnt(0)
	s_barrier
	buffer_gl0_inv
	v_cmpx_gt_u16_e32 2, v8
	s_cbranch_execz .LBB7_21
; %bb.20:
	ds_load_2addr_b32 v[1:2], v7 offset1:2
	s_waitcnt lgkmcnt(0)
	v_add_f32_e32 v1, v2, v1
	ds_store_b32 v7, v1
.LBB7_21:
	s_or_b32 exec_lo, exec_lo, s0
	s_mov_b32 s1, 0
	s_mov_b32 s0, 0
	s_mov_b32 s3, exec_lo
	s_waitcnt lgkmcnt(0)
	s_barrier
	buffer_gl0_inv
                                        ; implicit-def: $vgpr1
                                        ; implicit-def: $vgpr2
	v_cmpx_gt_u32_e32 24, v0
	s_xor_b32 s3, exec_lo, s3
; %bb.22:
	v_mul_u32_u24_e32 v1, 24, v0
	v_mad_u32_u24 v2, 0x5c, v0, v7
	s_mov_b32 s0, exec_lo
	s_delay_alu instid0(VALU_DEP_2)
	v_or_b32_e32 v1, 1, v1
; %bb.23:
	s_or_b32 exec_lo, exec_lo, s3
	s_delay_alu instid0(SALU_CYCLE_1)
	s_and_b32 vcc_lo, exec_lo, s1
	s_cbranch_vccnz .LBB7_25
	s_branch .LBB7_36
.LBB7_24:
	s_mov_b32 s0, 0
                                        ; implicit-def: $vgpr1
                                        ; implicit-def: $vgpr2
	s_cbranch_execz .LBB7_36
.LBB7_25:
	v_cmp_gt_u32_e32 vcc_lo, 0xc0, v0
	s_and_saveexec_b32 s1, vcc_lo
	s_cbranch_execz .LBB7_27
; %bb.26:
	ds_load_2addr_stride64_b32 v[1:2], v7 offset1:6
	s_waitcnt lgkmcnt(0)
	v_add_f32_e32 v1, v2, v1
	ds_store_b32 v7, v1
.LBB7_27:
	s_or_b32 exec_lo, exec_lo, s1
	s_waitcnt lgkmcnt(0)
	s_barrier
	buffer_gl0_inv
	s_and_saveexec_b32 s1, vcc_lo
	s_cbranch_execz .LBB7_29
; %bb.28:
	ds_load_2addr_stride64_b32 v[1:2], v7 offset1:3
	s_waitcnt lgkmcnt(0)
	v_add_f32_e32 v1, v2, v1
	ds_store_b32 v7, v1
.LBB7_29:
	s_or_b32 exec_lo, exec_lo, s1
	s_delay_alu instid0(SALU_CYCLE_1)
	s_mov_b32 s1, exec_lo
	s_waitcnt lgkmcnt(0)
	s_barrier
	buffer_gl0_inv
	v_cmpx_gt_u32_e32 0x60, v0
	s_cbranch_execz .LBB7_31
; %bb.30:
	ds_load_2addr_b32 v[1:2], v7 offset1:96
	s_waitcnt lgkmcnt(0)
	v_add_f32_e32 v1, v2, v1
	ds_store_b32 v7, v1
.LBB7_31:
	s_or_b32 exec_lo, exec_lo, s1
	s_delay_alu instid0(SALU_CYCLE_1)
	s_mov_b32 s1, exec_lo
	s_waitcnt lgkmcnt(0)
	s_barrier
	buffer_gl0_inv
	v_cmpx_gt_u32_e32 48, v0
	s_cbranch_execz .LBB7_33
; %bb.32:
	ds_load_2addr_b32 v[1:2], v7 offset1:48
	s_waitcnt lgkmcnt(0)
	v_add_f32_e32 v1, v2, v1
	ds_store_b32 v7, v1
.LBB7_33:
	s_or_b32 exec_lo, exec_lo, s1
	s_delay_alu instid0(SALU_CYCLE_1)
	s_mov_b32 s1, exec_lo
	s_waitcnt lgkmcnt(0)
	buffer_gl0_inv
                                        ; implicit-def: $vgpr1
	v_cmpx_gt_u32_e32 24, v0
; %bb.34:
	v_add_nc_u32_e32 v1, 24, v0
	s_or_b32 s0, s0, exec_lo
                                        ; implicit-def: $vgpr6
; %bb.35:
	s_or_b32 exec_lo, exec_lo, s1
	v_mov_b32_e32 v2, v7
.LBB7_36:
	s_and_saveexec_b32 s1, s0
	s_cbranch_execz .LBB7_38
; %bb.37:
	v_lshlrev_b32_e32 v1, 2, v1
	ds_load_b32 v2, v2
	ds_load_b32 v1, v1
	s_waitcnt lgkmcnt(0)
	v_add_f32_e32 v6, v2, v1
.LBB7_38:
	s_or_b32 exec_lo, exec_lo, s1
	s_delay_alu instid0(SALU_CYCLE_1)
	s_mov_b32 s0, exec_lo
	v_cmpx_gt_u32_e32 24, v0
	s_cbranch_execz .LBB7_42
; %bb.39:
	v_cmp_eq_f32_e64 s0, s2, 0
	v_mul_f32_e32 v1, s10, v6
	s_delay_alu instid0(VALU_DEP_2)
	s_and_b32 vcc_lo, exec_lo, s0
	s_mov_b32 s0, 0
	s_cbranch_vccz .LBB7_43
; %bb.40:
	s_delay_alu instid0(VALU_DEP_1) | instskip(SKIP_1) | instid1(VALU_DEP_1)
	v_mad_u64_u32 v[2:3], null, s8, 24, v[0:1]
	v_mov_b32_e32 v3, 0
	v_lshlrev_b64 v[2:3], 2, v[2:3]
	s_delay_alu instid0(VALU_DEP_1) | instskip(NEXT) | instid1(VALU_DEP_2)
	v_add_co_u32 v2, vcc_lo, s12, v2
	v_add_co_ci_u32_e32 v3, vcc_lo, s13, v3, vcc_lo
	global_store_b32 v[2:3], v1, off
	s_and_not1_b32 vcc_lo, exec_lo, s0
	s_cbranch_vccnz .LBB7_42
.LBB7_41:
	v_mad_u64_u32 v[2:3], null, s8, 24, v[0:1]
	v_mov_b32_e32 v3, 0
	s_delay_alu instid0(VALU_DEP_1) | instskip(NEXT) | instid1(VALU_DEP_1)
	v_lshlrev_b64 v[2:3], 2, v[2:3]
	v_add_co_u32 v2, vcc_lo, s12, v2
	s_delay_alu instid0(VALU_DEP_2)
	v_add_co_ci_u32_e32 v3, vcc_lo, s13, v3, vcc_lo
	global_load_b32 v0, v[2:3], off
	s_waitcnt vmcnt(0)
	v_fmac_f32_e32 v1, s2, v0
	global_store_b32 v[2:3], v1, off
.LBB7_42:
	s_nop 0
	s_sendmsg sendmsg(MSG_DEALLOC_VGPRS)
	s_endpgm
.LBB7_43:
	s_branch .LBB7_41
	.section	.rodata,"a",@progbits
	.p2align	6, 0x0
	.amdhsa_kernel _ZN9rocsparseL20bsrxmvn_17_32_kernelILj24EfiifffEEvT2_20rocsparse_direction_NS_24const_host_device_scalarIT0_EES1_PKS1_PKT1_SA_S7_PKT3_PKT4_S5_PT5_21rocsparse_index_base_b
		.amdhsa_group_segment_fixed_size 2304
		.amdhsa_private_segment_fixed_size 0
		.amdhsa_kernarg_size 96
		.amdhsa_user_sgpr_count 15
		.amdhsa_user_sgpr_dispatch_ptr 0
		.amdhsa_user_sgpr_queue_ptr 0
		.amdhsa_user_sgpr_kernarg_segment_ptr 1
		.amdhsa_user_sgpr_dispatch_id 0
		.amdhsa_user_sgpr_private_segment_size 0
		.amdhsa_wavefront_size32 1
		.amdhsa_uses_dynamic_stack 0
		.amdhsa_enable_private_segment 0
		.amdhsa_system_sgpr_workgroup_id_x 1
		.amdhsa_system_sgpr_workgroup_id_y 0
		.amdhsa_system_sgpr_workgroup_id_z 0
		.amdhsa_system_sgpr_workgroup_info 0
		.amdhsa_system_vgpr_workitem_id 0
		.amdhsa_next_free_vgpr 11
		.amdhsa_next_free_sgpr 18
		.amdhsa_reserve_vcc 1
		.amdhsa_float_round_mode_32 0
		.amdhsa_float_round_mode_16_64 0
		.amdhsa_float_denorm_mode_32 3
		.amdhsa_float_denorm_mode_16_64 3
		.amdhsa_dx10_clamp 1
		.amdhsa_ieee_mode 1
		.amdhsa_fp16_overflow 0
		.amdhsa_workgroup_processor_mode 1
		.amdhsa_memory_ordered 1
		.amdhsa_forward_progress 0
		.amdhsa_shared_vgpr_count 0
		.amdhsa_exception_fp_ieee_invalid_op 0
		.amdhsa_exception_fp_denorm_src 0
		.amdhsa_exception_fp_ieee_div_zero 0
		.amdhsa_exception_fp_ieee_overflow 0
		.amdhsa_exception_fp_ieee_underflow 0
		.amdhsa_exception_fp_ieee_inexact 0
		.amdhsa_exception_int_div_zero 0
	.end_amdhsa_kernel
	.section	.text._ZN9rocsparseL20bsrxmvn_17_32_kernelILj24EfiifffEEvT2_20rocsparse_direction_NS_24const_host_device_scalarIT0_EES1_PKS1_PKT1_SA_S7_PKT3_PKT4_S5_PT5_21rocsparse_index_base_b,"axG",@progbits,_ZN9rocsparseL20bsrxmvn_17_32_kernelILj24EfiifffEEvT2_20rocsparse_direction_NS_24const_host_device_scalarIT0_EES1_PKS1_PKT1_SA_S7_PKT3_PKT4_S5_PT5_21rocsparse_index_base_b,comdat
.Lfunc_end7:
	.size	_ZN9rocsparseL20bsrxmvn_17_32_kernelILj24EfiifffEEvT2_20rocsparse_direction_NS_24const_host_device_scalarIT0_EES1_PKS1_PKT1_SA_S7_PKT3_PKT4_S5_PT5_21rocsparse_index_base_b, .Lfunc_end7-_ZN9rocsparseL20bsrxmvn_17_32_kernelILj24EfiifffEEvT2_20rocsparse_direction_NS_24const_host_device_scalarIT0_EES1_PKS1_PKT1_SA_S7_PKT3_PKT4_S5_PT5_21rocsparse_index_base_b
                                        ; -- End function
	.section	.AMDGPU.csdata,"",@progbits
; Kernel info:
; codeLenInByte = 1500
; NumSgprs: 20
; NumVgprs: 11
; ScratchSize: 0
; MemoryBound: 0
; FloatMode: 240
; IeeeMode: 1
; LDSByteSize: 2304 bytes/workgroup (compile time only)
; SGPRBlocks: 2
; VGPRBlocks: 1
; NumSGPRsForWavesPerEU: 20
; NumVGPRsForWavesPerEU: 11
; Occupancy: 14
; WaveLimiterHint : 1
; COMPUTE_PGM_RSRC2:SCRATCH_EN: 0
; COMPUTE_PGM_RSRC2:USER_SGPR: 15
; COMPUTE_PGM_RSRC2:TRAP_HANDLER: 0
; COMPUTE_PGM_RSRC2:TGID_X_EN: 1
; COMPUTE_PGM_RSRC2:TGID_Y_EN: 0
; COMPUTE_PGM_RSRC2:TGID_Z_EN: 0
; COMPUTE_PGM_RSRC2:TIDIG_COMP_CNT: 0
	.section	.text._ZN9rocsparseL20bsrxmvn_17_32_kernelILj25EfiifffEEvT2_20rocsparse_direction_NS_24const_host_device_scalarIT0_EES1_PKS1_PKT1_SA_S7_PKT3_PKT4_S5_PT5_21rocsparse_index_base_b,"axG",@progbits,_ZN9rocsparseL20bsrxmvn_17_32_kernelILj25EfiifffEEvT2_20rocsparse_direction_NS_24const_host_device_scalarIT0_EES1_PKS1_PKT1_SA_S7_PKT3_PKT4_S5_PT5_21rocsparse_index_base_b,comdat
	.globl	_ZN9rocsparseL20bsrxmvn_17_32_kernelILj25EfiifffEEvT2_20rocsparse_direction_NS_24const_host_device_scalarIT0_EES1_PKS1_PKT1_SA_S7_PKT3_PKT4_S5_PT5_21rocsparse_index_base_b ; -- Begin function _ZN9rocsparseL20bsrxmvn_17_32_kernelILj25EfiifffEEvT2_20rocsparse_direction_NS_24const_host_device_scalarIT0_EES1_PKS1_PKT1_SA_S7_PKT3_PKT4_S5_PT5_21rocsparse_index_base_b
	.p2align	8
	.type	_ZN9rocsparseL20bsrxmvn_17_32_kernelILj25EfiifffEEvT2_20rocsparse_direction_NS_24const_host_device_scalarIT0_EES1_PKS1_PKT1_SA_S7_PKT3_PKT4_S5_PT5_21rocsparse_index_base_b,@function
_ZN9rocsparseL20bsrxmvn_17_32_kernelILj25EfiifffEEvT2_20rocsparse_direction_NS_24const_host_device_scalarIT0_EES1_PKS1_PKT1_SA_S7_PKT3_PKT4_S5_PT5_21rocsparse_index_base_b: ; @_ZN9rocsparseL20bsrxmvn_17_32_kernelILj25EfiifffEEvT2_20rocsparse_direction_NS_24const_host_device_scalarIT0_EES1_PKS1_PKT1_SA_S7_PKT3_PKT4_S5_PT5_21rocsparse_index_base_b
; %bb.0:
	s_mov_b32 s8, s15
	s_clause 0x2
	s_load_b64 s[14:15], s[0:1], 0x58
	s_load_b64 s[10:11], s[0:1], 0x8
	;; [unrolled: 1-line block ×3, first 2 shown]
	s_waitcnt lgkmcnt(0)
	s_bitcmp1_b32 s15, 0
	s_cselect_b32 s4, -1, 0
	s_delay_alu instid0(SALU_CYCLE_1)
	s_and_b32 vcc_lo, exec_lo, s4
	s_xor_b32 s4, s4, -1
	s_cbranch_vccnz .LBB8_2
; %bb.1:
	s_load_b32 s10, s[10:11], 0x0
.LBB8_2:
	s_and_not1_b32 vcc_lo, exec_lo, s4
	s_cbranch_vccnz .LBB8_4
; %bb.3:
	s_load_b32 s2, s[2:3], 0x0
.LBB8_4:
	s_waitcnt lgkmcnt(0)
	v_cmp_neq_f32_e64 s3, s10, 0
	v_cmp_neq_f32_e64 s4, s2, 1.0
	s_delay_alu instid0(VALU_DEP_1) | instskip(NEXT) | instid1(SALU_CYCLE_1)
	s_or_b32 s3, s3, s4
	s_and_not1_b32 vcc_lo, exec_lo, s3
	s_cbranch_vccnz .LBB8_42
; %bb.5:
	s_clause 0x1
	s_load_b128 s[4:7], s[0:1], 0x18
	s_load_b64 s[12:13], s[0:1], 0x28
	s_waitcnt lgkmcnt(0)
	s_cmp_eq_u64 s[4:5], 0
	s_cbranch_scc1 .LBB8_7
; %bb.6:
	s_ashr_i32 s9, s8, 31
	s_delay_alu instid0(SALU_CYCLE_1) | instskip(NEXT) | instid1(SALU_CYCLE_1)
	s_lshl_b64 s[8:9], s[8:9], 2
	s_add_u32 s4, s4, s8
	s_addc_u32 s5, s5, s9
	s_load_b32 s3, s[4:5], 0x0
	s_waitcnt lgkmcnt(0)
	s_sub_i32 s8, s3, s14
.LBB8_7:
	s_load_b32 s3, s[0:1], 0x4
	v_mul_u32_u24_e32 v1, 0xa3e, v0
	v_dual_mov_b32 v6, 0 :: v_dual_lshlrev_b32 v7, 2, v0
	s_delay_alu instid0(VALU_DEP_2) | instskip(NEXT) | instid1(VALU_DEP_1)
	v_lshrrev_b32_e32 v1, 16, v1
	v_mul_lo_u16 v2, v1, 25
	s_delay_alu instid0(VALU_DEP_1)
	v_sub_nc_u16 v8, v0, v2
	s_waitcnt lgkmcnt(0)
	s_cmp_eq_u32 s3, 1
	s_cselect_b32 vcc_lo, -1, 0
	s_cmp_lg_u32 s3, 1
	s_cselect_b32 s3, -1, 0
	s_ashr_i32 s9, s8, 31
	s_delay_alu instid0(SALU_CYCLE_1) | instskip(NEXT) | instid1(SALU_CYCLE_1)
	s_lshl_b64 s[4:5], s[8:9], 2
	s_add_u32 s6, s6, s4
	s_addc_u32 s7, s7, s5
	s_add_u32 s9, s6, 4
	s_addc_u32 s11, s7, 0
	;; [unrolled: 2-line block ×3, first 2 shown]
	s_cmp_eq_u64 s[12:13], 0
	s_load_b64 s[12:13], s[0:1], 0x50
	s_cselect_b32 s5, s11, s5
	s_cselect_b32 s4, s9, s4
	s_load_b32 s9, s[6:7], 0x0
	s_load_b32 s11, s[4:5], 0x0
	s_waitcnt lgkmcnt(0)
	s_cmp_ge_i32 s9, s11
	s_cbranch_scc1 .LBB8_12
; %bb.8:
	s_clause 0x1
	s_load_b128 s[4:7], s[0:1], 0x30
	s_load_b64 s[16:17], s[0:1], 0x40
	v_dual_mov_b32 v6, 0 :: v_dual_and_b32 v1, 0xffff, v1
	v_cmp_gt_u32_e64 s0, 0x271, v0
	v_and_b32_e32 v3, 0xffff, v8
	s_sub_i32 s9, s9, s14
	s_delay_alu instid0(VALU_DEP_3) | instskip(SKIP_2) | instid1(VALU_DEP_1)
	v_subrev_nc_u32_e32 v2, 25, v1
	s_sub_i32 s1, s11, s14
	s_mul_i32 s11, s9, 0x9c4
	v_cndmask_b32_e64 v1, v2, v1, s0
	v_lshlrev_b32_e32 v2, 2, v0
	s_mul_hi_i32 s0, s9, 0x9c4
	s_delay_alu instid0(VALU_DEP_2)
	v_cndmask_b32_e32 v1, v3, v1, vcc_lo
	v_cmp_lt_u32_e32 vcc_lo, 0x270, v0
	s_waitcnt lgkmcnt(0)
	s_add_u32 s6, s6, s11
	s_addc_u32 s0, s7, s0
	v_add_co_u32 v2, s6, s6, v2
	s_delay_alu instid0(VALU_DEP_1)
	v_add_co_ci_u32_e64 v3, null, s0, 0, s6
	v_cndmask_b32_e64 v9, 0, 1, vcc_lo
	s_set_inst_prefetch_distance 0x1
	s_branch .LBB8_10
	.p2align	6
.LBB8_9:                                ;   in Loop: Header=BB8_10 Depth=1
	s_or_b32 exec_lo, exec_lo, s0
	s_add_i32 s9, s9, 1
	s_delay_alu instid0(SALU_CYCLE_1)
	s_cmp_lt_i32 s9, s1
	s_cbranch_scc0 .LBB8_12
.LBB8_10:                               ; =>This Inner Loop Header: Depth=1
	s_delay_alu instid0(VALU_DEP_1) | instskip(SKIP_1) | instid1(VALU_DEP_1)
	v_add_nc_u32_e32 v4, s9, v9
	s_mov_b32 s0, exec_lo
	v_cmpx_gt_i32_e64 s1, v4
	s_cbranch_execz .LBB8_9
; %bb.11:                               ;   in Loop: Header=BB8_10 Depth=1
	v_ashrrev_i32_e32 v5, 31, v4
	s_delay_alu instid0(VALU_DEP_1) | instskip(NEXT) | instid1(VALU_DEP_1)
	v_lshlrev_b64 v[4:5], 2, v[4:5]
	v_add_co_u32 v4, vcc_lo, s4, v4
	s_delay_alu instid0(VALU_DEP_2) | instskip(SKIP_3) | instid1(VALU_DEP_1)
	v_add_co_ci_u32_e32 v5, vcc_lo, s5, v5, vcc_lo
	global_load_b32 v4, v[4:5], off
	s_waitcnt vmcnt(0)
	v_subrev_nc_u32_e32 v10, s14, v4
	v_mad_u64_u32 v[4:5], null, v10, 25, v[1:2]
	s_delay_alu instid0(VALU_DEP_1) | instskip(NEXT) | instid1(VALU_DEP_1)
	v_ashrrev_i32_e32 v5, 31, v4
	v_lshlrev_b64 v[4:5], 2, v[4:5]
	s_delay_alu instid0(VALU_DEP_1) | instskip(NEXT) | instid1(VALU_DEP_2)
	v_add_co_u32 v4, vcc_lo, s16, v4
	v_add_co_ci_u32_e32 v5, vcc_lo, s17, v5, vcc_lo
	global_load_b32 v10, v[2:3], off
	global_load_b32 v4, v[4:5], off
	v_add_co_u32 v2, vcc_lo, 0x9c4, v2
	v_add_co_ci_u32_e32 v3, vcc_lo, 0, v3, vcc_lo
	s_waitcnt vmcnt(0)
	v_fmac_f32_e32 v6, v10, v4
	s_branch .LBB8_9
.LBB8_12:
	s_set_inst_prefetch_distance 0x2
	s_and_b32 vcc_lo, exec_lo, s3
	ds_store_b32 v7, v6
	s_waitcnt lgkmcnt(0)
	s_barrier
	buffer_gl0_inv
	s_cbranch_vccz .LBB8_24
; %bb.13:
	s_mov_b32 s0, exec_lo
	v_cmpx_gt_u16_e32 9, v8
	s_cbranch_execz .LBB8_15
; %bb.14:
	ds_load_2addr_b32 v[1:2], v7 offset1:16
	s_waitcnt lgkmcnt(0)
	v_add_f32_e32 v1, v2, v1
	ds_store_b32 v7, v1
.LBB8_15:
	s_or_b32 exec_lo, exec_lo, s0
	s_delay_alu instid0(SALU_CYCLE_1)
	s_mov_b32 s0, exec_lo
	s_waitcnt lgkmcnt(0)
	s_barrier
	buffer_gl0_inv
	v_cmpx_gt_u16_e32 8, v8
	s_cbranch_execz .LBB8_17
; %bb.16:
	ds_load_2addr_b32 v[1:2], v7 offset1:8
	s_waitcnt lgkmcnt(0)
	v_add_f32_e32 v1, v2, v1
	ds_store_b32 v7, v1
.LBB8_17:
	s_or_b32 exec_lo, exec_lo, s0
	s_delay_alu instid0(SALU_CYCLE_1)
	s_mov_b32 s0, exec_lo
	s_waitcnt lgkmcnt(0)
	s_barrier
	buffer_gl0_inv
	;; [unrolled: 14-line block ×3, first 2 shown]
	v_cmpx_gt_u16_e32 2, v8
	s_cbranch_execz .LBB8_21
; %bb.20:
	ds_load_2addr_b32 v[1:2], v7 offset1:2
	s_waitcnt lgkmcnt(0)
	v_add_f32_e32 v1, v2, v1
	ds_store_b32 v7, v1
.LBB8_21:
	s_or_b32 exec_lo, exec_lo, s0
	s_mov_b32 s1, 0
	s_mov_b32 s0, 0
	s_mov_b32 s3, exec_lo
	s_waitcnt lgkmcnt(0)
	s_barrier
	buffer_gl0_inv
                                        ; implicit-def: $vgpr1
                                        ; implicit-def: $vgpr2
	v_cmpx_gt_u32_e32 25, v0
	s_xor_b32 s3, exec_lo, s3
; %bb.22:
	v_mad_u32_u24 v1, v0, 25, 1
	v_mad_u32_u24 v2, 0x60, v0, v7
	s_mov_b32 s0, exec_lo
; %bb.23:
	s_or_b32 exec_lo, exec_lo, s3
	s_delay_alu instid0(SALU_CYCLE_1)
	s_and_b32 vcc_lo, exec_lo, s1
	s_cbranch_vccnz .LBB8_25
	s_branch .LBB8_36
.LBB8_24:
	s_mov_b32 s0, 0
                                        ; implicit-def: $vgpr1
                                        ; implicit-def: $vgpr2
	s_cbranch_execz .LBB8_36
.LBB8_25:
	s_mov_b32 s1, exec_lo
	v_cmpx_gt_u32_e32 0xe1, v0
	s_cbranch_execz .LBB8_27
; %bb.26:
	ds_load_b32 v1, v7 offset:1600
	ds_load_b32 v2, v7
	s_waitcnt lgkmcnt(0)
	v_add_f32_e32 v1, v1, v2
	ds_store_b32 v7, v1
.LBB8_27:
	s_or_b32 exec_lo, exec_lo, s1
	s_delay_alu instid0(SALU_CYCLE_1)
	s_mov_b32 s1, exec_lo
	s_waitcnt lgkmcnt(0)
	s_barrier
	buffer_gl0_inv
	v_cmpx_gt_u32_e32 0xc8, v0
	s_cbranch_execz .LBB8_29
; %bb.28:
	ds_load_2addr_b32 v[1:2], v7 offset1:200
	s_waitcnt lgkmcnt(0)
	v_add_f32_e32 v1, v2, v1
	ds_store_b32 v7, v1
.LBB8_29:
	s_or_b32 exec_lo, exec_lo, s1
	s_delay_alu instid0(SALU_CYCLE_1)
	s_mov_b32 s1, exec_lo
	s_waitcnt lgkmcnt(0)
	s_barrier
	buffer_gl0_inv
	v_cmpx_gt_u32_e32 0x64, v0
	s_cbranch_execz .LBB8_31
; %bb.30:
	ds_load_2addr_b32 v[1:2], v7 offset1:100
	s_waitcnt lgkmcnt(0)
	v_add_f32_e32 v1, v2, v1
	ds_store_b32 v7, v1
.LBB8_31:
	;; [unrolled: 14-line block ×3, first 2 shown]
	s_or_b32 exec_lo, exec_lo, s1
	s_delay_alu instid0(SALU_CYCLE_1)
	s_mov_b32 s1, exec_lo
	s_waitcnt lgkmcnt(0)
	buffer_gl0_inv
                                        ; implicit-def: $vgpr1
	v_cmpx_gt_u32_e32 25, v0
; %bb.34:
	v_add_nc_u32_e32 v1, 25, v0
	s_or_b32 s0, s0, exec_lo
                                        ; implicit-def: $vgpr6
; %bb.35:
	s_or_b32 exec_lo, exec_lo, s1
	v_mov_b32_e32 v2, v7
.LBB8_36:
	s_and_saveexec_b32 s1, s0
	s_cbranch_execz .LBB8_38
; %bb.37:
	v_lshlrev_b32_e32 v1, 2, v1
	ds_load_b32 v2, v2
	ds_load_b32 v1, v1
	s_waitcnt lgkmcnt(0)
	v_add_f32_e32 v6, v2, v1
.LBB8_38:
	s_or_b32 exec_lo, exec_lo, s1
	s_delay_alu instid0(SALU_CYCLE_1)
	s_mov_b32 s0, exec_lo
	v_cmpx_gt_u32_e32 25, v0
	s_cbranch_execz .LBB8_42
; %bb.39:
	v_cmp_eq_f32_e64 s0, s2, 0
	v_mul_f32_e32 v1, s10, v6
	s_delay_alu instid0(VALU_DEP_2)
	s_and_b32 vcc_lo, exec_lo, s0
	s_mov_b32 s0, 0
	s_cbranch_vccz .LBB8_43
; %bb.40:
	s_delay_alu instid0(VALU_DEP_1) | instskip(SKIP_1) | instid1(VALU_DEP_1)
	v_mad_u64_u32 v[2:3], null, s8, 25, v[0:1]
	v_mov_b32_e32 v3, 0
	v_lshlrev_b64 v[2:3], 2, v[2:3]
	s_delay_alu instid0(VALU_DEP_1) | instskip(NEXT) | instid1(VALU_DEP_2)
	v_add_co_u32 v2, vcc_lo, s12, v2
	v_add_co_ci_u32_e32 v3, vcc_lo, s13, v3, vcc_lo
	global_store_b32 v[2:3], v1, off
	s_and_not1_b32 vcc_lo, exec_lo, s0
	s_cbranch_vccnz .LBB8_42
.LBB8_41:
	v_mad_u64_u32 v[2:3], null, s8, 25, v[0:1]
	v_mov_b32_e32 v3, 0
	s_delay_alu instid0(VALU_DEP_1) | instskip(NEXT) | instid1(VALU_DEP_1)
	v_lshlrev_b64 v[2:3], 2, v[2:3]
	v_add_co_u32 v2, vcc_lo, s12, v2
	s_delay_alu instid0(VALU_DEP_2)
	v_add_co_ci_u32_e32 v3, vcc_lo, s13, v3, vcc_lo
	global_load_b32 v0, v[2:3], off
	s_waitcnt vmcnt(0)
	v_fmac_f32_e32 v1, s2, v0
	global_store_b32 v[2:3], v1, off
.LBB8_42:
	s_nop 0
	s_sendmsg sendmsg(MSG_DEALLOC_VGPRS)
	s_endpgm
.LBB8_43:
	s_branch .LBB8_41
	.section	.rodata,"a",@progbits
	.p2align	6, 0x0
	.amdhsa_kernel _ZN9rocsparseL20bsrxmvn_17_32_kernelILj25EfiifffEEvT2_20rocsparse_direction_NS_24const_host_device_scalarIT0_EES1_PKS1_PKT1_SA_S7_PKT3_PKT4_S5_PT5_21rocsparse_index_base_b
		.amdhsa_group_segment_fixed_size 2500
		.amdhsa_private_segment_fixed_size 0
		.amdhsa_kernarg_size 96
		.amdhsa_user_sgpr_count 15
		.amdhsa_user_sgpr_dispatch_ptr 0
		.amdhsa_user_sgpr_queue_ptr 0
		.amdhsa_user_sgpr_kernarg_segment_ptr 1
		.amdhsa_user_sgpr_dispatch_id 0
		.amdhsa_user_sgpr_private_segment_size 0
		.amdhsa_wavefront_size32 1
		.amdhsa_uses_dynamic_stack 0
		.amdhsa_enable_private_segment 0
		.amdhsa_system_sgpr_workgroup_id_x 1
		.amdhsa_system_sgpr_workgroup_id_y 0
		.amdhsa_system_sgpr_workgroup_id_z 0
		.amdhsa_system_sgpr_workgroup_info 0
		.amdhsa_system_vgpr_workitem_id 0
		.amdhsa_next_free_vgpr 11
		.amdhsa_next_free_sgpr 18
		.amdhsa_reserve_vcc 1
		.amdhsa_float_round_mode_32 0
		.amdhsa_float_round_mode_16_64 0
		.amdhsa_float_denorm_mode_32 3
		.amdhsa_float_denorm_mode_16_64 3
		.amdhsa_dx10_clamp 1
		.amdhsa_ieee_mode 1
		.amdhsa_fp16_overflow 0
		.amdhsa_workgroup_processor_mode 1
		.amdhsa_memory_ordered 1
		.amdhsa_forward_progress 0
		.amdhsa_shared_vgpr_count 0
		.amdhsa_exception_fp_ieee_invalid_op 0
		.amdhsa_exception_fp_denorm_src 0
		.amdhsa_exception_fp_ieee_div_zero 0
		.amdhsa_exception_fp_ieee_overflow 0
		.amdhsa_exception_fp_ieee_underflow 0
		.amdhsa_exception_fp_ieee_inexact 0
		.amdhsa_exception_int_div_zero 0
	.end_amdhsa_kernel
	.section	.text._ZN9rocsparseL20bsrxmvn_17_32_kernelILj25EfiifffEEvT2_20rocsparse_direction_NS_24const_host_device_scalarIT0_EES1_PKS1_PKT1_SA_S7_PKT3_PKT4_S5_PT5_21rocsparse_index_base_b,"axG",@progbits,_ZN9rocsparseL20bsrxmvn_17_32_kernelILj25EfiifffEEvT2_20rocsparse_direction_NS_24const_host_device_scalarIT0_EES1_PKS1_PKT1_SA_S7_PKT3_PKT4_S5_PT5_21rocsparse_index_base_b,comdat
.Lfunc_end8:
	.size	_ZN9rocsparseL20bsrxmvn_17_32_kernelILj25EfiifffEEvT2_20rocsparse_direction_NS_24const_host_device_scalarIT0_EES1_PKS1_PKT1_SA_S7_PKT3_PKT4_S5_PT5_21rocsparse_index_base_b, .Lfunc_end8-_ZN9rocsparseL20bsrxmvn_17_32_kernelILj25EfiifffEEvT2_20rocsparse_direction_NS_24const_host_device_scalarIT0_EES1_PKS1_PKT1_SA_S7_PKT3_PKT4_S5_PT5_21rocsparse_index_base_b
                                        ; -- End function
	.section	.AMDGPU.csdata,"",@progbits
; Kernel info:
; codeLenInByte = 1524
; NumSgprs: 20
; NumVgprs: 11
; ScratchSize: 0
; MemoryBound: 0
; FloatMode: 240
; IeeeMode: 1
; LDSByteSize: 2500 bytes/workgroup (compile time only)
; SGPRBlocks: 2
; VGPRBlocks: 1
; NumSGPRsForWavesPerEU: 20
; NumVGPRsForWavesPerEU: 11
; Occupancy: 15
; WaveLimiterHint : 1
; COMPUTE_PGM_RSRC2:SCRATCH_EN: 0
; COMPUTE_PGM_RSRC2:USER_SGPR: 15
; COMPUTE_PGM_RSRC2:TRAP_HANDLER: 0
; COMPUTE_PGM_RSRC2:TGID_X_EN: 1
; COMPUTE_PGM_RSRC2:TGID_Y_EN: 0
; COMPUTE_PGM_RSRC2:TGID_Z_EN: 0
; COMPUTE_PGM_RSRC2:TIDIG_COMP_CNT: 0
	.section	.text._ZN9rocsparseL20bsrxmvn_17_32_kernelILj26EfiifffEEvT2_20rocsparse_direction_NS_24const_host_device_scalarIT0_EES1_PKS1_PKT1_SA_S7_PKT3_PKT4_S5_PT5_21rocsparse_index_base_b,"axG",@progbits,_ZN9rocsparseL20bsrxmvn_17_32_kernelILj26EfiifffEEvT2_20rocsparse_direction_NS_24const_host_device_scalarIT0_EES1_PKS1_PKT1_SA_S7_PKT3_PKT4_S5_PT5_21rocsparse_index_base_b,comdat
	.globl	_ZN9rocsparseL20bsrxmvn_17_32_kernelILj26EfiifffEEvT2_20rocsparse_direction_NS_24const_host_device_scalarIT0_EES1_PKS1_PKT1_SA_S7_PKT3_PKT4_S5_PT5_21rocsparse_index_base_b ; -- Begin function _ZN9rocsparseL20bsrxmvn_17_32_kernelILj26EfiifffEEvT2_20rocsparse_direction_NS_24const_host_device_scalarIT0_EES1_PKS1_PKT1_SA_S7_PKT3_PKT4_S5_PT5_21rocsparse_index_base_b
	.p2align	8
	.type	_ZN9rocsparseL20bsrxmvn_17_32_kernelILj26EfiifffEEvT2_20rocsparse_direction_NS_24const_host_device_scalarIT0_EES1_PKS1_PKT1_SA_S7_PKT3_PKT4_S5_PT5_21rocsparse_index_base_b,@function
_ZN9rocsparseL20bsrxmvn_17_32_kernelILj26EfiifffEEvT2_20rocsparse_direction_NS_24const_host_device_scalarIT0_EES1_PKS1_PKT1_SA_S7_PKT3_PKT4_S5_PT5_21rocsparse_index_base_b: ; @_ZN9rocsparseL20bsrxmvn_17_32_kernelILj26EfiifffEEvT2_20rocsparse_direction_NS_24const_host_device_scalarIT0_EES1_PKS1_PKT1_SA_S7_PKT3_PKT4_S5_PT5_21rocsparse_index_base_b
; %bb.0:
	s_mov_b32 s8, s15
	s_clause 0x2
	s_load_b64 s[14:15], s[0:1], 0x58
	s_load_b64 s[10:11], s[0:1], 0x8
	;; [unrolled: 1-line block ×3, first 2 shown]
	s_waitcnt lgkmcnt(0)
	s_bitcmp1_b32 s15, 0
	s_cselect_b32 s4, -1, 0
	s_delay_alu instid0(SALU_CYCLE_1)
	s_and_b32 vcc_lo, exec_lo, s4
	s_xor_b32 s4, s4, -1
	s_cbranch_vccnz .LBB9_2
; %bb.1:
	s_load_b32 s10, s[10:11], 0x0
.LBB9_2:
	s_and_not1_b32 vcc_lo, exec_lo, s4
	s_cbranch_vccnz .LBB9_4
; %bb.3:
	s_load_b32 s2, s[2:3], 0x0
.LBB9_4:
	s_waitcnt lgkmcnt(0)
	v_cmp_neq_f32_e64 s3, s10, 0
	v_cmp_neq_f32_e64 s4, s2, 1.0
	s_delay_alu instid0(VALU_DEP_1) | instskip(NEXT) | instid1(SALU_CYCLE_1)
	s_or_b32 s3, s3, s4
	s_and_not1_b32 vcc_lo, exec_lo, s3
	s_cbranch_vccnz .LBB9_42
; %bb.5:
	s_clause 0x1
	s_load_b128 s[4:7], s[0:1], 0x18
	s_load_b64 s[12:13], s[0:1], 0x28
	s_waitcnt lgkmcnt(0)
	s_cmp_eq_u64 s[4:5], 0
	s_cbranch_scc1 .LBB9_7
; %bb.6:
	s_ashr_i32 s9, s8, 31
	s_delay_alu instid0(SALU_CYCLE_1) | instskip(NEXT) | instid1(SALU_CYCLE_1)
	s_lshl_b64 s[8:9], s[8:9], 2
	s_add_u32 s4, s4, s8
	s_addc_u32 s5, s5, s9
	s_load_b32 s3, s[4:5], 0x0
	s_waitcnt lgkmcnt(0)
	s_sub_i32 s8, s3, s14
.LBB9_7:
	s_load_b32 s3, s[0:1], 0x4
	v_mul_u32_u24_e32 v1, 0x9d9, v0
	v_dual_mov_b32 v6, 0 :: v_dual_lshlrev_b32 v7, 2, v0
	s_delay_alu instid0(VALU_DEP_2) | instskip(NEXT) | instid1(VALU_DEP_1)
	v_lshrrev_b32_e32 v1, 16, v1
	v_mul_lo_u16 v2, v1, 26
	s_delay_alu instid0(VALU_DEP_1)
	v_sub_nc_u16 v8, v0, v2
	s_waitcnt lgkmcnt(0)
	s_cmp_eq_u32 s3, 1
	s_cselect_b32 vcc_lo, -1, 0
	s_cmp_lg_u32 s3, 1
	s_cselect_b32 s3, -1, 0
	s_ashr_i32 s9, s8, 31
	s_delay_alu instid0(SALU_CYCLE_1) | instskip(NEXT) | instid1(SALU_CYCLE_1)
	s_lshl_b64 s[4:5], s[8:9], 2
	s_add_u32 s6, s6, s4
	s_addc_u32 s7, s7, s5
	s_add_u32 s9, s6, 4
	s_addc_u32 s11, s7, 0
	;; [unrolled: 2-line block ×3, first 2 shown]
	s_cmp_eq_u64 s[12:13], 0
	s_load_b64 s[12:13], s[0:1], 0x50
	s_cselect_b32 s5, s11, s5
	s_cselect_b32 s4, s9, s4
	s_load_b32 s9, s[6:7], 0x0
	s_load_b32 s11, s[4:5], 0x0
	s_waitcnt lgkmcnt(0)
	s_cmp_ge_i32 s9, s11
	s_cbranch_scc1 .LBB9_12
; %bb.8:
	s_clause 0x1
	s_load_b128 s[4:7], s[0:1], 0x30
	s_load_b64 s[16:17], s[0:1], 0x40
	v_dual_mov_b32 v6, 0 :: v_dual_and_b32 v1, 0xffff, v1
	v_cmp_gt_u32_e64 s0, 0x2a4, v0
	v_and_b32_e32 v3, 0xffff, v8
	s_sub_i32 s9, s9, s14
	s_delay_alu instid0(VALU_DEP_3) | instskip(SKIP_2) | instid1(VALU_DEP_1)
	v_subrev_nc_u32_e32 v2, 26, v1
	s_sub_i32 s1, s11, s14
	s_mul_i32 s11, s9, 0xa90
	v_cndmask_b32_e64 v1, v2, v1, s0
	v_lshlrev_b32_e32 v2, 2, v0
	s_mul_hi_i32 s0, s9, 0xa90
	s_delay_alu instid0(VALU_DEP_2)
	v_cndmask_b32_e32 v1, v3, v1, vcc_lo
	v_cmp_lt_u32_e32 vcc_lo, 0x2a3, v0
	s_waitcnt lgkmcnt(0)
	s_add_u32 s6, s6, s11
	s_addc_u32 s0, s7, s0
	v_add_co_u32 v2, s6, s6, v2
	s_delay_alu instid0(VALU_DEP_1)
	v_add_co_ci_u32_e64 v3, null, s0, 0, s6
	v_cndmask_b32_e64 v9, 0, 1, vcc_lo
	s_set_inst_prefetch_distance 0x1
	s_branch .LBB9_10
	.p2align	6
.LBB9_9:                                ;   in Loop: Header=BB9_10 Depth=1
	s_or_b32 exec_lo, exec_lo, s0
	s_add_i32 s9, s9, 1
	s_delay_alu instid0(SALU_CYCLE_1)
	s_cmp_lt_i32 s9, s1
	s_cbranch_scc0 .LBB9_12
.LBB9_10:                               ; =>This Inner Loop Header: Depth=1
	s_delay_alu instid0(VALU_DEP_1) | instskip(SKIP_1) | instid1(VALU_DEP_1)
	v_add_nc_u32_e32 v4, s9, v9
	s_mov_b32 s0, exec_lo
	v_cmpx_gt_i32_e64 s1, v4
	s_cbranch_execz .LBB9_9
; %bb.11:                               ;   in Loop: Header=BB9_10 Depth=1
	v_ashrrev_i32_e32 v5, 31, v4
	s_delay_alu instid0(VALU_DEP_1) | instskip(NEXT) | instid1(VALU_DEP_1)
	v_lshlrev_b64 v[4:5], 2, v[4:5]
	v_add_co_u32 v4, vcc_lo, s4, v4
	s_delay_alu instid0(VALU_DEP_2) | instskip(SKIP_3) | instid1(VALU_DEP_1)
	v_add_co_ci_u32_e32 v5, vcc_lo, s5, v5, vcc_lo
	global_load_b32 v4, v[4:5], off
	s_waitcnt vmcnt(0)
	v_subrev_nc_u32_e32 v10, s14, v4
	v_mad_u64_u32 v[4:5], null, v10, 26, v[1:2]
	s_delay_alu instid0(VALU_DEP_1) | instskip(NEXT) | instid1(VALU_DEP_1)
	v_ashrrev_i32_e32 v5, 31, v4
	v_lshlrev_b64 v[4:5], 2, v[4:5]
	s_delay_alu instid0(VALU_DEP_1) | instskip(NEXT) | instid1(VALU_DEP_2)
	v_add_co_u32 v4, vcc_lo, s16, v4
	v_add_co_ci_u32_e32 v5, vcc_lo, s17, v5, vcc_lo
	global_load_b32 v10, v[2:3], off
	global_load_b32 v4, v[4:5], off
	v_add_co_u32 v2, vcc_lo, 0xa90, v2
	v_add_co_ci_u32_e32 v3, vcc_lo, 0, v3, vcc_lo
	s_waitcnt vmcnt(0)
	v_fmac_f32_e32 v6, v10, v4
	s_branch .LBB9_9
.LBB9_12:
	s_set_inst_prefetch_distance 0x2
	s_and_b32 vcc_lo, exec_lo, s3
	ds_store_b32 v7, v6
	s_waitcnt lgkmcnt(0)
	s_barrier
	buffer_gl0_inv
	s_cbranch_vccz .LBB9_24
; %bb.13:
	s_mov_b32 s0, exec_lo
	v_cmpx_gt_u16_e32 10, v8
	s_cbranch_execz .LBB9_15
; %bb.14:
	ds_load_2addr_b32 v[1:2], v7 offset1:16
	s_waitcnt lgkmcnt(0)
	v_add_f32_e32 v1, v2, v1
	ds_store_b32 v7, v1
.LBB9_15:
	s_or_b32 exec_lo, exec_lo, s0
	s_delay_alu instid0(SALU_CYCLE_1)
	s_mov_b32 s0, exec_lo
	s_waitcnt lgkmcnt(0)
	s_barrier
	buffer_gl0_inv
	v_cmpx_gt_u16_e32 8, v8
	s_cbranch_execz .LBB9_17
; %bb.16:
	ds_load_2addr_b32 v[1:2], v7 offset1:8
	s_waitcnt lgkmcnt(0)
	v_add_f32_e32 v1, v2, v1
	ds_store_b32 v7, v1
.LBB9_17:
	s_or_b32 exec_lo, exec_lo, s0
	s_delay_alu instid0(SALU_CYCLE_1)
	s_mov_b32 s0, exec_lo
	s_waitcnt lgkmcnt(0)
	s_barrier
	buffer_gl0_inv
	;; [unrolled: 14-line block ×3, first 2 shown]
	v_cmpx_gt_u16_e32 2, v8
	s_cbranch_execz .LBB9_21
; %bb.20:
	ds_load_2addr_b32 v[1:2], v7 offset1:2
	s_waitcnt lgkmcnt(0)
	v_add_f32_e32 v1, v2, v1
	ds_store_b32 v7, v1
.LBB9_21:
	s_or_b32 exec_lo, exec_lo, s0
	s_mov_b32 s1, 0
	s_mov_b32 s0, 0
	s_mov_b32 s3, exec_lo
	s_waitcnt lgkmcnt(0)
	s_barrier
	buffer_gl0_inv
                                        ; implicit-def: $vgpr1
                                        ; implicit-def: $vgpr2
	v_cmpx_gt_u32_e32 26, v0
	s_xor_b32 s3, exec_lo, s3
; %bb.22:
	v_mul_u32_u24_e32 v1, 26, v0
	v_mad_u32_u24 v2, 0x64, v0, v7
	s_mov_b32 s0, exec_lo
	s_delay_alu instid0(VALU_DEP_2)
	v_or_b32_e32 v1, 1, v1
; %bb.23:
	s_or_b32 exec_lo, exec_lo, s3
	s_delay_alu instid0(SALU_CYCLE_1)
	s_and_b32 vcc_lo, exec_lo, s1
	s_cbranch_vccnz .LBB9_25
	s_branch .LBB9_36
.LBB9_24:
	s_mov_b32 s0, 0
                                        ; implicit-def: $vgpr1
                                        ; implicit-def: $vgpr2
	s_cbranch_execz .LBB9_36
.LBB9_25:
	s_mov_b32 s1, exec_lo
	v_cmpx_gt_u32_e32 0x104, v0
	s_cbranch_execz .LBB9_27
; %bb.26:
	ds_load_b32 v1, v7 offset:1664
	ds_load_b32 v2, v7
	s_waitcnt lgkmcnt(0)
	v_add_f32_e32 v1, v1, v2
	ds_store_b32 v7, v1
.LBB9_27:
	s_or_b32 exec_lo, exec_lo, s1
	s_delay_alu instid0(SALU_CYCLE_1)
	s_mov_b32 s1, exec_lo
	s_waitcnt lgkmcnt(0)
	s_barrier
	buffer_gl0_inv
	v_cmpx_gt_u32_e32 0xd0, v0
	s_cbranch_execz .LBB9_29
; %bb.28:
	ds_load_2addr_b32 v[1:2], v7 offset1:208
	s_waitcnt lgkmcnt(0)
	v_add_f32_e32 v1, v2, v1
	ds_store_b32 v7, v1
.LBB9_29:
	s_or_b32 exec_lo, exec_lo, s1
	s_delay_alu instid0(SALU_CYCLE_1)
	s_mov_b32 s1, exec_lo
	s_waitcnt lgkmcnt(0)
	s_barrier
	buffer_gl0_inv
	v_cmpx_gt_u32_e32 0x68, v0
	s_cbranch_execz .LBB9_31
; %bb.30:
	ds_load_2addr_b32 v[1:2], v7 offset1:104
	s_waitcnt lgkmcnt(0)
	v_add_f32_e32 v1, v2, v1
	ds_store_b32 v7, v1
.LBB9_31:
	;; [unrolled: 14-line block ×3, first 2 shown]
	s_or_b32 exec_lo, exec_lo, s1
	s_delay_alu instid0(SALU_CYCLE_1)
	s_mov_b32 s1, exec_lo
	s_waitcnt lgkmcnt(0)
	buffer_gl0_inv
                                        ; implicit-def: $vgpr1
	v_cmpx_gt_u32_e32 26, v0
; %bb.34:
	v_add_nc_u32_e32 v1, 26, v0
	s_or_b32 s0, s0, exec_lo
                                        ; implicit-def: $vgpr6
; %bb.35:
	s_or_b32 exec_lo, exec_lo, s1
	v_mov_b32_e32 v2, v7
.LBB9_36:
	s_and_saveexec_b32 s1, s0
	s_cbranch_execz .LBB9_38
; %bb.37:
	v_lshlrev_b32_e32 v1, 2, v1
	ds_load_b32 v2, v2
	ds_load_b32 v1, v1
	s_waitcnt lgkmcnt(0)
	v_add_f32_e32 v6, v2, v1
.LBB9_38:
	s_or_b32 exec_lo, exec_lo, s1
	s_delay_alu instid0(SALU_CYCLE_1)
	s_mov_b32 s0, exec_lo
	v_cmpx_gt_u32_e32 26, v0
	s_cbranch_execz .LBB9_42
; %bb.39:
	v_cmp_eq_f32_e64 s0, s2, 0
	v_mul_f32_e32 v1, s10, v6
	s_delay_alu instid0(VALU_DEP_2)
	s_and_b32 vcc_lo, exec_lo, s0
	s_mov_b32 s0, 0
	s_cbranch_vccz .LBB9_43
; %bb.40:
	s_delay_alu instid0(VALU_DEP_1) | instskip(SKIP_1) | instid1(VALU_DEP_1)
	v_mad_u64_u32 v[2:3], null, s8, 26, v[0:1]
	v_mov_b32_e32 v3, 0
	v_lshlrev_b64 v[2:3], 2, v[2:3]
	s_delay_alu instid0(VALU_DEP_1) | instskip(NEXT) | instid1(VALU_DEP_2)
	v_add_co_u32 v2, vcc_lo, s12, v2
	v_add_co_ci_u32_e32 v3, vcc_lo, s13, v3, vcc_lo
	global_store_b32 v[2:3], v1, off
	s_and_not1_b32 vcc_lo, exec_lo, s0
	s_cbranch_vccnz .LBB9_42
.LBB9_41:
	v_mad_u64_u32 v[2:3], null, s8, 26, v[0:1]
	v_mov_b32_e32 v3, 0
	s_delay_alu instid0(VALU_DEP_1) | instskip(NEXT) | instid1(VALU_DEP_1)
	v_lshlrev_b64 v[2:3], 2, v[2:3]
	v_add_co_u32 v2, vcc_lo, s12, v2
	s_delay_alu instid0(VALU_DEP_2)
	v_add_co_ci_u32_e32 v3, vcc_lo, s13, v3, vcc_lo
	global_load_b32 v0, v[2:3], off
	s_waitcnt vmcnt(0)
	v_fmac_f32_e32 v1, s2, v0
	global_store_b32 v[2:3], v1, off
.LBB9_42:
	s_nop 0
	s_sendmsg sendmsg(MSG_DEALLOC_VGPRS)
	s_endpgm
.LBB9_43:
	s_branch .LBB9_41
	.section	.rodata,"a",@progbits
	.p2align	6, 0x0
	.amdhsa_kernel _ZN9rocsparseL20bsrxmvn_17_32_kernelILj26EfiifffEEvT2_20rocsparse_direction_NS_24const_host_device_scalarIT0_EES1_PKS1_PKT1_SA_S7_PKT3_PKT4_S5_PT5_21rocsparse_index_base_b
		.amdhsa_group_segment_fixed_size 2704
		.amdhsa_private_segment_fixed_size 0
		.amdhsa_kernarg_size 96
		.amdhsa_user_sgpr_count 15
		.amdhsa_user_sgpr_dispatch_ptr 0
		.amdhsa_user_sgpr_queue_ptr 0
		.amdhsa_user_sgpr_kernarg_segment_ptr 1
		.amdhsa_user_sgpr_dispatch_id 0
		.amdhsa_user_sgpr_private_segment_size 0
		.amdhsa_wavefront_size32 1
		.amdhsa_uses_dynamic_stack 0
		.amdhsa_enable_private_segment 0
		.amdhsa_system_sgpr_workgroup_id_x 1
		.amdhsa_system_sgpr_workgroup_id_y 0
		.amdhsa_system_sgpr_workgroup_id_z 0
		.amdhsa_system_sgpr_workgroup_info 0
		.amdhsa_system_vgpr_workitem_id 0
		.amdhsa_next_free_vgpr 11
		.amdhsa_next_free_sgpr 18
		.amdhsa_reserve_vcc 1
		.amdhsa_float_round_mode_32 0
		.amdhsa_float_round_mode_16_64 0
		.amdhsa_float_denorm_mode_32 3
		.amdhsa_float_denorm_mode_16_64 3
		.amdhsa_dx10_clamp 1
		.amdhsa_ieee_mode 1
		.amdhsa_fp16_overflow 0
		.amdhsa_workgroup_processor_mode 1
		.amdhsa_memory_ordered 1
		.amdhsa_forward_progress 0
		.amdhsa_shared_vgpr_count 0
		.amdhsa_exception_fp_ieee_invalid_op 0
		.amdhsa_exception_fp_denorm_src 0
		.amdhsa_exception_fp_ieee_div_zero 0
		.amdhsa_exception_fp_ieee_overflow 0
		.amdhsa_exception_fp_ieee_underflow 0
		.amdhsa_exception_fp_ieee_inexact 0
		.amdhsa_exception_int_div_zero 0
	.end_amdhsa_kernel
	.section	.text._ZN9rocsparseL20bsrxmvn_17_32_kernelILj26EfiifffEEvT2_20rocsparse_direction_NS_24const_host_device_scalarIT0_EES1_PKS1_PKT1_SA_S7_PKT3_PKT4_S5_PT5_21rocsparse_index_base_b,"axG",@progbits,_ZN9rocsparseL20bsrxmvn_17_32_kernelILj26EfiifffEEvT2_20rocsparse_direction_NS_24const_host_device_scalarIT0_EES1_PKS1_PKT1_SA_S7_PKT3_PKT4_S5_PT5_21rocsparse_index_base_b,comdat
.Lfunc_end9:
	.size	_ZN9rocsparseL20bsrxmvn_17_32_kernelILj26EfiifffEEvT2_20rocsparse_direction_NS_24const_host_device_scalarIT0_EES1_PKS1_PKT1_SA_S7_PKT3_PKT4_S5_PT5_21rocsparse_index_base_b, .Lfunc_end9-_ZN9rocsparseL20bsrxmvn_17_32_kernelILj26EfiifffEEvT2_20rocsparse_direction_NS_24const_host_device_scalarIT0_EES1_PKS1_PKT1_SA_S7_PKT3_PKT4_S5_PT5_21rocsparse_index_base_b
                                        ; -- End function
	.section	.AMDGPU.csdata,"",@progbits
; Kernel info:
; codeLenInByte = 1528
; NumSgprs: 20
; NumVgprs: 11
; ScratchSize: 0
; MemoryBound: 0
; FloatMode: 240
; IeeeMode: 1
; LDSByteSize: 2704 bytes/workgroup (compile time only)
; SGPRBlocks: 2
; VGPRBlocks: 1
; NumSGPRsForWavesPerEU: 20
; NumVGPRsForWavesPerEU: 11
; Occupancy: 11
; WaveLimiterHint : 1
; COMPUTE_PGM_RSRC2:SCRATCH_EN: 0
; COMPUTE_PGM_RSRC2:USER_SGPR: 15
; COMPUTE_PGM_RSRC2:TRAP_HANDLER: 0
; COMPUTE_PGM_RSRC2:TGID_X_EN: 1
; COMPUTE_PGM_RSRC2:TGID_Y_EN: 0
; COMPUTE_PGM_RSRC2:TGID_Z_EN: 0
; COMPUTE_PGM_RSRC2:TIDIG_COMP_CNT: 0
	.section	.text._ZN9rocsparseL20bsrxmvn_17_32_kernelILj27EfiifffEEvT2_20rocsparse_direction_NS_24const_host_device_scalarIT0_EES1_PKS1_PKT1_SA_S7_PKT3_PKT4_S5_PT5_21rocsparse_index_base_b,"axG",@progbits,_ZN9rocsparseL20bsrxmvn_17_32_kernelILj27EfiifffEEvT2_20rocsparse_direction_NS_24const_host_device_scalarIT0_EES1_PKS1_PKT1_SA_S7_PKT3_PKT4_S5_PT5_21rocsparse_index_base_b,comdat
	.globl	_ZN9rocsparseL20bsrxmvn_17_32_kernelILj27EfiifffEEvT2_20rocsparse_direction_NS_24const_host_device_scalarIT0_EES1_PKS1_PKT1_SA_S7_PKT3_PKT4_S5_PT5_21rocsparse_index_base_b ; -- Begin function _ZN9rocsparseL20bsrxmvn_17_32_kernelILj27EfiifffEEvT2_20rocsparse_direction_NS_24const_host_device_scalarIT0_EES1_PKS1_PKT1_SA_S7_PKT3_PKT4_S5_PT5_21rocsparse_index_base_b
	.p2align	8
	.type	_ZN9rocsparseL20bsrxmvn_17_32_kernelILj27EfiifffEEvT2_20rocsparse_direction_NS_24const_host_device_scalarIT0_EES1_PKS1_PKT1_SA_S7_PKT3_PKT4_S5_PT5_21rocsparse_index_base_b,@function
_ZN9rocsparseL20bsrxmvn_17_32_kernelILj27EfiifffEEvT2_20rocsparse_direction_NS_24const_host_device_scalarIT0_EES1_PKS1_PKT1_SA_S7_PKT3_PKT4_S5_PT5_21rocsparse_index_base_b: ; @_ZN9rocsparseL20bsrxmvn_17_32_kernelILj27EfiifffEEvT2_20rocsparse_direction_NS_24const_host_device_scalarIT0_EES1_PKS1_PKT1_SA_S7_PKT3_PKT4_S5_PT5_21rocsparse_index_base_b
; %bb.0:
	s_mov_b32 s8, s15
	s_clause 0x2
	s_load_b64 s[14:15], s[0:1], 0x58
	s_load_b64 s[10:11], s[0:1], 0x8
	;; [unrolled: 1-line block ×3, first 2 shown]
	s_waitcnt lgkmcnt(0)
	s_bitcmp1_b32 s15, 0
	s_cselect_b32 s4, -1, 0
	s_delay_alu instid0(SALU_CYCLE_1)
	s_and_b32 vcc_lo, exec_lo, s4
	s_xor_b32 s4, s4, -1
	s_cbranch_vccnz .LBB10_2
; %bb.1:
	s_load_b32 s10, s[10:11], 0x0
.LBB10_2:
	s_and_not1_b32 vcc_lo, exec_lo, s4
	s_cbranch_vccnz .LBB10_4
; %bb.3:
	s_load_b32 s2, s[2:3], 0x0
.LBB10_4:
	s_waitcnt lgkmcnt(0)
	v_cmp_neq_f32_e64 s3, s10, 0
	v_cmp_neq_f32_e64 s4, s2, 1.0
	s_delay_alu instid0(VALU_DEP_1) | instskip(NEXT) | instid1(SALU_CYCLE_1)
	s_or_b32 s3, s3, s4
	s_and_not1_b32 vcc_lo, exec_lo, s3
	s_cbranch_vccnz .LBB10_42
; %bb.5:
	s_clause 0x1
	s_load_b128 s[4:7], s[0:1], 0x18
	s_load_b64 s[12:13], s[0:1], 0x28
	s_waitcnt lgkmcnt(0)
	s_cmp_eq_u64 s[4:5], 0
	s_cbranch_scc1 .LBB10_7
; %bb.6:
	s_ashr_i32 s9, s8, 31
	s_delay_alu instid0(SALU_CYCLE_1) | instskip(NEXT) | instid1(SALU_CYCLE_1)
	s_lshl_b64 s[8:9], s[8:9], 2
	s_add_u32 s4, s4, s8
	s_addc_u32 s5, s5, s9
	s_load_b32 s3, s[4:5], 0x0
	s_waitcnt lgkmcnt(0)
	s_sub_i32 s8, s3, s14
.LBB10_7:
	s_load_b32 s3, s[0:1], 0x4
	v_mul_u32_u24_e32 v1, 0x97c, v0
	v_dual_mov_b32 v6, 0 :: v_dual_lshlrev_b32 v7, 2, v0
	s_delay_alu instid0(VALU_DEP_2) | instskip(NEXT) | instid1(VALU_DEP_1)
	v_lshrrev_b32_e32 v1, 16, v1
	v_mul_lo_u16 v2, v1, 27
	s_delay_alu instid0(VALU_DEP_1)
	v_sub_nc_u16 v8, v0, v2
	s_waitcnt lgkmcnt(0)
	s_cmp_eq_u32 s3, 1
	s_cselect_b32 vcc_lo, -1, 0
	s_cmp_lg_u32 s3, 1
	s_cselect_b32 s3, -1, 0
	s_ashr_i32 s9, s8, 31
	s_delay_alu instid0(SALU_CYCLE_1) | instskip(NEXT) | instid1(SALU_CYCLE_1)
	s_lshl_b64 s[4:5], s[8:9], 2
	s_add_u32 s6, s6, s4
	s_addc_u32 s7, s7, s5
	s_add_u32 s9, s6, 4
	s_addc_u32 s11, s7, 0
	;; [unrolled: 2-line block ×3, first 2 shown]
	s_cmp_eq_u64 s[12:13], 0
	s_load_b64 s[12:13], s[0:1], 0x50
	s_cselect_b32 s5, s11, s5
	s_cselect_b32 s4, s9, s4
	s_load_b32 s9, s[6:7], 0x0
	s_load_b32 s11, s[4:5], 0x0
	s_waitcnt lgkmcnt(0)
	s_cmp_ge_i32 s9, s11
	s_cbranch_scc1 .LBB10_12
; %bb.8:
	s_clause 0x1
	s_load_b128 s[4:7], s[0:1], 0x30
	s_load_b64 s[16:17], s[0:1], 0x40
	v_dual_mov_b32 v6, 0 :: v_dual_and_b32 v1, 0xffff, v1
	v_cmp_gt_u32_e64 s0, 0x2d9, v0
	v_and_b32_e32 v3, 0xffff, v8
	s_sub_i32 s9, s9, s14
	s_delay_alu instid0(VALU_DEP_3) | instskip(SKIP_2) | instid1(VALU_DEP_1)
	v_subrev_nc_u32_e32 v2, 27, v1
	s_sub_i32 s1, s11, s14
	s_mul_i32 s11, s9, 0xb64
	v_cndmask_b32_e64 v1, v2, v1, s0
	v_lshlrev_b32_e32 v2, 2, v0
	s_mul_hi_i32 s0, s9, 0xb64
	s_delay_alu instid0(VALU_DEP_2)
	v_cndmask_b32_e32 v1, v3, v1, vcc_lo
	v_cmp_lt_u32_e32 vcc_lo, 0x2d8, v0
	s_waitcnt lgkmcnt(0)
	s_add_u32 s6, s6, s11
	s_addc_u32 s0, s7, s0
	v_add_co_u32 v2, s6, s6, v2
	s_delay_alu instid0(VALU_DEP_1)
	v_add_co_ci_u32_e64 v3, null, s0, 0, s6
	v_cndmask_b32_e64 v9, 0, 1, vcc_lo
	s_set_inst_prefetch_distance 0x1
	s_branch .LBB10_10
	.p2align	6
.LBB10_9:                               ;   in Loop: Header=BB10_10 Depth=1
	s_or_b32 exec_lo, exec_lo, s0
	s_add_i32 s9, s9, 1
	s_delay_alu instid0(SALU_CYCLE_1)
	s_cmp_lt_i32 s9, s1
	s_cbranch_scc0 .LBB10_12
.LBB10_10:                              ; =>This Inner Loop Header: Depth=1
	s_delay_alu instid0(VALU_DEP_1) | instskip(SKIP_1) | instid1(VALU_DEP_1)
	v_add_nc_u32_e32 v4, s9, v9
	s_mov_b32 s0, exec_lo
	v_cmpx_gt_i32_e64 s1, v4
	s_cbranch_execz .LBB10_9
; %bb.11:                               ;   in Loop: Header=BB10_10 Depth=1
	v_ashrrev_i32_e32 v5, 31, v4
	s_delay_alu instid0(VALU_DEP_1) | instskip(NEXT) | instid1(VALU_DEP_1)
	v_lshlrev_b64 v[4:5], 2, v[4:5]
	v_add_co_u32 v4, vcc_lo, s4, v4
	s_delay_alu instid0(VALU_DEP_2) | instskip(SKIP_3) | instid1(VALU_DEP_1)
	v_add_co_ci_u32_e32 v5, vcc_lo, s5, v5, vcc_lo
	global_load_b32 v4, v[4:5], off
	s_waitcnt vmcnt(0)
	v_subrev_nc_u32_e32 v10, s14, v4
	v_mad_u64_u32 v[4:5], null, v10, 27, v[1:2]
	s_delay_alu instid0(VALU_DEP_1) | instskip(NEXT) | instid1(VALU_DEP_1)
	v_ashrrev_i32_e32 v5, 31, v4
	v_lshlrev_b64 v[4:5], 2, v[4:5]
	s_delay_alu instid0(VALU_DEP_1) | instskip(NEXT) | instid1(VALU_DEP_2)
	v_add_co_u32 v4, vcc_lo, s16, v4
	v_add_co_ci_u32_e32 v5, vcc_lo, s17, v5, vcc_lo
	global_load_b32 v10, v[2:3], off
	global_load_b32 v4, v[4:5], off
	v_add_co_u32 v2, vcc_lo, 0xb64, v2
	v_add_co_ci_u32_e32 v3, vcc_lo, 0, v3, vcc_lo
	s_waitcnt vmcnt(0)
	v_fmac_f32_e32 v6, v10, v4
	s_branch .LBB10_9
.LBB10_12:
	s_set_inst_prefetch_distance 0x2
	s_and_b32 vcc_lo, exec_lo, s3
	ds_store_b32 v7, v6
	s_waitcnt lgkmcnt(0)
	s_barrier
	buffer_gl0_inv
	s_cbranch_vccz .LBB10_24
; %bb.13:
	s_mov_b32 s0, exec_lo
	v_cmpx_gt_u16_e32 11, v8
	s_cbranch_execz .LBB10_15
; %bb.14:
	ds_load_2addr_b32 v[1:2], v7 offset1:16
	s_waitcnt lgkmcnt(0)
	v_add_f32_e32 v1, v2, v1
	ds_store_b32 v7, v1
.LBB10_15:
	s_or_b32 exec_lo, exec_lo, s0
	s_delay_alu instid0(SALU_CYCLE_1)
	s_mov_b32 s0, exec_lo
	s_waitcnt lgkmcnt(0)
	s_barrier
	buffer_gl0_inv
	v_cmpx_gt_u16_e32 8, v8
	s_cbranch_execz .LBB10_17
; %bb.16:
	ds_load_2addr_b32 v[1:2], v7 offset1:8
	s_waitcnt lgkmcnt(0)
	v_add_f32_e32 v1, v2, v1
	ds_store_b32 v7, v1
.LBB10_17:
	s_or_b32 exec_lo, exec_lo, s0
	s_delay_alu instid0(SALU_CYCLE_1)
	s_mov_b32 s0, exec_lo
	s_waitcnt lgkmcnt(0)
	s_barrier
	buffer_gl0_inv
	;; [unrolled: 14-line block ×3, first 2 shown]
	v_cmpx_gt_u16_e32 2, v8
	s_cbranch_execz .LBB10_21
; %bb.20:
	ds_load_2addr_b32 v[1:2], v7 offset1:2
	s_waitcnt lgkmcnt(0)
	v_add_f32_e32 v1, v2, v1
	ds_store_b32 v7, v1
.LBB10_21:
	s_or_b32 exec_lo, exec_lo, s0
	s_mov_b32 s1, 0
	s_mov_b32 s0, 0
	s_mov_b32 s3, exec_lo
	s_waitcnt lgkmcnt(0)
	s_barrier
	buffer_gl0_inv
                                        ; implicit-def: $vgpr1
                                        ; implicit-def: $vgpr2
	v_cmpx_gt_u32_e32 27, v0
	s_xor_b32 s3, exec_lo, s3
; %bb.22:
	v_mad_u32_u24 v1, v0, 27, 1
	v_mad_u32_u24 v2, 0x68, v0, v7
	s_mov_b32 s0, exec_lo
; %bb.23:
	s_or_b32 exec_lo, exec_lo, s3
	s_delay_alu instid0(SALU_CYCLE_1)
	s_and_b32 vcc_lo, exec_lo, s1
	s_cbranch_vccnz .LBB10_25
	s_branch .LBB10_36
.LBB10_24:
	s_mov_b32 s0, 0
                                        ; implicit-def: $vgpr1
                                        ; implicit-def: $vgpr2
	s_cbranch_execz .LBB10_36
.LBB10_25:
	s_mov_b32 s1, exec_lo
	v_cmpx_gt_u32_e32 0x129, v0
	s_cbranch_execz .LBB10_27
; %bb.26:
	ds_load_b32 v1, v7 offset:1728
	ds_load_b32 v2, v7
	s_waitcnt lgkmcnt(0)
	v_add_f32_e32 v1, v1, v2
	ds_store_b32 v7, v1
.LBB10_27:
	s_or_b32 exec_lo, exec_lo, s1
	s_delay_alu instid0(SALU_CYCLE_1)
	s_mov_b32 s1, exec_lo
	s_waitcnt lgkmcnt(0)
	s_barrier
	buffer_gl0_inv
	v_cmpx_gt_u32_e32 0xd8, v0
	s_cbranch_execz .LBB10_29
; %bb.28:
	ds_load_2addr_b32 v[1:2], v7 offset1:216
	s_waitcnt lgkmcnt(0)
	v_add_f32_e32 v1, v2, v1
	ds_store_b32 v7, v1
.LBB10_29:
	s_or_b32 exec_lo, exec_lo, s1
	s_delay_alu instid0(SALU_CYCLE_1)
	s_mov_b32 s1, exec_lo
	s_waitcnt lgkmcnt(0)
	s_barrier
	buffer_gl0_inv
	v_cmpx_gt_u32_e32 0x6c, v0
	s_cbranch_execz .LBB10_31
; %bb.30:
	ds_load_2addr_b32 v[1:2], v7 offset1:108
	s_waitcnt lgkmcnt(0)
	v_add_f32_e32 v1, v2, v1
	ds_store_b32 v7, v1
.LBB10_31:
	;; [unrolled: 14-line block ×3, first 2 shown]
	s_or_b32 exec_lo, exec_lo, s1
	s_delay_alu instid0(SALU_CYCLE_1)
	s_mov_b32 s1, exec_lo
	s_waitcnt lgkmcnt(0)
	buffer_gl0_inv
                                        ; implicit-def: $vgpr1
	v_cmpx_gt_u32_e32 27, v0
; %bb.34:
	v_add_nc_u32_e32 v1, 27, v0
	s_or_b32 s0, s0, exec_lo
                                        ; implicit-def: $vgpr6
; %bb.35:
	s_or_b32 exec_lo, exec_lo, s1
	v_mov_b32_e32 v2, v7
.LBB10_36:
	s_and_saveexec_b32 s1, s0
	s_cbranch_execz .LBB10_38
; %bb.37:
	v_lshlrev_b32_e32 v1, 2, v1
	ds_load_b32 v2, v2
	ds_load_b32 v1, v1
	s_waitcnt lgkmcnt(0)
	v_add_f32_e32 v6, v2, v1
.LBB10_38:
	s_or_b32 exec_lo, exec_lo, s1
	s_delay_alu instid0(SALU_CYCLE_1)
	s_mov_b32 s0, exec_lo
	v_cmpx_gt_u32_e32 27, v0
	s_cbranch_execz .LBB10_42
; %bb.39:
	v_cmp_eq_f32_e64 s0, s2, 0
	v_mul_f32_e32 v1, s10, v6
	s_delay_alu instid0(VALU_DEP_2)
	s_and_b32 vcc_lo, exec_lo, s0
	s_mov_b32 s0, 0
	s_cbranch_vccz .LBB10_43
; %bb.40:
	s_delay_alu instid0(VALU_DEP_1) | instskip(SKIP_1) | instid1(VALU_DEP_1)
	v_mad_u64_u32 v[2:3], null, s8, 27, v[0:1]
	v_mov_b32_e32 v3, 0
	v_lshlrev_b64 v[2:3], 2, v[2:3]
	s_delay_alu instid0(VALU_DEP_1) | instskip(NEXT) | instid1(VALU_DEP_2)
	v_add_co_u32 v2, vcc_lo, s12, v2
	v_add_co_ci_u32_e32 v3, vcc_lo, s13, v3, vcc_lo
	global_store_b32 v[2:3], v1, off
	s_and_not1_b32 vcc_lo, exec_lo, s0
	s_cbranch_vccnz .LBB10_42
.LBB10_41:
	v_mad_u64_u32 v[2:3], null, s8, 27, v[0:1]
	v_mov_b32_e32 v3, 0
	s_delay_alu instid0(VALU_DEP_1) | instskip(NEXT) | instid1(VALU_DEP_1)
	v_lshlrev_b64 v[2:3], 2, v[2:3]
	v_add_co_u32 v2, vcc_lo, s12, v2
	s_delay_alu instid0(VALU_DEP_2)
	v_add_co_ci_u32_e32 v3, vcc_lo, s13, v3, vcc_lo
	global_load_b32 v0, v[2:3], off
	s_waitcnt vmcnt(0)
	v_fmac_f32_e32 v1, s2, v0
	global_store_b32 v[2:3], v1, off
.LBB10_42:
	s_nop 0
	s_sendmsg sendmsg(MSG_DEALLOC_VGPRS)
	s_endpgm
.LBB10_43:
	s_branch .LBB10_41
	.section	.rodata,"a",@progbits
	.p2align	6, 0x0
	.amdhsa_kernel _ZN9rocsparseL20bsrxmvn_17_32_kernelILj27EfiifffEEvT2_20rocsparse_direction_NS_24const_host_device_scalarIT0_EES1_PKS1_PKT1_SA_S7_PKT3_PKT4_S5_PT5_21rocsparse_index_base_b
		.amdhsa_group_segment_fixed_size 2916
		.amdhsa_private_segment_fixed_size 0
		.amdhsa_kernarg_size 96
		.amdhsa_user_sgpr_count 15
		.amdhsa_user_sgpr_dispatch_ptr 0
		.amdhsa_user_sgpr_queue_ptr 0
		.amdhsa_user_sgpr_kernarg_segment_ptr 1
		.amdhsa_user_sgpr_dispatch_id 0
		.amdhsa_user_sgpr_private_segment_size 0
		.amdhsa_wavefront_size32 1
		.amdhsa_uses_dynamic_stack 0
		.amdhsa_enable_private_segment 0
		.amdhsa_system_sgpr_workgroup_id_x 1
		.amdhsa_system_sgpr_workgroup_id_y 0
		.amdhsa_system_sgpr_workgroup_id_z 0
		.amdhsa_system_sgpr_workgroup_info 0
		.amdhsa_system_vgpr_workitem_id 0
		.amdhsa_next_free_vgpr 11
		.amdhsa_next_free_sgpr 18
		.amdhsa_reserve_vcc 1
		.amdhsa_float_round_mode_32 0
		.amdhsa_float_round_mode_16_64 0
		.amdhsa_float_denorm_mode_32 3
		.amdhsa_float_denorm_mode_16_64 3
		.amdhsa_dx10_clamp 1
		.amdhsa_ieee_mode 1
		.amdhsa_fp16_overflow 0
		.amdhsa_workgroup_processor_mode 1
		.amdhsa_memory_ordered 1
		.amdhsa_forward_progress 0
		.amdhsa_shared_vgpr_count 0
		.amdhsa_exception_fp_ieee_invalid_op 0
		.amdhsa_exception_fp_denorm_src 0
		.amdhsa_exception_fp_ieee_div_zero 0
		.amdhsa_exception_fp_ieee_overflow 0
		.amdhsa_exception_fp_ieee_underflow 0
		.amdhsa_exception_fp_ieee_inexact 0
		.amdhsa_exception_int_div_zero 0
	.end_amdhsa_kernel
	.section	.text._ZN9rocsparseL20bsrxmvn_17_32_kernelILj27EfiifffEEvT2_20rocsparse_direction_NS_24const_host_device_scalarIT0_EES1_PKS1_PKT1_SA_S7_PKT3_PKT4_S5_PT5_21rocsparse_index_base_b,"axG",@progbits,_ZN9rocsparseL20bsrxmvn_17_32_kernelILj27EfiifffEEvT2_20rocsparse_direction_NS_24const_host_device_scalarIT0_EES1_PKS1_PKT1_SA_S7_PKT3_PKT4_S5_PT5_21rocsparse_index_base_b,comdat
.Lfunc_end10:
	.size	_ZN9rocsparseL20bsrxmvn_17_32_kernelILj27EfiifffEEvT2_20rocsparse_direction_NS_24const_host_device_scalarIT0_EES1_PKS1_PKT1_SA_S7_PKT3_PKT4_S5_PT5_21rocsparse_index_base_b, .Lfunc_end10-_ZN9rocsparseL20bsrxmvn_17_32_kernelILj27EfiifffEEvT2_20rocsparse_direction_NS_24const_host_device_scalarIT0_EES1_PKS1_PKT1_SA_S7_PKT3_PKT4_S5_PT5_21rocsparse_index_base_b
                                        ; -- End function
	.section	.AMDGPU.csdata,"",@progbits
; Kernel info:
; codeLenInByte = 1524
; NumSgprs: 20
; NumVgprs: 11
; ScratchSize: 0
; MemoryBound: 0
; FloatMode: 240
; IeeeMode: 1
; LDSByteSize: 2916 bytes/workgroup (compile time only)
; SGPRBlocks: 2
; VGPRBlocks: 1
; NumSGPRsForWavesPerEU: 20
; NumVGPRsForWavesPerEU: 11
; Occupancy: 12
; WaveLimiterHint : 1
; COMPUTE_PGM_RSRC2:SCRATCH_EN: 0
; COMPUTE_PGM_RSRC2:USER_SGPR: 15
; COMPUTE_PGM_RSRC2:TRAP_HANDLER: 0
; COMPUTE_PGM_RSRC2:TGID_X_EN: 1
; COMPUTE_PGM_RSRC2:TGID_Y_EN: 0
; COMPUTE_PGM_RSRC2:TGID_Z_EN: 0
; COMPUTE_PGM_RSRC2:TIDIG_COMP_CNT: 0
	.section	.text._ZN9rocsparseL20bsrxmvn_17_32_kernelILj28EfiifffEEvT2_20rocsparse_direction_NS_24const_host_device_scalarIT0_EES1_PKS1_PKT1_SA_S7_PKT3_PKT4_S5_PT5_21rocsparse_index_base_b,"axG",@progbits,_ZN9rocsparseL20bsrxmvn_17_32_kernelILj28EfiifffEEvT2_20rocsparse_direction_NS_24const_host_device_scalarIT0_EES1_PKS1_PKT1_SA_S7_PKT3_PKT4_S5_PT5_21rocsparse_index_base_b,comdat
	.globl	_ZN9rocsparseL20bsrxmvn_17_32_kernelILj28EfiifffEEvT2_20rocsparse_direction_NS_24const_host_device_scalarIT0_EES1_PKS1_PKT1_SA_S7_PKT3_PKT4_S5_PT5_21rocsparse_index_base_b ; -- Begin function _ZN9rocsparseL20bsrxmvn_17_32_kernelILj28EfiifffEEvT2_20rocsparse_direction_NS_24const_host_device_scalarIT0_EES1_PKS1_PKT1_SA_S7_PKT3_PKT4_S5_PT5_21rocsparse_index_base_b
	.p2align	8
	.type	_ZN9rocsparseL20bsrxmvn_17_32_kernelILj28EfiifffEEvT2_20rocsparse_direction_NS_24const_host_device_scalarIT0_EES1_PKS1_PKT1_SA_S7_PKT3_PKT4_S5_PT5_21rocsparse_index_base_b,@function
_ZN9rocsparseL20bsrxmvn_17_32_kernelILj28EfiifffEEvT2_20rocsparse_direction_NS_24const_host_device_scalarIT0_EES1_PKS1_PKT1_SA_S7_PKT3_PKT4_S5_PT5_21rocsparse_index_base_b: ; @_ZN9rocsparseL20bsrxmvn_17_32_kernelILj28EfiifffEEvT2_20rocsparse_direction_NS_24const_host_device_scalarIT0_EES1_PKS1_PKT1_SA_S7_PKT3_PKT4_S5_PT5_21rocsparse_index_base_b
; %bb.0:
	s_mov_b32 s8, s15
	s_clause 0x2
	s_load_b64 s[14:15], s[0:1], 0x58
	s_load_b64 s[10:11], s[0:1], 0x8
	;; [unrolled: 1-line block ×3, first 2 shown]
	s_waitcnt lgkmcnt(0)
	s_bitcmp1_b32 s15, 0
	s_cselect_b32 s4, -1, 0
	s_delay_alu instid0(SALU_CYCLE_1)
	s_and_b32 vcc_lo, exec_lo, s4
	s_xor_b32 s4, s4, -1
	s_cbranch_vccnz .LBB11_2
; %bb.1:
	s_load_b32 s10, s[10:11], 0x0
.LBB11_2:
	s_and_not1_b32 vcc_lo, exec_lo, s4
	s_cbranch_vccnz .LBB11_4
; %bb.3:
	s_load_b32 s2, s[2:3], 0x0
.LBB11_4:
	s_waitcnt lgkmcnt(0)
	v_cmp_neq_f32_e64 s3, s10, 0
	v_cmp_neq_f32_e64 s4, s2, 1.0
	s_delay_alu instid0(VALU_DEP_1) | instskip(NEXT) | instid1(SALU_CYCLE_1)
	s_or_b32 s3, s3, s4
	s_and_not1_b32 vcc_lo, exec_lo, s3
	s_cbranch_vccnz .LBB11_42
; %bb.5:
	s_clause 0x1
	s_load_b128 s[4:7], s[0:1], 0x18
	s_load_b64 s[12:13], s[0:1], 0x28
	s_waitcnt lgkmcnt(0)
	s_cmp_eq_u64 s[4:5], 0
	s_cbranch_scc1 .LBB11_7
; %bb.6:
	s_ashr_i32 s9, s8, 31
	s_delay_alu instid0(SALU_CYCLE_1) | instskip(NEXT) | instid1(SALU_CYCLE_1)
	s_lshl_b64 s[8:9], s[8:9], 2
	s_add_u32 s4, s4, s8
	s_addc_u32 s5, s5, s9
	s_load_b32 s3, s[4:5], 0x0
	s_waitcnt lgkmcnt(0)
	s_sub_i32 s8, s3, s14
.LBB11_7:
	s_load_b32 s3, s[0:1], 0x4
	v_mul_u32_u24_e32 v1, 0x925, v0
	v_dual_mov_b32 v6, 0 :: v_dual_lshlrev_b32 v7, 2, v0
	s_delay_alu instid0(VALU_DEP_2) | instskip(NEXT) | instid1(VALU_DEP_1)
	v_lshrrev_b32_e32 v1, 16, v1
	v_mul_lo_u16 v2, v1, 28
	s_delay_alu instid0(VALU_DEP_1)
	v_sub_nc_u16 v8, v0, v2
	s_waitcnt lgkmcnt(0)
	s_cmp_eq_u32 s3, 1
	s_cselect_b32 vcc_lo, -1, 0
	s_cmp_lg_u32 s3, 1
	s_cselect_b32 s3, -1, 0
	s_ashr_i32 s9, s8, 31
	s_delay_alu instid0(SALU_CYCLE_1) | instskip(NEXT) | instid1(SALU_CYCLE_1)
	s_lshl_b64 s[4:5], s[8:9], 2
	s_add_u32 s6, s6, s4
	s_addc_u32 s7, s7, s5
	s_add_u32 s9, s6, 4
	s_addc_u32 s11, s7, 0
	;; [unrolled: 2-line block ×3, first 2 shown]
	s_cmp_eq_u64 s[12:13], 0
	s_load_b64 s[12:13], s[0:1], 0x50
	s_cselect_b32 s5, s11, s5
	s_cselect_b32 s4, s9, s4
	s_load_b32 s9, s[6:7], 0x0
	s_load_b32 s11, s[4:5], 0x0
	s_waitcnt lgkmcnt(0)
	s_cmp_ge_i32 s9, s11
	s_cbranch_scc1 .LBB11_12
; %bb.8:
	s_clause 0x1
	s_load_b128 s[4:7], s[0:1], 0x30
	s_load_b64 s[16:17], s[0:1], 0x40
	v_dual_mov_b32 v6, 0 :: v_dual_and_b32 v1, 0xffff, v1
	v_cmp_gt_u32_e64 s0, 0x310, v0
	v_and_b32_e32 v3, 0xffff, v8
	s_sub_i32 s9, s9, s14
	s_delay_alu instid0(VALU_DEP_3) | instskip(SKIP_2) | instid1(VALU_DEP_1)
	v_subrev_nc_u32_e32 v2, 28, v1
	s_sub_i32 s1, s11, s14
	s_mul_i32 s11, s9, 0xc40
	v_cndmask_b32_e64 v1, v2, v1, s0
	v_lshlrev_b32_e32 v2, 2, v0
	s_mul_hi_i32 s0, s9, 0xc40
	s_delay_alu instid0(VALU_DEP_2)
	v_cndmask_b32_e32 v1, v3, v1, vcc_lo
	v_cmp_lt_u32_e32 vcc_lo, 0x30f, v0
	s_waitcnt lgkmcnt(0)
	s_add_u32 s6, s6, s11
	s_addc_u32 s0, s7, s0
	v_add_co_u32 v2, s6, s6, v2
	s_delay_alu instid0(VALU_DEP_1)
	v_add_co_ci_u32_e64 v3, null, s0, 0, s6
	v_cndmask_b32_e64 v9, 0, 1, vcc_lo
	s_set_inst_prefetch_distance 0x1
	s_branch .LBB11_10
	.p2align	6
.LBB11_9:                               ;   in Loop: Header=BB11_10 Depth=1
	s_or_b32 exec_lo, exec_lo, s0
	s_add_i32 s9, s9, 1
	s_delay_alu instid0(SALU_CYCLE_1)
	s_cmp_lt_i32 s9, s1
	s_cbranch_scc0 .LBB11_12
.LBB11_10:                              ; =>This Inner Loop Header: Depth=1
	s_delay_alu instid0(VALU_DEP_1) | instskip(SKIP_1) | instid1(VALU_DEP_1)
	v_add_nc_u32_e32 v4, s9, v9
	s_mov_b32 s0, exec_lo
	v_cmpx_gt_i32_e64 s1, v4
	s_cbranch_execz .LBB11_9
; %bb.11:                               ;   in Loop: Header=BB11_10 Depth=1
	v_ashrrev_i32_e32 v5, 31, v4
	s_delay_alu instid0(VALU_DEP_1) | instskip(NEXT) | instid1(VALU_DEP_1)
	v_lshlrev_b64 v[4:5], 2, v[4:5]
	v_add_co_u32 v4, vcc_lo, s4, v4
	s_delay_alu instid0(VALU_DEP_2) | instskip(SKIP_3) | instid1(VALU_DEP_1)
	v_add_co_ci_u32_e32 v5, vcc_lo, s5, v5, vcc_lo
	global_load_b32 v4, v[4:5], off
	s_waitcnt vmcnt(0)
	v_subrev_nc_u32_e32 v10, s14, v4
	v_mad_u64_u32 v[4:5], null, v10, 28, v[1:2]
	s_delay_alu instid0(VALU_DEP_1) | instskip(NEXT) | instid1(VALU_DEP_1)
	v_ashrrev_i32_e32 v5, 31, v4
	v_lshlrev_b64 v[4:5], 2, v[4:5]
	s_delay_alu instid0(VALU_DEP_1) | instskip(NEXT) | instid1(VALU_DEP_2)
	v_add_co_u32 v4, vcc_lo, s16, v4
	v_add_co_ci_u32_e32 v5, vcc_lo, s17, v5, vcc_lo
	global_load_b32 v10, v[2:3], off
	global_load_b32 v4, v[4:5], off
	v_add_co_u32 v2, vcc_lo, 0xc40, v2
	v_add_co_ci_u32_e32 v3, vcc_lo, 0, v3, vcc_lo
	s_waitcnt vmcnt(0)
	v_fmac_f32_e32 v6, v10, v4
	s_branch .LBB11_9
.LBB11_12:
	s_set_inst_prefetch_distance 0x2
	s_and_b32 vcc_lo, exec_lo, s3
	ds_store_b32 v7, v6
	s_waitcnt lgkmcnt(0)
	s_barrier
	buffer_gl0_inv
	s_cbranch_vccz .LBB11_24
; %bb.13:
	s_mov_b32 s0, exec_lo
	v_cmpx_gt_u16_e32 12, v8
	s_cbranch_execz .LBB11_15
; %bb.14:
	ds_load_2addr_b32 v[1:2], v7 offset1:16
	s_waitcnt lgkmcnt(0)
	v_add_f32_e32 v1, v2, v1
	ds_store_b32 v7, v1
.LBB11_15:
	s_or_b32 exec_lo, exec_lo, s0
	s_delay_alu instid0(SALU_CYCLE_1)
	s_mov_b32 s0, exec_lo
	s_waitcnt lgkmcnt(0)
	s_barrier
	buffer_gl0_inv
	v_cmpx_gt_u16_e32 8, v8
	s_cbranch_execz .LBB11_17
; %bb.16:
	ds_load_2addr_b32 v[1:2], v7 offset1:8
	s_waitcnt lgkmcnt(0)
	v_add_f32_e32 v1, v2, v1
	ds_store_b32 v7, v1
.LBB11_17:
	s_or_b32 exec_lo, exec_lo, s0
	s_delay_alu instid0(SALU_CYCLE_1)
	s_mov_b32 s0, exec_lo
	s_waitcnt lgkmcnt(0)
	s_barrier
	buffer_gl0_inv
	;; [unrolled: 14-line block ×3, first 2 shown]
	v_cmpx_gt_u16_e32 2, v8
	s_cbranch_execz .LBB11_21
; %bb.20:
	ds_load_2addr_b32 v[1:2], v7 offset1:2
	s_waitcnt lgkmcnt(0)
	v_add_f32_e32 v1, v2, v1
	ds_store_b32 v7, v1
.LBB11_21:
	s_or_b32 exec_lo, exec_lo, s0
	s_mov_b32 s1, 0
	s_mov_b32 s0, 0
	s_mov_b32 s3, exec_lo
	s_waitcnt lgkmcnt(0)
	s_barrier
	buffer_gl0_inv
                                        ; implicit-def: $vgpr1
                                        ; implicit-def: $vgpr2
	v_cmpx_gt_u32_e32 28, v0
	s_xor_b32 s3, exec_lo, s3
; %bb.22:
	v_mul_u32_u24_e32 v1, 28, v0
	v_mad_u32_u24 v2, 0x6c, v0, v7
	s_mov_b32 s0, exec_lo
	s_delay_alu instid0(VALU_DEP_2)
	v_or_b32_e32 v1, 1, v1
; %bb.23:
	s_or_b32 exec_lo, exec_lo, s3
	s_delay_alu instid0(SALU_CYCLE_1)
	s_and_b32 vcc_lo, exec_lo, s1
	s_cbranch_vccnz .LBB11_25
	s_branch .LBB11_36
.LBB11_24:
	s_mov_b32 s0, 0
                                        ; implicit-def: $vgpr1
                                        ; implicit-def: $vgpr2
	s_cbranch_execz .LBB11_36
.LBB11_25:
	s_mov_b32 s1, exec_lo
	v_cmpx_gt_u32_e32 0x150, v0
	s_cbranch_execz .LBB11_27
; %bb.26:
	ds_load_2addr_stride64_b32 v[1:2], v7 offset1:7
	s_waitcnt lgkmcnt(0)
	v_add_f32_e32 v1, v2, v1
	ds_store_b32 v7, v1
.LBB11_27:
	s_or_b32 exec_lo, exec_lo, s1
	s_delay_alu instid0(SALU_CYCLE_1)
	s_mov_b32 s1, exec_lo
	s_waitcnt lgkmcnt(0)
	s_barrier
	buffer_gl0_inv
	v_cmpx_gt_u32_e32 0xe0, v0
	s_cbranch_execz .LBB11_29
; %bb.28:
	ds_load_2addr_b32 v[1:2], v7 offset1:224
	s_waitcnt lgkmcnt(0)
	v_add_f32_e32 v1, v2, v1
	ds_store_b32 v7, v1
.LBB11_29:
	s_or_b32 exec_lo, exec_lo, s1
	s_delay_alu instid0(SALU_CYCLE_1)
	s_mov_b32 s1, exec_lo
	s_waitcnt lgkmcnt(0)
	s_barrier
	buffer_gl0_inv
	v_cmpx_gt_u32_e32 0x70, v0
	s_cbranch_execz .LBB11_31
; %bb.30:
	ds_load_2addr_b32 v[1:2], v7 offset1:112
	s_waitcnt lgkmcnt(0)
	v_add_f32_e32 v1, v2, v1
	ds_store_b32 v7, v1
.LBB11_31:
	;; [unrolled: 14-line block ×3, first 2 shown]
	s_or_b32 exec_lo, exec_lo, s1
	s_delay_alu instid0(SALU_CYCLE_1)
	s_mov_b32 s1, exec_lo
	s_waitcnt lgkmcnt(0)
	buffer_gl0_inv
                                        ; implicit-def: $vgpr1
	v_cmpx_gt_u32_e32 28, v0
; %bb.34:
	v_add_nc_u32_e32 v1, 28, v0
	s_or_b32 s0, s0, exec_lo
                                        ; implicit-def: $vgpr6
; %bb.35:
	s_or_b32 exec_lo, exec_lo, s1
	v_mov_b32_e32 v2, v7
.LBB11_36:
	s_and_saveexec_b32 s1, s0
	s_cbranch_execz .LBB11_38
; %bb.37:
	v_lshlrev_b32_e32 v1, 2, v1
	ds_load_b32 v2, v2
	ds_load_b32 v1, v1
	s_waitcnt lgkmcnt(0)
	v_add_f32_e32 v6, v2, v1
.LBB11_38:
	s_or_b32 exec_lo, exec_lo, s1
	s_delay_alu instid0(SALU_CYCLE_1)
	s_mov_b32 s0, exec_lo
	v_cmpx_gt_u32_e32 28, v0
	s_cbranch_execz .LBB11_42
; %bb.39:
	v_cmp_eq_f32_e64 s0, s2, 0
	v_mul_f32_e32 v1, s10, v6
	s_delay_alu instid0(VALU_DEP_2)
	s_and_b32 vcc_lo, exec_lo, s0
	s_mov_b32 s0, 0
	s_cbranch_vccz .LBB11_43
; %bb.40:
	s_delay_alu instid0(VALU_DEP_1) | instskip(SKIP_1) | instid1(VALU_DEP_1)
	v_mad_u64_u32 v[2:3], null, s8, 28, v[0:1]
	v_mov_b32_e32 v3, 0
	v_lshlrev_b64 v[2:3], 2, v[2:3]
	s_delay_alu instid0(VALU_DEP_1) | instskip(NEXT) | instid1(VALU_DEP_2)
	v_add_co_u32 v2, vcc_lo, s12, v2
	v_add_co_ci_u32_e32 v3, vcc_lo, s13, v3, vcc_lo
	global_store_b32 v[2:3], v1, off
	s_and_not1_b32 vcc_lo, exec_lo, s0
	s_cbranch_vccnz .LBB11_42
.LBB11_41:
	v_mad_u64_u32 v[2:3], null, s8, 28, v[0:1]
	v_mov_b32_e32 v3, 0
	s_delay_alu instid0(VALU_DEP_1) | instskip(NEXT) | instid1(VALU_DEP_1)
	v_lshlrev_b64 v[2:3], 2, v[2:3]
	v_add_co_u32 v2, vcc_lo, s12, v2
	s_delay_alu instid0(VALU_DEP_2)
	v_add_co_ci_u32_e32 v3, vcc_lo, s13, v3, vcc_lo
	global_load_b32 v0, v[2:3], off
	s_waitcnt vmcnt(0)
	v_fmac_f32_e32 v1, s2, v0
	global_store_b32 v[2:3], v1, off
.LBB11_42:
	s_nop 0
	s_sendmsg sendmsg(MSG_DEALLOC_VGPRS)
	s_endpgm
.LBB11_43:
	s_branch .LBB11_41
	.section	.rodata,"a",@progbits
	.p2align	6, 0x0
	.amdhsa_kernel _ZN9rocsparseL20bsrxmvn_17_32_kernelILj28EfiifffEEvT2_20rocsparse_direction_NS_24const_host_device_scalarIT0_EES1_PKS1_PKT1_SA_S7_PKT3_PKT4_S5_PT5_21rocsparse_index_base_b
		.amdhsa_group_segment_fixed_size 3136
		.amdhsa_private_segment_fixed_size 0
		.amdhsa_kernarg_size 96
		.amdhsa_user_sgpr_count 15
		.amdhsa_user_sgpr_dispatch_ptr 0
		.amdhsa_user_sgpr_queue_ptr 0
		.amdhsa_user_sgpr_kernarg_segment_ptr 1
		.amdhsa_user_sgpr_dispatch_id 0
		.amdhsa_user_sgpr_private_segment_size 0
		.amdhsa_wavefront_size32 1
		.amdhsa_uses_dynamic_stack 0
		.amdhsa_enable_private_segment 0
		.amdhsa_system_sgpr_workgroup_id_x 1
		.amdhsa_system_sgpr_workgroup_id_y 0
		.amdhsa_system_sgpr_workgroup_id_z 0
		.amdhsa_system_sgpr_workgroup_info 0
		.amdhsa_system_vgpr_workitem_id 0
		.amdhsa_next_free_vgpr 11
		.amdhsa_next_free_sgpr 18
		.amdhsa_reserve_vcc 1
		.amdhsa_float_round_mode_32 0
		.amdhsa_float_round_mode_16_64 0
		.amdhsa_float_denorm_mode_32 3
		.amdhsa_float_denorm_mode_16_64 3
		.amdhsa_dx10_clamp 1
		.amdhsa_ieee_mode 1
		.amdhsa_fp16_overflow 0
		.amdhsa_workgroup_processor_mode 1
		.amdhsa_memory_ordered 1
		.amdhsa_forward_progress 0
		.amdhsa_shared_vgpr_count 0
		.amdhsa_exception_fp_ieee_invalid_op 0
		.amdhsa_exception_fp_denorm_src 0
		.amdhsa_exception_fp_ieee_div_zero 0
		.amdhsa_exception_fp_ieee_overflow 0
		.amdhsa_exception_fp_ieee_underflow 0
		.amdhsa_exception_fp_ieee_inexact 0
		.amdhsa_exception_int_div_zero 0
	.end_amdhsa_kernel
	.section	.text._ZN9rocsparseL20bsrxmvn_17_32_kernelILj28EfiifffEEvT2_20rocsparse_direction_NS_24const_host_device_scalarIT0_EES1_PKS1_PKT1_SA_S7_PKT3_PKT4_S5_PT5_21rocsparse_index_base_b,"axG",@progbits,_ZN9rocsparseL20bsrxmvn_17_32_kernelILj28EfiifffEEvT2_20rocsparse_direction_NS_24const_host_device_scalarIT0_EES1_PKS1_PKT1_SA_S7_PKT3_PKT4_S5_PT5_21rocsparse_index_base_b,comdat
.Lfunc_end11:
	.size	_ZN9rocsparseL20bsrxmvn_17_32_kernelILj28EfiifffEEvT2_20rocsparse_direction_NS_24const_host_device_scalarIT0_EES1_PKS1_PKT1_SA_S7_PKT3_PKT4_S5_PT5_21rocsparse_index_base_b, .Lfunc_end11-_ZN9rocsparseL20bsrxmvn_17_32_kernelILj28EfiifffEEvT2_20rocsparse_direction_NS_24const_host_device_scalarIT0_EES1_PKS1_PKT1_SA_S7_PKT3_PKT4_S5_PT5_21rocsparse_index_base_b
                                        ; -- End function
	.section	.AMDGPU.csdata,"",@progbits
; Kernel info:
; codeLenInByte = 1520
; NumSgprs: 20
; NumVgprs: 11
; ScratchSize: 0
; MemoryBound: 0
; FloatMode: 240
; IeeeMode: 1
; LDSByteSize: 3136 bytes/workgroup (compile time only)
; SGPRBlocks: 2
; VGPRBlocks: 1
; NumSGPRsForWavesPerEU: 20
; NumVGPRsForWavesPerEU: 11
; Occupancy: 13
; WaveLimiterHint : 1
; COMPUTE_PGM_RSRC2:SCRATCH_EN: 0
; COMPUTE_PGM_RSRC2:USER_SGPR: 15
; COMPUTE_PGM_RSRC2:TRAP_HANDLER: 0
; COMPUTE_PGM_RSRC2:TGID_X_EN: 1
; COMPUTE_PGM_RSRC2:TGID_Y_EN: 0
; COMPUTE_PGM_RSRC2:TGID_Z_EN: 0
; COMPUTE_PGM_RSRC2:TIDIG_COMP_CNT: 0
	.section	.text._ZN9rocsparseL20bsrxmvn_17_32_kernelILj29EfiifffEEvT2_20rocsparse_direction_NS_24const_host_device_scalarIT0_EES1_PKS1_PKT1_SA_S7_PKT3_PKT4_S5_PT5_21rocsparse_index_base_b,"axG",@progbits,_ZN9rocsparseL20bsrxmvn_17_32_kernelILj29EfiifffEEvT2_20rocsparse_direction_NS_24const_host_device_scalarIT0_EES1_PKS1_PKT1_SA_S7_PKT3_PKT4_S5_PT5_21rocsparse_index_base_b,comdat
	.globl	_ZN9rocsparseL20bsrxmvn_17_32_kernelILj29EfiifffEEvT2_20rocsparse_direction_NS_24const_host_device_scalarIT0_EES1_PKS1_PKT1_SA_S7_PKT3_PKT4_S5_PT5_21rocsparse_index_base_b ; -- Begin function _ZN9rocsparseL20bsrxmvn_17_32_kernelILj29EfiifffEEvT2_20rocsparse_direction_NS_24const_host_device_scalarIT0_EES1_PKS1_PKT1_SA_S7_PKT3_PKT4_S5_PT5_21rocsparse_index_base_b
	.p2align	8
	.type	_ZN9rocsparseL20bsrxmvn_17_32_kernelILj29EfiifffEEvT2_20rocsparse_direction_NS_24const_host_device_scalarIT0_EES1_PKS1_PKT1_SA_S7_PKT3_PKT4_S5_PT5_21rocsparse_index_base_b,@function
_ZN9rocsparseL20bsrxmvn_17_32_kernelILj29EfiifffEEvT2_20rocsparse_direction_NS_24const_host_device_scalarIT0_EES1_PKS1_PKT1_SA_S7_PKT3_PKT4_S5_PT5_21rocsparse_index_base_b: ; @_ZN9rocsparseL20bsrxmvn_17_32_kernelILj29EfiifffEEvT2_20rocsparse_direction_NS_24const_host_device_scalarIT0_EES1_PKS1_PKT1_SA_S7_PKT3_PKT4_S5_PT5_21rocsparse_index_base_b
; %bb.0:
	s_mov_b32 s8, s15
	s_clause 0x2
	s_load_b64 s[14:15], s[0:1], 0x58
	s_load_b64 s[10:11], s[0:1], 0x8
	;; [unrolled: 1-line block ×3, first 2 shown]
	s_waitcnt lgkmcnt(0)
	s_bitcmp1_b32 s15, 0
	s_cselect_b32 s4, -1, 0
	s_delay_alu instid0(SALU_CYCLE_1)
	s_and_b32 vcc_lo, exec_lo, s4
	s_xor_b32 s4, s4, -1
	s_cbranch_vccnz .LBB12_2
; %bb.1:
	s_load_b32 s10, s[10:11], 0x0
.LBB12_2:
	s_and_not1_b32 vcc_lo, exec_lo, s4
	s_cbranch_vccnz .LBB12_4
; %bb.3:
	s_load_b32 s2, s[2:3], 0x0
.LBB12_4:
	s_waitcnt lgkmcnt(0)
	v_cmp_neq_f32_e64 s3, s10, 0
	v_cmp_neq_f32_e64 s4, s2, 1.0
	s_delay_alu instid0(VALU_DEP_1) | instskip(NEXT) | instid1(SALU_CYCLE_1)
	s_or_b32 s3, s3, s4
	s_and_not1_b32 vcc_lo, exec_lo, s3
	s_cbranch_vccnz .LBB12_42
; %bb.5:
	s_clause 0x1
	s_load_b128 s[4:7], s[0:1], 0x18
	s_load_b64 s[12:13], s[0:1], 0x28
	s_waitcnt lgkmcnt(0)
	s_cmp_eq_u64 s[4:5], 0
	s_cbranch_scc1 .LBB12_7
; %bb.6:
	s_ashr_i32 s9, s8, 31
	s_delay_alu instid0(SALU_CYCLE_1) | instskip(NEXT) | instid1(SALU_CYCLE_1)
	s_lshl_b64 s[8:9], s[8:9], 2
	s_add_u32 s4, s4, s8
	s_addc_u32 s5, s5, s9
	s_load_b32 s3, s[4:5], 0x0
	s_waitcnt lgkmcnt(0)
	s_sub_i32 s8, s3, s14
.LBB12_7:
	s_load_b32 s3, s[0:1], 0x4
	v_mul_u32_u24_e32 v1, 0x8d4, v0
	v_dual_mov_b32 v6, 0 :: v_dual_lshlrev_b32 v7, 2, v0
	s_delay_alu instid0(VALU_DEP_2) | instskip(NEXT) | instid1(VALU_DEP_1)
	v_lshrrev_b32_e32 v1, 16, v1
	v_mul_lo_u16 v2, v1, 29
	s_delay_alu instid0(VALU_DEP_1)
	v_sub_nc_u16 v8, v0, v2
	s_waitcnt lgkmcnt(0)
	s_cmp_eq_u32 s3, 1
	s_cselect_b32 vcc_lo, -1, 0
	s_cmp_lg_u32 s3, 1
	s_cselect_b32 s3, -1, 0
	s_ashr_i32 s9, s8, 31
	s_delay_alu instid0(SALU_CYCLE_1) | instskip(NEXT) | instid1(SALU_CYCLE_1)
	s_lshl_b64 s[4:5], s[8:9], 2
	s_add_u32 s6, s6, s4
	s_addc_u32 s7, s7, s5
	s_add_u32 s9, s6, 4
	s_addc_u32 s11, s7, 0
	;; [unrolled: 2-line block ×3, first 2 shown]
	s_cmp_eq_u64 s[12:13], 0
	s_load_b64 s[12:13], s[0:1], 0x50
	s_cselect_b32 s5, s11, s5
	s_cselect_b32 s4, s9, s4
	s_load_b32 s9, s[6:7], 0x0
	s_load_b32 s11, s[4:5], 0x0
	s_waitcnt lgkmcnt(0)
	s_cmp_ge_i32 s9, s11
	s_cbranch_scc1 .LBB12_12
; %bb.8:
	s_clause 0x1
	s_load_b128 s[4:7], s[0:1], 0x30
	s_load_b64 s[16:17], s[0:1], 0x40
	v_dual_mov_b32 v6, 0 :: v_dual_and_b32 v1, 0xffff, v1
	v_cmp_gt_u32_e64 s0, 0x349, v0
	v_and_b32_e32 v3, 0xffff, v8
	s_sub_i32 s9, s9, s14
	s_delay_alu instid0(VALU_DEP_3) | instskip(SKIP_2) | instid1(VALU_DEP_1)
	v_subrev_nc_u32_e32 v2, 29, v1
	s_sub_i32 s1, s11, s14
	s_mul_i32 s11, s9, 0xd24
	v_cndmask_b32_e64 v1, v2, v1, s0
	v_lshlrev_b32_e32 v2, 2, v0
	s_mul_hi_i32 s0, s9, 0xd24
	s_delay_alu instid0(VALU_DEP_2)
	v_cndmask_b32_e32 v1, v3, v1, vcc_lo
	v_cmp_lt_u32_e32 vcc_lo, 0x348, v0
	s_waitcnt lgkmcnt(0)
	s_add_u32 s6, s6, s11
	s_addc_u32 s0, s7, s0
	v_add_co_u32 v2, s6, s6, v2
	s_delay_alu instid0(VALU_DEP_1)
	v_add_co_ci_u32_e64 v3, null, s0, 0, s6
	v_cndmask_b32_e64 v9, 0, 1, vcc_lo
	s_set_inst_prefetch_distance 0x1
	s_branch .LBB12_10
	.p2align	6
.LBB12_9:                               ;   in Loop: Header=BB12_10 Depth=1
	s_or_b32 exec_lo, exec_lo, s0
	s_add_i32 s9, s9, 1
	s_delay_alu instid0(SALU_CYCLE_1)
	s_cmp_lt_i32 s9, s1
	s_cbranch_scc0 .LBB12_12
.LBB12_10:                              ; =>This Inner Loop Header: Depth=1
	s_delay_alu instid0(VALU_DEP_1) | instskip(SKIP_1) | instid1(VALU_DEP_1)
	v_add_nc_u32_e32 v4, s9, v9
	s_mov_b32 s0, exec_lo
	v_cmpx_gt_i32_e64 s1, v4
	s_cbranch_execz .LBB12_9
; %bb.11:                               ;   in Loop: Header=BB12_10 Depth=1
	v_ashrrev_i32_e32 v5, 31, v4
	s_delay_alu instid0(VALU_DEP_1) | instskip(NEXT) | instid1(VALU_DEP_1)
	v_lshlrev_b64 v[4:5], 2, v[4:5]
	v_add_co_u32 v4, vcc_lo, s4, v4
	s_delay_alu instid0(VALU_DEP_2) | instskip(SKIP_3) | instid1(VALU_DEP_1)
	v_add_co_ci_u32_e32 v5, vcc_lo, s5, v5, vcc_lo
	global_load_b32 v4, v[4:5], off
	s_waitcnt vmcnt(0)
	v_subrev_nc_u32_e32 v10, s14, v4
	v_mad_u64_u32 v[4:5], null, v10, 29, v[1:2]
	s_delay_alu instid0(VALU_DEP_1) | instskip(NEXT) | instid1(VALU_DEP_1)
	v_ashrrev_i32_e32 v5, 31, v4
	v_lshlrev_b64 v[4:5], 2, v[4:5]
	s_delay_alu instid0(VALU_DEP_1) | instskip(NEXT) | instid1(VALU_DEP_2)
	v_add_co_u32 v4, vcc_lo, s16, v4
	v_add_co_ci_u32_e32 v5, vcc_lo, s17, v5, vcc_lo
	global_load_b32 v10, v[2:3], off
	global_load_b32 v4, v[4:5], off
	v_add_co_u32 v2, vcc_lo, 0xd24, v2
	v_add_co_ci_u32_e32 v3, vcc_lo, 0, v3, vcc_lo
	s_waitcnt vmcnt(0)
	v_fmac_f32_e32 v6, v10, v4
	s_branch .LBB12_9
.LBB12_12:
	s_set_inst_prefetch_distance 0x2
	s_and_b32 vcc_lo, exec_lo, s3
	ds_store_b32 v7, v6
	s_waitcnt lgkmcnt(0)
	s_barrier
	buffer_gl0_inv
	s_cbranch_vccz .LBB12_24
; %bb.13:
	s_mov_b32 s0, exec_lo
	v_cmpx_gt_u16_e32 13, v8
	s_cbranch_execz .LBB12_15
; %bb.14:
	ds_load_2addr_b32 v[1:2], v7 offset1:16
	s_waitcnt lgkmcnt(0)
	v_add_f32_e32 v1, v2, v1
	ds_store_b32 v7, v1
.LBB12_15:
	s_or_b32 exec_lo, exec_lo, s0
	s_delay_alu instid0(SALU_CYCLE_1)
	s_mov_b32 s0, exec_lo
	s_waitcnt lgkmcnt(0)
	s_barrier
	buffer_gl0_inv
	v_cmpx_gt_u16_e32 8, v8
	s_cbranch_execz .LBB12_17
; %bb.16:
	ds_load_2addr_b32 v[1:2], v7 offset1:8
	s_waitcnt lgkmcnt(0)
	v_add_f32_e32 v1, v2, v1
	ds_store_b32 v7, v1
.LBB12_17:
	s_or_b32 exec_lo, exec_lo, s0
	s_delay_alu instid0(SALU_CYCLE_1)
	s_mov_b32 s0, exec_lo
	s_waitcnt lgkmcnt(0)
	s_barrier
	buffer_gl0_inv
	;; [unrolled: 14-line block ×3, first 2 shown]
	v_cmpx_gt_u16_e32 2, v8
	s_cbranch_execz .LBB12_21
; %bb.20:
	ds_load_2addr_b32 v[1:2], v7 offset1:2
	s_waitcnt lgkmcnt(0)
	v_add_f32_e32 v1, v2, v1
	ds_store_b32 v7, v1
.LBB12_21:
	s_or_b32 exec_lo, exec_lo, s0
	s_mov_b32 s1, 0
	s_mov_b32 s0, 0
	s_mov_b32 s3, exec_lo
	s_waitcnt lgkmcnt(0)
	s_barrier
	buffer_gl0_inv
                                        ; implicit-def: $vgpr1
                                        ; implicit-def: $vgpr2
	v_cmpx_gt_u32_e32 29, v0
	s_xor_b32 s3, exec_lo, s3
; %bb.22:
	v_mad_u32_u24 v1, v0, 29, 1
	v_mad_u32_u24 v2, 0x70, v0, v7
	s_mov_b32 s0, exec_lo
; %bb.23:
	s_or_b32 exec_lo, exec_lo, s3
	s_delay_alu instid0(SALU_CYCLE_1)
	s_and_b32 vcc_lo, exec_lo, s1
	s_cbranch_vccnz .LBB12_25
	s_branch .LBB12_36
.LBB12_24:
	s_mov_b32 s0, 0
                                        ; implicit-def: $vgpr1
                                        ; implicit-def: $vgpr2
	s_cbranch_execz .LBB12_36
.LBB12_25:
	s_mov_b32 s1, exec_lo
	v_cmpx_gt_u32_e32 0x179, v0
	s_cbranch_execz .LBB12_27
; %bb.26:
	ds_load_b32 v1, v7 offset:1856
	ds_load_b32 v2, v7
	s_waitcnt lgkmcnt(0)
	v_add_f32_e32 v1, v1, v2
	ds_store_b32 v7, v1
.LBB12_27:
	s_or_b32 exec_lo, exec_lo, s1
	s_delay_alu instid0(SALU_CYCLE_1)
	s_mov_b32 s1, exec_lo
	s_waitcnt lgkmcnt(0)
	s_barrier
	buffer_gl0_inv
	v_cmpx_gt_u32_e32 0xe8, v0
	s_cbranch_execz .LBB12_29
; %bb.28:
	ds_load_2addr_b32 v[1:2], v7 offset1:232
	s_waitcnt lgkmcnt(0)
	v_add_f32_e32 v1, v2, v1
	ds_store_b32 v7, v1
.LBB12_29:
	s_or_b32 exec_lo, exec_lo, s1
	s_delay_alu instid0(SALU_CYCLE_1)
	s_mov_b32 s1, exec_lo
	s_waitcnt lgkmcnt(0)
	s_barrier
	buffer_gl0_inv
	v_cmpx_gt_u32_e32 0x74, v0
	s_cbranch_execz .LBB12_31
; %bb.30:
	ds_load_2addr_b32 v[1:2], v7 offset1:116
	s_waitcnt lgkmcnt(0)
	v_add_f32_e32 v1, v2, v1
	ds_store_b32 v7, v1
.LBB12_31:
	;; [unrolled: 14-line block ×3, first 2 shown]
	s_or_b32 exec_lo, exec_lo, s1
	s_delay_alu instid0(SALU_CYCLE_1)
	s_mov_b32 s1, exec_lo
	s_waitcnt lgkmcnt(0)
	buffer_gl0_inv
                                        ; implicit-def: $vgpr1
	v_cmpx_gt_u32_e32 29, v0
; %bb.34:
	v_add_nc_u32_e32 v1, 29, v0
	s_or_b32 s0, s0, exec_lo
                                        ; implicit-def: $vgpr6
; %bb.35:
	s_or_b32 exec_lo, exec_lo, s1
	v_mov_b32_e32 v2, v7
.LBB12_36:
	s_and_saveexec_b32 s1, s0
	s_cbranch_execz .LBB12_38
; %bb.37:
	v_lshlrev_b32_e32 v1, 2, v1
	ds_load_b32 v2, v2
	ds_load_b32 v1, v1
	s_waitcnt lgkmcnt(0)
	v_add_f32_e32 v6, v2, v1
.LBB12_38:
	s_or_b32 exec_lo, exec_lo, s1
	s_delay_alu instid0(SALU_CYCLE_1)
	s_mov_b32 s0, exec_lo
	v_cmpx_gt_u32_e32 29, v0
	s_cbranch_execz .LBB12_42
; %bb.39:
	v_cmp_eq_f32_e64 s0, s2, 0
	v_mul_f32_e32 v1, s10, v6
	s_delay_alu instid0(VALU_DEP_2)
	s_and_b32 vcc_lo, exec_lo, s0
	s_mov_b32 s0, 0
	s_cbranch_vccz .LBB12_43
; %bb.40:
	s_delay_alu instid0(VALU_DEP_1) | instskip(SKIP_1) | instid1(VALU_DEP_1)
	v_mad_u64_u32 v[2:3], null, s8, 29, v[0:1]
	v_mov_b32_e32 v3, 0
	v_lshlrev_b64 v[2:3], 2, v[2:3]
	s_delay_alu instid0(VALU_DEP_1) | instskip(NEXT) | instid1(VALU_DEP_2)
	v_add_co_u32 v2, vcc_lo, s12, v2
	v_add_co_ci_u32_e32 v3, vcc_lo, s13, v3, vcc_lo
	global_store_b32 v[2:3], v1, off
	s_and_not1_b32 vcc_lo, exec_lo, s0
	s_cbranch_vccnz .LBB12_42
.LBB12_41:
	v_mad_u64_u32 v[2:3], null, s8, 29, v[0:1]
	v_mov_b32_e32 v3, 0
	s_delay_alu instid0(VALU_DEP_1) | instskip(NEXT) | instid1(VALU_DEP_1)
	v_lshlrev_b64 v[2:3], 2, v[2:3]
	v_add_co_u32 v2, vcc_lo, s12, v2
	s_delay_alu instid0(VALU_DEP_2)
	v_add_co_ci_u32_e32 v3, vcc_lo, s13, v3, vcc_lo
	global_load_b32 v0, v[2:3], off
	s_waitcnt vmcnt(0)
	v_fmac_f32_e32 v1, s2, v0
	global_store_b32 v[2:3], v1, off
.LBB12_42:
	s_nop 0
	s_sendmsg sendmsg(MSG_DEALLOC_VGPRS)
	s_endpgm
.LBB12_43:
	s_branch .LBB12_41
	.section	.rodata,"a",@progbits
	.p2align	6, 0x0
	.amdhsa_kernel _ZN9rocsparseL20bsrxmvn_17_32_kernelILj29EfiifffEEvT2_20rocsparse_direction_NS_24const_host_device_scalarIT0_EES1_PKS1_PKT1_SA_S7_PKT3_PKT4_S5_PT5_21rocsparse_index_base_b
		.amdhsa_group_segment_fixed_size 3364
		.amdhsa_private_segment_fixed_size 0
		.amdhsa_kernarg_size 96
		.amdhsa_user_sgpr_count 15
		.amdhsa_user_sgpr_dispatch_ptr 0
		.amdhsa_user_sgpr_queue_ptr 0
		.amdhsa_user_sgpr_kernarg_segment_ptr 1
		.amdhsa_user_sgpr_dispatch_id 0
		.amdhsa_user_sgpr_private_segment_size 0
		.amdhsa_wavefront_size32 1
		.amdhsa_uses_dynamic_stack 0
		.amdhsa_enable_private_segment 0
		.amdhsa_system_sgpr_workgroup_id_x 1
		.amdhsa_system_sgpr_workgroup_id_y 0
		.amdhsa_system_sgpr_workgroup_id_z 0
		.amdhsa_system_sgpr_workgroup_info 0
		.amdhsa_system_vgpr_workitem_id 0
		.amdhsa_next_free_vgpr 11
		.amdhsa_next_free_sgpr 18
		.amdhsa_reserve_vcc 1
		.amdhsa_float_round_mode_32 0
		.amdhsa_float_round_mode_16_64 0
		.amdhsa_float_denorm_mode_32 3
		.amdhsa_float_denorm_mode_16_64 3
		.amdhsa_dx10_clamp 1
		.amdhsa_ieee_mode 1
		.amdhsa_fp16_overflow 0
		.amdhsa_workgroup_processor_mode 1
		.amdhsa_memory_ordered 1
		.amdhsa_forward_progress 0
		.amdhsa_shared_vgpr_count 0
		.amdhsa_exception_fp_ieee_invalid_op 0
		.amdhsa_exception_fp_denorm_src 0
		.amdhsa_exception_fp_ieee_div_zero 0
		.amdhsa_exception_fp_ieee_overflow 0
		.amdhsa_exception_fp_ieee_underflow 0
		.amdhsa_exception_fp_ieee_inexact 0
		.amdhsa_exception_int_div_zero 0
	.end_amdhsa_kernel
	.section	.text._ZN9rocsparseL20bsrxmvn_17_32_kernelILj29EfiifffEEvT2_20rocsparse_direction_NS_24const_host_device_scalarIT0_EES1_PKS1_PKT1_SA_S7_PKT3_PKT4_S5_PT5_21rocsparse_index_base_b,"axG",@progbits,_ZN9rocsparseL20bsrxmvn_17_32_kernelILj29EfiifffEEvT2_20rocsparse_direction_NS_24const_host_device_scalarIT0_EES1_PKS1_PKT1_SA_S7_PKT3_PKT4_S5_PT5_21rocsparse_index_base_b,comdat
.Lfunc_end12:
	.size	_ZN9rocsparseL20bsrxmvn_17_32_kernelILj29EfiifffEEvT2_20rocsparse_direction_NS_24const_host_device_scalarIT0_EES1_PKS1_PKT1_SA_S7_PKT3_PKT4_S5_PT5_21rocsparse_index_base_b, .Lfunc_end12-_ZN9rocsparseL20bsrxmvn_17_32_kernelILj29EfiifffEEvT2_20rocsparse_direction_NS_24const_host_device_scalarIT0_EES1_PKS1_PKT1_SA_S7_PKT3_PKT4_S5_PT5_21rocsparse_index_base_b
                                        ; -- End function
	.section	.AMDGPU.csdata,"",@progbits
; Kernel info:
; codeLenInByte = 1524
; NumSgprs: 20
; NumVgprs: 11
; ScratchSize: 0
; MemoryBound: 0
; FloatMode: 240
; IeeeMode: 1
; LDSByteSize: 3364 bytes/workgroup (compile time only)
; SGPRBlocks: 2
; VGPRBlocks: 1
; NumSGPRsForWavesPerEU: 20
; NumVGPRsForWavesPerEU: 11
; Occupancy: 14
; WaveLimiterHint : 1
; COMPUTE_PGM_RSRC2:SCRATCH_EN: 0
; COMPUTE_PGM_RSRC2:USER_SGPR: 15
; COMPUTE_PGM_RSRC2:TRAP_HANDLER: 0
; COMPUTE_PGM_RSRC2:TGID_X_EN: 1
; COMPUTE_PGM_RSRC2:TGID_Y_EN: 0
; COMPUTE_PGM_RSRC2:TGID_Z_EN: 0
; COMPUTE_PGM_RSRC2:TIDIG_COMP_CNT: 0
	.section	.text._ZN9rocsparseL20bsrxmvn_17_32_kernelILj30EfiifffEEvT2_20rocsparse_direction_NS_24const_host_device_scalarIT0_EES1_PKS1_PKT1_SA_S7_PKT3_PKT4_S5_PT5_21rocsparse_index_base_b,"axG",@progbits,_ZN9rocsparseL20bsrxmvn_17_32_kernelILj30EfiifffEEvT2_20rocsparse_direction_NS_24const_host_device_scalarIT0_EES1_PKS1_PKT1_SA_S7_PKT3_PKT4_S5_PT5_21rocsparse_index_base_b,comdat
	.globl	_ZN9rocsparseL20bsrxmvn_17_32_kernelILj30EfiifffEEvT2_20rocsparse_direction_NS_24const_host_device_scalarIT0_EES1_PKS1_PKT1_SA_S7_PKT3_PKT4_S5_PT5_21rocsparse_index_base_b ; -- Begin function _ZN9rocsparseL20bsrxmvn_17_32_kernelILj30EfiifffEEvT2_20rocsparse_direction_NS_24const_host_device_scalarIT0_EES1_PKS1_PKT1_SA_S7_PKT3_PKT4_S5_PT5_21rocsparse_index_base_b
	.p2align	8
	.type	_ZN9rocsparseL20bsrxmvn_17_32_kernelILj30EfiifffEEvT2_20rocsparse_direction_NS_24const_host_device_scalarIT0_EES1_PKS1_PKT1_SA_S7_PKT3_PKT4_S5_PT5_21rocsparse_index_base_b,@function
_ZN9rocsparseL20bsrxmvn_17_32_kernelILj30EfiifffEEvT2_20rocsparse_direction_NS_24const_host_device_scalarIT0_EES1_PKS1_PKT1_SA_S7_PKT3_PKT4_S5_PT5_21rocsparse_index_base_b: ; @_ZN9rocsparseL20bsrxmvn_17_32_kernelILj30EfiifffEEvT2_20rocsparse_direction_NS_24const_host_device_scalarIT0_EES1_PKS1_PKT1_SA_S7_PKT3_PKT4_S5_PT5_21rocsparse_index_base_b
; %bb.0:
	s_mov_b32 s8, s15
	s_clause 0x2
	s_load_b64 s[14:15], s[0:1], 0x58
	s_load_b64 s[10:11], s[0:1], 0x8
	;; [unrolled: 1-line block ×3, first 2 shown]
	s_waitcnt lgkmcnt(0)
	s_bitcmp1_b32 s15, 0
	s_cselect_b32 s4, -1, 0
	s_delay_alu instid0(SALU_CYCLE_1)
	s_and_b32 vcc_lo, exec_lo, s4
	s_xor_b32 s4, s4, -1
	s_cbranch_vccnz .LBB13_2
; %bb.1:
	s_load_b32 s10, s[10:11], 0x0
.LBB13_2:
	s_and_not1_b32 vcc_lo, exec_lo, s4
	s_cbranch_vccnz .LBB13_4
; %bb.3:
	s_load_b32 s2, s[2:3], 0x0
.LBB13_4:
	s_waitcnt lgkmcnt(0)
	v_cmp_neq_f32_e64 s3, s10, 0
	v_cmp_neq_f32_e64 s4, s2, 1.0
	s_delay_alu instid0(VALU_DEP_1) | instskip(NEXT) | instid1(SALU_CYCLE_1)
	s_or_b32 s3, s3, s4
	s_and_not1_b32 vcc_lo, exec_lo, s3
	s_cbranch_vccnz .LBB13_42
; %bb.5:
	s_clause 0x1
	s_load_b128 s[4:7], s[0:1], 0x18
	s_load_b64 s[12:13], s[0:1], 0x28
	s_waitcnt lgkmcnt(0)
	s_cmp_eq_u64 s[4:5], 0
	s_cbranch_scc1 .LBB13_7
; %bb.6:
	s_ashr_i32 s9, s8, 31
	s_delay_alu instid0(SALU_CYCLE_1) | instskip(NEXT) | instid1(SALU_CYCLE_1)
	s_lshl_b64 s[8:9], s[8:9], 2
	s_add_u32 s4, s4, s8
	s_addc_u32 s5, s5, s9
	s_load_b32 s3, s[4:5], 0x0
	s_waitcnt lgkmcnt(0)
	s_sub_i32 s8, s3, s14
.LBB13_7:
	s_load_b32 s3, s[0:1], 0x4
	v_mul_u32_u24_e32 v1, 0x889, v0
	v_dual_mov_b32 v6, 0 :: v_dual_lshlrev_b32 v7, 2, v0
	s_delay_alu instid0(VALU_DEP_2) | instskip(NEXT) | instid1(VALU_DEP_1)
	v_lshrrev_b32_e32 v1, 16, v1
	v_mul_lo_u16 v2, v1, 30
	s_delay_alu instid0(VALU_DEP_1)
	v_sub_nc_u16 v8, v0, v2
	s_waitcnt lgkmcnt(0)
	s_cmp_eq_u32 s3, 1
	s_cselect_b32 vcc_lo, -1, 0
	s_cmp_lg_u32 s3, 1
	s_cselect_b32 s3, -1, 0
	s_ashr_i32 s9, s8, 31
	s_delay_alu instid0(SALU_CYCLE_1) | instskip(NEXT) | instid1(SALU_CYCLE_1)
	s_lshl_b64 s[4:5], s[8:9], 2
	s_add_u32 s6, s6, s4
	s_addc_u32 s7, s7, s5
	s_add_u32 s9, s6, 4
	s_addc_u32 s11, s7, 0
	;; [unrolled: 2-line block ×3, first 2 shown]
	s_cmp_eq_u64 s[12:13], 0
	s_load_b64 s[12:13], s[0:1], 0x50
	s_cselect_b32 s5, s11, s5
	s_cselect_b32 s4, s9, s4
	s_load_b32 s9, s[6:7], 0x0
	s_load_b32 s11, s[4:5], 0x0
	s_waitcnt lgkmcnt(0)
	s_cmp_ge_i32 s9, s11
	s_cbranch_scc1 .LBB13_12
; %bb.8:
	s_clause 0x1
	s_load_b128 s[4:7], s[0:1], 0x30
	s_load_b64 s[16:17], s[0:1], 0x40
	v_dual_mov_b32 v6, 0 :: v_dual_and_b32 v1, 0xffff, v1
	v_cmp_gt_u32_e64 s0, 0x384, v0
	v_and_b32_e32 v3, 0xffff, v8
	s_sub_i32 s9, s9, s14
	s_delay_alu instid0(VALU_DEP_3) | instskip(SKIP_2) | instid1(VALU_DEP_1)
	v_subrev_nc_u32_e32 v2, 30, v1
	s_sub_i32 s1, s11, s14
	s_mul_i32 s11, s9, 0xe10
	v_cndmask_b32_e64 v1, v2, v1, s0
	v_lshlrev_b32_e32 v2, 2, v0
	s_mul_hi_i32 s0, s9, 0xe10
	s_delay_alu instid0(VALU_DEP_2)
	v_cndmask_b32_e32 v1, v3, v1, vcc_lo
	v_cmp_lt_u32_e32 vcc_lo, 0x383, v0
	s_waitcnt lgkmcnt(0)
	s_add_u32 s6, s6, s11
	s_addc_u32 s0, s7, s0
	v_add_co_u32 v2, s6, s6, v2
	s_delay_alu instid0(VALU_DEP_1)
	v_add_co_ci_u32_e64 v3, null, s0, 0, s6
	v_cndmask_b32_e64 v9, 0, 1, vcc_lo
	s_set_inst_prefetch_distance 0x1
	s_branch .LBB13_10
	.p2align	6
.LBB13_9:                               ;   in Loop: Header=BB13_10 Depth=1
	s_or_b32 exec_lo, exec_lo, s0
	s_add_i32 s9, s9, 1
	s_delay_alu instid0(SALU_CYCLE_1)
	s_cmp_lt_i32 s9, s1
	s_cbranch_scc0 .LBB13_12
.LBB13_10:                              ; =>This Inner Loop Header: Depth=1
	s_delay_alu instid0(VALU_DEP_1) | instskip(SKIP_1) | instid1(VALU_DEP_1)
	v_add_nc_u32_e32 v4, s9, v9
	s_mov_b32 s0, exec_lo
	v_cmpx_gt_i32_e64 s1, v4
	s_cbranch_execz .LBB13_9
; %bb.11:                               ;   in Loop: Header=BB13_10 Depth=1
	v_ashrrev_i32_e32 v5, 31, v4
	s_delay_alu instid0(VALU_DEP_1) | instskip(NEXT) | instid1(VALU_DEP_1)
	v_lshlrev_b64 v[4:5], 2, v[4:5]
	v_add_co_u32 v4, vcc_lo, s4, v4
	s_delay_alu instid0(VALU_DEP_2) | instskip(SKIP_3) | instid1(VALU_DEP_1)
	v_add_co_ci_u32_e32 v5, vcc_lo, s5, v5, vcc_lo
	global_load_b32 v4, v[4:5], off
	s_waitcnt vmcnt(0)
	v_subrev_nc_u32_e32 v10, s14, v4
	v_mad_u64_u32 v[4:5], null, v10, 30, v[1:2]
	s_delay_alu instid0(VALU_DEP_1) | instskip(NEXT) | instid1(VALU_DEP_1)
	v_ashrrev_i32_e32 v5, 31, v4
	v_lshlrev_b64 v[4:5], 2, v[4:5]
	s_delay_alu instid0(VALU_DEP_1) | instskip(NEXT) | instid1(VALU_DEP_2)
	v_add_co_u32 v4, vcc_lo, s16, v4
	v_add_co_ci_u32_e32 v5, vcc_lo, s17, v5, vcc_lo
	global_load_b32 v10, v[2:3], off
	global_load_b32 v4, v[4:5], off
	v_add_co_u32 v2, vcc_lo, 0xe10, v2
	v_add_co_ci_u32_e32 v3, vcc_lo, 0, v3, vcc_lo
	s_waitcnt vmcnt(0)
	v_fmac_f32_e32 v6, v10, v4
	s_branch .LBB13_9
.LBB13_12:
	s_set_inst_prefetch_distance 0x2
	s_and_b32 vcc_lo, exec_lo, s3
	ds_store_b32 v7, v6
	s_waitcnt lgkmcnt(0)
	s_barrier
	buffer_gl0_inv
	s_cbranch_vccz .LBB13_24
; %bb.13:
	s_mov_b32 s0, exec_lo
	v_cmpx_gt_u16_e32 14, v8
	s_cbranch_execz .LBB13_15
; %bb.14:
	ds_load_2addr_b32 v[1:2], v7 offset1:16
	s_waitcnt lgkmcnt(0)
	v_add_f32_e32 v1, v2, v1
	ds_store_b32 v7, v1
.LBB13_15:
	s_or_b32 exec_lo, exec_lo, s0
	s_delay_alu instid0(SALU_CYCLE_1)
	s_mov_b32 s0, exec_lo
	s_waitcnt lgkmcnt(0)
	s_barrier
	buffer_gl0_inv
	v_cmpx_gt_u16_e32 8, v8
	s_cbranch_execz .LBB13_17
; %bb.16:
	ds_load_2addr_b32 v[1:2], v7 offset1:8
	s_waitcnt lgkmcnt(0)
	v_add_f32_e32 v1, v2, v1
	ds_store_b32 v7, v1
.LBB13_17:
	s_or_b32 exec_lo, exec_lo, s0
	s_delay_alu instid0(SALU_CYCLE_1)
	s_mov_b32 s0, exec_lo
	s_waitcnt lgkmcnt(0)
	s_barrier
	buffer_gl0_inv
	;; [unrolled: 14-line block ×3, first 2 shown]
	v_cmpx_gt_u16_e32 2, v8
	s_cbranch_execz .LBB13_21
; %bb.20:
	ds_load_2addr_b32 v[1:2], v7 offset1:2
	s_waitcnt lgkmcnt(0)
	v_add_f32_e32 v1, v2, v1
	ds_store_b32 v7, v1
.LBB13_21:
	s_or_b32 exec_lo, exec_lo, s0
	s_mov_b32 s1, 0
	s_mov_b32 s0, 0
	s_mov_b32 s3, exec_lo
	s_waitcnt lgkmcnt(0)
	s_barrier
	buffer_gl0_inv
                                        ; implicit-def: $vgpr1
                                        ; implicit-def: $vgpr2
	v_cmpx_gt_u32_e32 30, v0
	s_xor_b32 s3, exec_lo, s3
; %bb.22:
	v_mul_u32_u24_e32 v1, 30, v0
	v_mad_u32_u24 v2, 0x74, v0, v7
	s_mov_b32 s0, exec_lo
	s_delay_alu instid0(VALU_DEP_2)
	v_or_b32_e32 v1, 1, v1
; %bb.23:
	s_or_b32 exec_lo, exec_lo, s3
	s_delay_alu instid0(SALU_CYCLE_1)
	s_and_b32 vcc_lo, exec_lo, s1
	s_cbranch_vccnz .LBB13_25
	s_branch .LBB13_36
.LBB13_24:
	s_mov_b32 s0, 0
                                        ; implicit-def: $vgpr1
                                        ; implicit-def: $vgpr2
	s_cbranch_execz .LBB13_36
.LBB13_25:
	s_mov_b32 s1, exec_lo
	v_cmpx_gt_u32_e32 0x1a4, v0
	s_cbranch_execz .LBB13_27
; %bb.26:
	ds_load_b32 v1, v7 offset:1920
	ds_load_b32 v2, v7
	s_waitcnt lgkmcnt(0)
	v_add_f32_e32 v1, v1, v2
	ds_store_b32 v7, v1
.LBB13_27:
	s_or_b32 exec_lo, exec_lo, s1
	s_delay_alu instid0(SALU_CYCLE_1)
	s_mov_b32 s1, exec_lo
	s_waitcnt lgkmcnt(0)
	s_barrier
	buffer_gl0_inv
	v_cmpx_gt_u32_e32 0xf0, v0
	s_cbranch_execz .LBB13_29
; %bb.28:
	ds_load_2addr_b32 v[1:2], v7 offset1:240
	s_waitcnt lgkmcnt(0)
	v_add_f32_e32 v1, v2, v1
	ds_store_b32 v7, v1
.LBB13_29:
	s_or_b32 exec_lo, exec_lo, s1
	s_delay_alu instid0(SALU_CYCLE_1)
	s_mov_b32 s1, exec_lo
	s_waitcnt lgkmcnt(0)
	s_barrier
	buffer_gl0_inv
	v_cmpx_gt_u32_e32 0x78, v0
	s_cbranch_execz .LBB13_31
; %bb.30:
	ds_load_2addr_b32 v[1:2], v7 offset1:120
	s_waitcnt lgkmcnt(0)
	v_add_f32_e32 v1, v2, v1
	ds_store_b32 v7, v1
.LBB13_31:
	s_or_b32 exec_lo, exec_lo, s1
	s_delay_alu instid0(SALU_CYCLE_1)
	s_mov_b32 s1, exec_lo
	s_waitcnt lgkmcnt(0)
	s_barrier
	buffer_gl0_inv
	v_cmpx_gt_u32_e32 60, v0
	s_cbranch_execz .LBB13_33
; %bb.32:
	ds_load_2addr_b32 v[1:2], v7 offset1:60
	s_waitcnt lgkmcnt(0)
	v_add_f32_e32 v1, v2, v1
	ds_store_b32 v7, v1
.LBB13_33:
	s_or_b32 exec_lo, exec_lo, s1
	s_delay_alu instid0(SALU_CYCLE_1)
	s_mov_b32 s1, exec_lo
	s_waitcnt lgkmcnt(0)
	buffer_gl0_inv
                                        ; implicit-def: $vgpr1
	v_cmpx_gt_u32_e32 30, v0
; %bb.34:
	v_add_nc_u32_e32 v1, 30, v0
	s_or_b32 s0, s0, exec_lo
                                        ; implicit-def: $vgpr6
; %bb.35:
	s_or_b32 exec_lo, exec_lo, s1
	v_mov_b32_e32 v2, v7
.LBB13_36:
	s_and_saveexec_b32 s1, s0
	s_cbranch_execz .LBB13_38
; %bb.37:
	v_lshlrev_b32_e32 v1, 2, v1
	ds_load_b32 v2, v2
	ds_load_b32 v1, v1
	s_waitcnt lgkmcnt(0)
	v_add_f32_e32 v6, v2, v1
.LBB13_38:
	s_or_b32 exec_lo, exec_lo, s1
	s_delay_alu instid0(SALU_CYCLE_1)
	s_mov_b32 s0, exec_lo
	v_cmpx_gt_u32_e32 30, v0
	s_cbranch_execz .LBB13_42
; %bb.39:
	v_cmp_eq_f32_e64 s0, s2, 0
	v_mul_f32_e32 v1, s10, v6
	s_delay_alu instid0(VALU_DEP_2)
	s_and_b32 vcc_lo, exec_lo, s0
	s_mov_b32 s0, 0
	s_cbranch_vccz .LBB13_43
; %bb.40:
	s_delay_alu instid0(VALU_DEP_1) | instskip(SKIP_1) | instid1(VALU_DEP_1)
	v_mad_u64_u32 v[2:3], null, s8, 30, v[0:1]
	v_mov_b32_e32 v3, 0
	v_lshlrev_b64 v[2:3], 2, v[2:3]
	s_delay_alu instid0(VALU_DEP_1) | instskip(NEXT) | instid1(VALU_DEP_2)
	v_add_co_u32 v2, vcc_lo, s12, v2
	v_add_co_ci_u32_e32 v3, vcc_lo, s13, v3, vcc_lo
	global_store_b32 v[2:3], v1, off
	s_and_not1_b32 vcc_lo, exec_lo, s0
	s_cbranch_vccnz .LBB13_42
.LBB13_41:
	v_mad_u64_u32 v[2:3], null, s8, 30, v[0:1]
	v_mov_b32_e32 v3, 0
	s_delay_alu instid0(VALU_DEP_1) | instskip(NEXT) | instid1(VALU_DEP_1)
	v_lshlrev_b64 v[2:3], 2, v[2:3]
	v_add_co_u32 v2, vcc_lo, s12, v2
	s_delay_alu instid0(VALU_DEP_2)
	v_add_co_ci_u32_e32 v3, vcc_lo, s13, v3, vcc_lo
	global_load_b32 v0, v[2:3], off
	s_waitcnt vmcnt(0)
	v_fmac_f32_e32 v1, s2, v0
	global_store_b32 v[2:3], v1, off
.LBB13_42:
	s_nop 0
	s_sendmsg sendmsg(MSG_DEALLOC_VGPRS)
	s_endpgm
.LBB13_43:
	s_branch .LBB13_41
	.section	.rodata,"a",@progbits
	.p2align	6, 0x0
	.amdhsa_kernel _ZN9rocsparseL20bsrxmvn_17_32_kernelILj30EfiifffEEvT2_20rocsparse_direction_NS_24const_host_device_scalarIT0_EES1_PKS1_PKT1_SA_S7_PKT3_PKT4_S5_PT5_21rocsparse_index_base_b
		.amdhsa_group_segment_fixed_size 3600
		.amdhsa_private_segment_fixed_size 0
		.amdhsa_kernarg_size 96
		.amdhsa_user_sgpr_count 15
		.amdhsa_user_sgpr_dispatch_ptr 0
		.amdhsa_user_sgpr_queue_ptr 0
		.amdhsa_user_sgpr_kernarg_segment_ptr 1
		.amdhsa_user_sgpr_dispatch_id 0
		.amdhsa_user_sgpr_private_segment_size 0
		.amdhsa_wavefront_size32 1
		.amdhsa_uses_dynamic_stack 0
		.amdhsa_enable_private_segment 0
		.amdhsa_system_sgpr_workgroup_id_x 1
		.amdhsa_system_sgpr_workgroup_id_y 0
		.amdhsa_system_sgpr_workgroup_id_z 0
		.amdhsa_system_sgpr_workgroup_info 0
		.amdhsa_system_vgpr_workitem_id 0
		.amdhsa_next_free_vgpr 11
		.amdhsa_next_free_sgpr 18
		.amdhsa_reserve_vcc 1
		.amdhsa_float_round_mode_32 0
		.amdhsa_float_round_mode_16_64 0
		.amdhsa_float_denorm_mode_32 3
		.amdhsa_float_denorm_mode_16_64 3
		.amdhsa_dx10_clamp 1
		.amdhsa_ieee_mode 1
		.amdhsa_fp16_overflow 0
		.amdhsa_workgroup_processor_mode 1
		.amdhsa_memory_ordered 1
		.amdhsa_forward_progress 0
		.amdhsa_shared_vgpr_count 0
		.amdhsa_exception_fp_ieee_invalid_op 0
		.amdhsa_exception_fp_denorm_src 0
		.amdhsa_exception_fp_ieee_div_zero 0
		.amdhsa_exception_fp_ieee_overflow 0
		.amdhsa_exception_fp_ieee_underflow 0
		.amdhsa_exception_fp_ieee_inexact 0
		.amdhsa_exception_int_div_zero 0
	.end_amdhsa_kernel
	.section	.text._ZN9rocsparseL20bsrxmvn_17_32_kernelILj30EfiifffEEvT2_20rocsparse_direction_NS_24const_host_device_scalarIT0_EES1_PKS1_PKT1_SA_S7_PKT3_PKT4_S5_PT5_21rocsparse_index_base_b,"axG",@progbits,_ZN9rocsparseL20bsrxmvn_17_32_kernelILj30EfiifffEEvT2_20rocsparse_direction_NS_24const_host_device_scalarIT0_EES1_PKS1_PKT1_SA_S7_PKT3_PKT4_S5_PT5_21rocsparse_index_base_b,comdat
.Lfunc_end13:
	.size	_ZN9rocsparseL20bsrxmvn_17_32_kernelILj30EfiifffEEvT2_20rocsparse_direction_NS_24const_host_device_scalarIT0_EES1_PKS1_PKT1_SA_S7_PKT3_PKT4_S5_PT5_21rocsparse_index_base_b, .Lfunc_end13-_ZN9rocsparseL20bsrxmvn_17_32_kernelILj30EfiifffEEvT2_20rocsparse_direction_NS_24const_host_device_scalarIT0_EES1_PKS1_PKT1_SA_S7_PKT3_PKT4_S5_PT5_21rocsparse_index_base_b
                                        ; -- End function
	.section	.AMDGPU.csdata,"",@progbits
; Kernel info:
; codeLenInByte = 1528
; NumSgprs: 20
; NumVgprs: 11
; ScratchSize: 0
; MemoryBound: 0
; FloatMode: 240
; IeeeMode: 1
; LDSByteSize: 3600 bytes/workgroup (compile time only)
; SGPRBlocks: 2
; VGPRBlocks: 1
; NumSGPRsForWavesPerEU: 20
; NumVGPRsForWavesPerEU: 11
; Occupancy: 15
; WaveLimiterHint : 1
; COMPUTE_PGM_RSRC2:SCRATCH_EN: 0
; COMPUTE_PGM_RSRC2:USER_SGPR: 15
; COMPUTE_PGM_RSRC2:TRAP_HANDLER: 0
; COMPUTE_PGM_RSRC2:TGID_X_EN: 1
; COMPUTE_PGM_RSRC2:TGID_Y_EN: 0
; COMPUTE_PGM_RSRC2:TGID_Z_EN: 0
; COMPUTE_PGM_RSRC2:TIDIG_COMP_CNT: 0
	.section	.text._ZN9rocsparseL20bsrxmvn_17_32_kernelILj31EfiifffEEvT2_20rocsparse_direction_NS_24const_host_device_scalarIT0_EES1_PKS1_PKT1_SA_S7_PKT3_PKT4_S5_PT5_21rocsparse_index_base_b,"axG",@progbits,_ZN9rocsparseL20bsrxmvn_17_32_kernelILj31EfiifffEEvT2_20rocsparse_direction_NS_24const_host_device_scalarIT0_EES1_PKS1_PKT1_SA_S7_PKT3_PKT4_S5_PT5_21rocsparse_index_base_b,comdat
	.globl	_ZN9rocsparseL20bsrxmvn_17_32_kernelILj31EfiifffEEvT2_20rocsparse_direction_NS_24const_host_device_scalarIT0_EES1_PKS1_PKT1_SA_S7_PKT3_PKT4_S5_PT5_21rocsparse_index_base_b ; -- Begin function _ZN9rocsparseL20bsrxmvn_17_32_kernelILj31EfiifffEEvT2_20rocsparse_direction_NS_24const_host_device_scalarIT0_EES1_PKS1_PKT1_SA_S7_PKT3_PKT4_S5_PT5_21rocsparse_index_base_b
	.p2align	8
	.type	_ZN9rocsparseL20bsrxmvn_17_32_kernelILj31EfiifffEEvT2_20rocsparse_direction_NS_24const_host_device_scalarIT0_EES1_PKS1_PKT1_SA_S7_PKT3_PKT4_S5_PT5_21rocsparse_index_base_b,@function
_ZN9rocsparseL20bsrxmvn_17_32_kernelILj31EfiifffEEvT2_20rocsparse_direction_NS_24const_host_device_scalarIT0_EES1_PKS1_PKT1_SA_S7_PKT3_PKT4_S5_PT5_21rocsparse_index_base_b: ; @_ZN9rocsparseL20bsrxmvn_17_32_kernelILj31EfiifffEEvT2_20rocsparse_direction_NS_24const_host_device_scalarIT0_EES1_PKS1_PKT1_SA_S7_PKT3_PKT4_S5_PT5_21rocsparse_index_base_b
; %bb.0:
	s_mov_b32 s8, s15
	s_clause 0x2
	s_load_b64 s[14:15], s[0:1], 0x58
	s_load_b64 s[10:11], s[0:1], 0x8
	;; [unrolled: 1-line block ×3, first 2 shown]
	s_waitcnt lgkmcnt(0)
	s_bitcmp1_b32 s15, 0
	s_cselect_b32 s4, -1, 0
	s_delay_alu instid0(SALU_CYCLE_1)
	s_and_b32 vcc_lo, exec_lo, s4
	s_xor_b32 s4, s4, -1
	s_cbranch_vccnz .LBB14_2
; %bb.1:
	s_load_b32 s10, s[10:11], 0x0
.LBB14_2:
	s_and_not1_b32 vcc_lo, exec_lo, s4
	s_cbranch_vccnz .LBB14_4
; %bb.3:
	s_load_b32 s2, s[2:3], 0x0
.LBB14_4:
	s_waitcnt lgkmcnt(0)
	v_cmp_neq_f32_e64 s3, s10, 0
	v_cmp_neq_f32_e64 s4, s2, 1.0
	s_delay_alu instid0(VALU_DEP_1) | instskip(NEXT) | instid1(SALU_CYCLE_1)
	s_or_b32 s3, s3, s4
	s_and_not1_b32 vcc_lo, exec_lo, s3
	s_cbranch_vccnz .LBB14_42
; %bb.5:
	s_clause 0x1
	s_load_b128 s[4:7], s[0:1], 0x18
	s_load_b64 s[12:13], s[0:1], 0x28
	s_waitcnt lgkmcnt(0)
	s_cmp_eq_u64 s[4:5], 0
	s_cbranch_scc1 .LBB14_7
; %bb.6:
	s_ashr_i32 s9, s8, 31
	s_delay_alu instid0(SALU_CYCLE_1) | instskip(NEXT) | instid1(SALU_CYCLE_1)
	s_lshl_b64 s[8:9], s[8:9], 2
	s_add_u32 s4, s4, s8
	s_addc_u32 s5, s5, s9
	s_load_b32 s3, s[4:5], 0x0
	s_waitcnt lgkmcnt(0)
	s_sub_i32 s8, s3, s14
.LBB14_7:
	s_load_b32 s3, s[0:1], 0x4
	v_mul_u32_u24_e32 v1, 0x843, v0
	v_dual_mov_b32 v6, 0 :: v_dual_lshlrev_b32 v7, 2, v0
	s_delay_alu instid0(VALU_DEP_2) | instskip(NEXT) | instid1(VALU_DEP_1)
	v_lshrrev_b32_e32 v1, 16, v1
	v_mul_lo_u16 v2, v1, 31
	s_delay_alu instid0(VALU_DEP_1)
	v_sub_nc_u16 v8, v0, v2
	s_waitcnt lgkmcnt(0)
	s_cmp_eq_u32 s3, 1
	s_cselect_b32 vcc_lo, -1, 0
	s_cmp_lg_u32 s3, 1
	s_cselect_b32 s3, -1, 0
	s_ashr_i32 s9, s8, 31
	s_delay_alu instid0(SALU_CYCLE_1) | instskip(NEXT) | instid1(SALU_CYCLE_1)
	s_lshl_b64 s[4:5], s[8:9], 2
	s_add_u32 s6, s6, s4
	s_addc_u32 s7, s7, s5
	s_add_u32 s9, s6, 4
	s_addc_u32 s11, s7, 0
	;; [unrolled: 2-line block ×3, first 2 shown]
	s_cmp_eq_u64 s[12:13], 0
	s_load_b64 s[12:13], s[0:1], 0x50
	s_cselect_b32 s5, s11, s5
	s_cselect_b32 s4, s9, s4
	s_load_b32 s9, s[6:7], 0x0
	s_load_b32 s11, s[4:5], 0x0
	s_waitcnt lgkmcnt(0)
	s_cmp_ge_i32 s9, s11
	s_cbranch_scc1 .LBB14_12
; %bb.8:
	s_clause 0x1
	s_load_b128 s[4:7], s[0:1], 0x30
	s_load_b64 s[16:17], s[0:1], 0x40
	v_dual_mov_b32 v6, 0 :: v_dual_and_b32 v1, 0xffff, v1
	v_cmp_gt_u32_e64 s0, 0x3c1, v0
	v_and_b32_e32 v3, 0xffff, v8
	s_sub_i32 s9, s9, s14
	s_delay_alu instid0(VALU_DEP_3) | instskip(SKIP_2) | instid1(VALU_DEP_1)
	v_subrev_nc_u32_e32 v2, 31, v1
	s_sub_i32 s1, s11, s14
	s_mul_i32 s11, s9, 0xf04
	v_cndmask_b32_e64 v1, v2, v1, s0
	v_lshlrev_b32_e32 v2, 2, v0
	s_mul_hi_i32 s0, s9, 0xf04
	s_delay_alu instid0(VALU_DEP_2)
	v_cndmask_b32_e32 v1, v3, v1, vcc_lo
	v_cmp_lt_u32_e32 vcc_lo, 0x3c0, v0
	s_waitcnt lgkmcnt(0)
	s_add_u32 s6, s6, s11
	s_addc_u32 s0, s7, s0
	v_add_co_u32 v2, s6, s6, v2
	s_delay_alu instid0(VALU_DEP_1)
	v_add_co_ci_u32_e64 v3, null, s0, 0, s6
	v_cndmask_b32_e64 v9, 0, 1, vcc_lo
	s_set_inst_prefetch_distance 0x1
	s_branch .LBB14_10
	.p2align	6
.LBB14_9:                               ;   in Loop: Header=BB14_10 Depth=1
	s_or_b32 exec_lo, exec_lo, s0
	s_add_i32 s9, s9, 1
	s_delay_alu instid0(SALU_CYCLE_1)
	s_cmp_lt_i32 s9, s1
	s_cbranch_scc0 .LBB14_12
.LBB14_10:                              ; =>This Inner Loop Header: Depth=1
	s_delay_alu instid0(VALU_DEP_1) | instskip(SKIP_1) | instid1(VALU_DEP_1)
	v_add_nc_u32_e32 v4, s9, v9
	s_mov_b32 s0, exec_lo
	v_cmpx_gt_i32_e64 s1, v4
	s_cbranch_execz .LBB14_9
; %bb.11:                               ;   in Loop: Header=BB14_10 Depth=1
	v_ashrrev_i32_e32 v5, 31, v4
	s_delay_alu instid0(VALU_DEP_1) | instskip(NEXT) | instid1(VALU_DEP_1)
	v_lshlrev_b64 v[4:5], 2, v[4:5]
	v_add_co_u32 v4, vcc_lo, s4, v4
	s_delay_alu instid0(VALU_DEP_2) | instskip(SKIP_3) | instid1(VALU_DEP_1)
	v_add_co_ci_u32_e32 v5, vcc_lo, s5, v5, vcc_lo
	global_load_b32 v4, v[4:5], off
	s_waitcnt vmcnt(0)
	v_subrev_nc_u32_e32 v10, s14, v4
	v_mad_u64_u32 v[4:5], null, v10, 31, v[1:2]
	s_delay_alu instid0(VALU_DEP_1) | instskip(NEXT) | instid1(VALU_DEP_1)
	v_ashrrev_i32_e32 v5, 31, v4
	v_lshlrev_b64 v[4:5], 2, v[4:5]
	s_delay_alu instid0(VALU_DEP_1) | instskip(NEXT) | instid1(VALU_DEP_2)
	v_add_co_u32 v4, vcc_lo, s16, v4
	v_add_co_ci_u32_e32 v5, vcc_lo, s17, v5, vcc_lo
	global_load_b32 v10, v[2:3], off
	global_load_b32 v4, v[4:5], off
	v_add_co_u32 v2, vcc_lo, 0xf04, v2
	v_add_co_ci_u32_e32 v3, vcc_lo, 0, v3, vcc_lo
	s_waitcnt vmcnt(0)
	v_fmac_f32_e32 v6, v10, v4
	s_branch .LBB14_9
.LBB14_12:
	s_set_inst_prefetch_distance 0x2
	s_and_b32 vcc_lo, exec_lo, s3
	ds_store_b32 v7, v6
	s_waitcnt lgkmcnt(0)
	s_barrier
	buffer_gl0_inv
	s_cbranch_vccz .LBB14_24
; %bb.13:
	s_mov_b32 s0, exec_lo
	v_cmpx_gt_u16_e32 15, v8
	s_cbranch_execz .LBB14_15
; %bb.14:
	ds_load_2addr_b32 v[1:2], v7 offset1:16
	s_waitcnt lgkmcnt(0)
	v_add_f32_e32 v1, v2, v1
	ds_store_b32 v7, v1
.LBB14_15:
	s_or_b32 exec_lo, exec_lo, s0
	s_delay_alu instid0(SALU_CYCLE_1)
	s_mov_b32 s0, exec_lo
	s_waitcnt lgkmcnt(0)
	s_barrier
	buffer_gl0_inv
	v_cmpx_gt_u16_e32 8, v8
	s_cbranch_execz .LBB14_17
; %bb.16:
	ds_load_2addr_b32 v[1:2], v7 offset1:8
	s_waitcnt lgkmcnt(0)
	v_add_f32_e32 v1, v2, v1
	ds_store_b32 v7, v1
.LBB14_17:
	s_or_b32 exec_lo, exec_lo, s0
	s_delay_alu instid0(SALU_CYCLE_1)
	s_mov_b32 s0, exec_lo
	s_waitcnt lgkmcnt(0)
	s_barrier
	buffer_gl0_inv
	;; [unrolled: 14-line block ×3, first 2 shown]
	v_cmpx_gt_u16_e32 2, v8
	s_cbranch_execz .LBB14_21
; %bb.20:
	ds_load_2addr_b32 v[1:2], v7 offset1:2
	s_waitcnt lgkmcnt(0)
	v_add_f32_e32 v1, v2, v1
	ds_store_b32 v7, v1
.LBB14_21:
	s_or_b32 exec_lo, exec_lo, s0
	s_mov_b32 s1, 0
	s_mov_b32 s0, 0
	s_mov_b32 s3, exec_lo
	s_waitcnt lgkmcnt(0)
	s_barrier
	buffer_gl0_inv
                                        ; implicit-def: $vgpr1
                                        ; implicit-def: $vgpr2
	v_cmpx_gt_u32_e32 31, v0
	s_xor_b32 s3, exec_lo, s3
; %bb.22:
	v_mad_u32_u24 v1, v0, 31, 1
	v_mad_u32_u24 v2, 0x78, v0, v7
	s_mov_b32 s0, exec_lo
; %bb.23:
	s_or_b32 exec_lo, exec_lo, s3
	s_delay_alu instid0(SALU_CYCLE_1)
	s_and_b32 vcc_lo, exec_lo, s1
	s_cbranch_vccnz .LBB14_25
	s_branch .LBB14_36
.LBB14_24:
	s_mov_b32 s0, 0
                                        ; implicit-def: $vgpr1
                                        ; implicit-def: $vgpr2
	s_cbranch_execz .LBB14_36
.LBB14_25:
	s_mov_b32 s1, exec_lo
	v_cmpx_gt_u32_e32 0x1d1, v0
	s_cbranch_execz .LBB14_27
; %bb.26:
	ds_load_b32 v1, v7 offset:1984
	ds_load_b32 v2, v7
	s_waitcnt lgkmcnt(0)
	v_add_f32_e32 v1, v1, v2
	ds_store_b32 v7, v1
.LBB14_27:
	s_or_b32 exec_lo, exec_lo, s1
	s_delay_alu instid0(SALU_CYCLE_1)
	s_mov_b32 s1, exec_lo
	s_waitcnt lgkmcnt(0)
	s_barrier
	buffer_gl0_inv
	v_cmpx_gt_u32_e32 0xf8, v0
	s_cbranch_execz .LBB14_29
; %bb.28:
	ds_load_2addr_b32 v[1:2], v7 offset1:248
	s_waitcnt lgkmcnt(0)
	v_add_f32_e32 v1, v2, v1
	ds_store_b32 v7, v1
.LBB14_29:
	s_or_b32 exec_lo, exec_lo, s1
	s_delay_alu instid0(SALU_CYCLE_1)
	s_mov_b32 s1, exec_lo
	s_waitcnt lgkmcnt(0)
	s_barrier
	buffer_gl0_inv
	v_cmpx_gt_u32_e32 0x7c, v0
	s_cbranch_execz .LBB14_31
; %bb.30:
	ds_load_2addr_b32 v[1:2], v7 offset1:124
	s_waitcnt lgkmcnt(0)
	v_add_f32_e32 v1, v2, v1
	ds_store_b32 v7, v1
.LBB14_31:
	s_or_b32 exec_lo, exec_lo, s1
	s_delay_alu instid0(SALU_CYCLE_1)
	s_mov_b32 s1, exec_lo
	s_waitcnt lgkmcnt(0)
	s_barrier
	buffer_gl0_inv
	v_cmpx_gt_u32_e32 62, v0
	s_cbranch_execz .LBB14_33
; %bb.32:
	ds_load_2addr_b32 v[1:2], v7 offset1:62
	s_waitcnt lgkmcnt(0)
	v_add_f32_e32 v1, v2, v1
	ds_store_b32 v7, v1
.LBB14_33:
	s_or_b32 exec_lo, exec_lo, s1
	s_delay_alu instid0(SALU_CYCLE_1)
	s_mov_b32 s1, exec_lo
	s_waitcnt lgkmcnt(0)
	buffer_gl0_inv
                                        ; implicit-def: $vgpr1
	v_cmpx_gt_u32_e32 31, v0
; %bb.34:
	v_add_nc_u32_e32 v1, 31, v0
	s_or_b32 s0, s0, exec_lo
                                        ; implicit-def: $vgpr6
; %bb.35:
	s_or_b32 exec_lo, exec_lo, s1
	v_mov_b32_e32 v2, v7
.LBB14_36:
	s_and_saveexec_b32 s1, s0
	s_cbranch_execz .LBB14_38
; %bb.37:
	v_lshlrev_b32_e32 v1, 2, v1
	ds_load_b32 v2, v2
	ds_load_b32 v1, v1
	s_waitcnt lgkmcnt(0)
	v_add_f32_e32 v6, v2, v1
.LBB14_38:
	s_or_b32 exec_lo, exec_lo, s1
	s_delay_alu instid0(SALU_CYCLE_1)
	s_mov_b32 s0, exec_lo
	v_cmpx_gt_u32_e32 31, v0
	s_cbranch_execz .LBB14_42
; %bb.39:
	v_cmp_eq_f32_e64 s0, s2, 0
	v_mul_f32_e32 v1, s10, v6
	s_delay_alu instid0(VALU_DEP_2)
	s_and_b32 vcc_lo, exec_lo, s0
	s_mov_b32 s0, 0
	s_cbranch_vccz .LBB14_43
; %bb.40:
	s_delay_alu instid0(VALU_DEP_1) | instskip(SKIP_1) | instid1(VALU_DEP_1)
	v_mad_u64_u32 v[2:3], null, s8, 31, v[0:1]
	v_mov_b32_e32 v3, 0
	v_lshlrev_b64 v[2:3], 2, v[2:3]
	s_delay_alu instid0(VALU_DEP_1) | instskip(NEXT) | instid1(VALU_DEP_2)
	v_add_co_u32 v2, vcc_lo, s12, v2
	v_add_co_ci_u32_e32 v3, vcc_lo, s13, v3, vcc_lo
	global_store_b32 v[2:3], v1, off
	s_and_not1_b32 vcc_lo, exec_lo, s0
	s_cbranch_vccnz .LBB14_42
.LBB14_41:
	v_mad_u64_u32 v[2:3], null, s8, 31, v[0:1]
	v_mov_b32_e32 v3, 0
	s_delay_alu instid0(VALU_DEP_1) | instskip(NEXT) | instid1(VALU_DEP_1)
	v_lshlrev_b64 v[2:3], 2, v[2:3]
	v_add_co_u32 v2, vcc_lo, s12, v2
	s_delay_alu instid0(VALU_DEP_2)
	v_add_co_ci_u32_e32 v3, vcc_lo, s13, v3, vcc_lo
	global_load_b32 v0, v[2:3], off
	s_waitcnt vmcnt(0)
	v_fmac_f32_e32 v1, s2, v0
	global_store_b32 v[2:3], v1, off
.LBB14_42:
	s_nop 0
	s_sendmsg sendmsg(MSG_DEALLOC_VGPRS)
	s_endpgm
.LBB14_43:
	s_branch .LBB14_41
	.section	.rodata,"a",@progbits
	.p2align	6, 0x0
	.amdhsa_kernel _ZN9rocsparseL20bsrxmvn_17_32_kernelILj31EfiifffEEvT2_20rocsparse_direction_NS_24const_host_device_scalarIT0_EES1_PKS1_PKT1_SA_S7_PKT3_PKT4_S5_PT5_21rocsparse_index_base_b
		.amdhsa_group_segment_fixed_size 3844
		.amdhsa_private_segment_fixed_size 0
		.amdhsa_kernarg_size 96
		.amdhsa_user_sgpr_count 15
		.amdhsa_user_sgpr_dispatch_ptr 0
		.amdhsa_user_sgpr_queue_ptr 0
		.amdhsa_user_sgpr_kernarg_segment_ptr 1
		.amdhsa_user_sgpr_dispatch_id 0
		.amdhsa_user_sgpr_private_segment_size 0
		.amdhsa_wavefront_size32 1
		.amdhsa_uses_dynamic_stack 0
		.amdhsa_enable_private_segment 0
		.amdhsa_system_sgpr_workgroup_id_x 1
		.amdhsa_system_sgpr_workgroup_id_y 0
		.amdhsa_system_sgpr_workgroup_id_z 0
		.amdhsa_system_sgpr_workgroup_info 0
		.amdhsa_system_vgpr_workitem_id 0
		.amdhsa_next_free_vgpr 11
		.amdhsa_next_free_sgpr 18
		.amdhsa_reserve_vcc 1
		.amdhsa_float_round_mode_32 0
		.amdhsa_float_round_mode_16_64 0
		.amdhsa_float_denorm_mode_32 3
		.amdhsa_float_denorm_mode_16_64 3
		.amdhsa_dx10_clamp 1
		.amdhsa_ieee_mode 1
		.amdhsa_fp16_overflow 0
		.amdhsa_workgroup_processor_mode 1
		.amdhsa_memory_ordered 1
		.amdhsa_forward_progress 0
		.amdhsa_shared_vgpr_count 0
		.amdhsa_exception_fp_ieee_invalid_op 0
		.amdhsa_exception_fp_denorm_src 0
		.amdhsa_exception_fp_ieee_div_zero 0
		.amdhsa_exception_fp_ieee_overflow 0
		.amdhsa_exception_fp_ieee_underflow 0
		.amdhsa_exception_fp_ieee_inexact 0
		.amdhsa_exception_int_div_zero 0
	.end_amdhsa_kernel
	.section	.text._ZN9rocsparseL20bsrxmvn_17_32_kernelILj31EfiifffEEvT2_20rocsparse_direction_NS_24const_host_device_scalarIT0_EES1_PKS1_PKT1_SA_S7_PKT3_PKT4_S5_PT5_21rocsparse_index_base_b,"axG",@progbits,_ZN9rocsparseL20bsrxmvn_17_32_kernelILj31EfiifffEEvT2_20rocsparse_direction_NS_24const_host_device_scalarIT0_EES1_PKS1_PKT1_SA_S7_PKT3_PKT4_S5_PT5_21rocsparse_index_base_b,comdat
.Lfunc_end14:
	.size	_ZN9rocsparseL20bsrxmvn_17_32_kernelILj31EfiifffEEvT2_20rocsparse_direction_NS_24const_host_device_scalarIT0_EES1_PKS1_PKT1_SA_S7_PKT3_PKT4_S5_PT5_21rocsparse_index_base_b, .Lfunc_end14-_ZN9rocsparseL20bsrxmvn_17_32_kernelILj31EfiifffEEvT2_20rocsparse_direction_NS_24const_host_device_scalarIT0_EES1_PKS1_PKT1_SA_S7_PKT3_PKT4_S5_PT5_21rocsparse_index_base_b
                                        ; -- End function
	.section	.AMDGPU.csdata,"",@progbits
; Kernel info:
; codeLenInByte = 1524
; NumSgprs: 20
; NumVgprs: 11
; ScratchSize: 0
; MemoryBound: 0
; FloatMode: 240
; IeeeMode: 1
; LDSByteSize: 3844 bytes/workgroup (compile time only)
; SGPRBlocks: 2
; VGPRBlocks: 1
; NumSGPRsForWavesPerEU: 20
; NumVGPRsForWavesPerEU: 11
; Occupancy: 16
; WaveLimiterHint : 1
; COMPUTE_PGM_RSRC2:SCRATCH_EN: 0
; COMPUTE_PGM_RSRC2:USER_SGPR: 15
; COMPUTE_PGM_RSRC2:TRAP_HANDLER: 0
; COMPUTE_PGM_RSRC2:TGID_X_EN: 1
; COMPUTE_PGM_RSRC2:TGID_Y_EN: 0
; COMPUTE_PGM_RSRC2:TGID_Z_EN: 0
; COMPUTE_PGM_RSRC2:TIDIG_COMP_CNT: 0
	.section	.text._ZN9rocsparseL20bsrxmvn_17_32_kernelILj32EfiifffEEvT2_20rocsparse_direction_NS_24const_host_device_scalarIT0_EES1_PKS1_PKT1_SA_S7_PKT3_PKT4_S5_PT5_21rocsparse_index_base_b,"axG",@progbits,_ZN9rocsparseL20bsrxmvn_17_32_kernelILj32EfiifffEEvT2_20rocsparse_direction_NS_24const_host_device_scalarIT0_EES1_PKS1_PKT1_SA_S7_PKT3_PKT4_S5_PT5_21rocsparse_index_base_b,comdat
	.globl	_ZN9rocsparseL20bsrxmvn_17_32_kernelILj32EfiifffEEvT2_20rocsparse_direction_NS_24const_host_device_scalarIT0_EES1_PKS1_PKT1_SA_S7_PKT3_PKT4_S5_PT5_21rocsparse_index_base_b ; -- Begin function _ZN9rocsparseL20bsrxmvn_17_32_kernelILj32EfiifffEEvT2_20rocsparse_direction_NS_24const_host_device_scalarIT0_EES1_PKS1_PKT1_SA_S7_PKT3_PKT4_S5_PT5_21rocsparse_index_base_b
	.p2align	8
	.type	_ZN9rocsparseL20bsrxmvn_17_32_kernelILj32EfiifffEEvT2_20rocsparse_direction_NS_24const_host_device_scalarIT0_EES1_PKS1_PKT1_SA_S7_PKT3_PKT4_S5_PT5_21rocsparse_index_base_b,@function
_ZN9rocsparseL20bsrxmvn_17_32_kernelILj32EfiifffEEvT2_20rocsparse_direction_NS_24const_host_device_scalarIT0_EES1_PKS1_PKT1_SA_S7_PKT3_PKT4_S5_PT5_21rocsparse_index_base_b: ; @_ZN9rocsparseL20bsrxmvn_17_32_kernelILj32EfiifffEEvT2_20rocsparse_direction_NS_24const_host_device_scalarIT0_EES1_PKS1_PKT1_SA_S7_PKT3_PKT4_S5_PT5_21rocsparse_index_base_b
; %bb.0:
	s_clause 0x2
	s_load_b64 s[12:13], s[0:1], 0x58
	s_load_b64 s[10:11], s[0:1], 0x8
	;; [unrolled: 1-line block ×3, first 2 shown]
	s_mov_b32 s8, s15
	s_waitcnt lgkmcnt(0)
	s_bitcmp1_b32 s13, 0
	s_cselect_b32 s4, -1, 0
	s_delay_alu instid0(SALU_CYCLE_1)
	s_and_b32 vcc_lo, exec_lo, s4
	s_xor_b32 s4, s4, -1
	s_cbranch_vccnz .LBB15_2
; %bb.1:
	s_load_b32 s10, s[10:11], 0x0
.LBB15_2:
	s_and_not1_b32 vcc_lo, exec_lo, s4
	s_cbranch_vccnz .LBB15_4
; %bb.3:
	s_load_b32 s2, s[2:3], 0x0
.LBB15_4:
	s_waitcnt lgkmcnt(0)
	v_cmp_neq_f32_e64 s3, s10, 0
	v_cmp_neq_f32_e64 s4, s2, 1.0
	s_delay_alu instid0(VALU_DEP_1) | instskip(NEXT) | instid1(SALU_CYCLE_1)
	s_or_b32 s3, s3, s4
	s_and_not1_b32 vcc_lo, exec_lo, s3
	s_cbranch_vccnz .LBB15_40
; %bb.5:
	s_clause 0x1
	s_load_b128 s[4:7], s[0:1], 0x18
	s_load_b64 s[14:15], s[0:1], 0x28
	s_waitcnt lgkmcnt(0)
	s_cmp_eq_u64 s[4:5], 0
	s_cbranch_scc1 .LBB15_7
; %bb.6:
	s_ashr_i32 s9, s8, 31
	s_delay_alu instid0(SALU_CYCLE_1) | instskip(NEXT) | instid1(SALU_CYCLE_1)
	s_lshl_b64 s[8:9], s[8:9], 2
	s_add_u32 s4, s4, s8
	s_addc_u32 s5, s5, s9
	s_load_b32 s3, s[4:5], 0x0
	s_waitcnt lgkmcnt(0)
	s_sub_i32 s8, s3, s12
.LBB15_7:
	s_load_b32 s3, s[0:1], 0x4
	v_dual_mov_b32 v3, 0 :: v_dual_and_b32 v4, 31, v0
	s_waitcnt lgkmcnt(0)
	s_cmp_eq_u32 s3, 1
	s_cselect_b32 vcc_lo, -1, 0
	s_cmp_lg_u32 s3, 1
	s_cselect_b32 s3, -1, 0
	s_ashr_i32 s9, s8, 31
	s_delay_alu instid0(SALU_CYCLE_1) | instskip(NEXT) | instid1(SALU_CYCLE_1)
	s_lshl_b64 s[4:5], s[8:9], 2
	s_add_u32 s6, s6, s4
	s_addc_u32 s7, s7, s5
	s_add_u32 s9, s6, 4
	s_addc_u32 s11, s7, 0
	;; [unrolled: 2-line block ×3, first 2 shown]
	s_cmp_eq_u64 s[14:15], 0
	s_cselect_b32 s5, s11, s5
	s_cselect_b32 s4, s9, s4
	s_load_b32 s6, s[6:7], 0x0
	s_load_b32 s9, s[4:5], 0x0
	s_load_b64 s[4:5], s[0:1], 0x50
	s_waitcnt lgkmcnt(0)
	s_cmp_ge_i32 s6, s9
	s_cbranch_scc1 .LBB15_10
; %bb.8:
	s_clause 0x1
	s_load_b128 s[16:19], s[0:1], 0x30
	s_load_b64 s[0:1], s[0:1], 0x40
	s_sub_i32 s6, s6, s12
	v_lshrrev_b32_e32 v1, 5, v0
	s_ashr_i32 s7, s6, 31
	s_delay_alu instid0(SALU_CYCLE_1)
	s_lshl_b64 s[14:15], s[6:7], 12
	s_lshl_b64 s[20:21], s[6:7], 2
	v_lshl_or_b32 v2, v0, 2, s14
	v_mov_b32_e32 v3, s15
	v_cndmask_b32_e32 v5, v4, v1, vcc_lo
	s_sub_i32 s7, s9, s12
	s_waitcnt lgkmcnt(0)
	v_add_co_u32 v1, vcc_lo, s18, v2
	v_add_co_ci_u32_e32 v2, vcc_lo, s19, v3, vcc_lo
	v_mov_b32_e32 v3, 0
	s_add_u32 s14, s16, s20
	s_addc_u32 s15, s17, s21
	.p2align	6
.LBB15_9:                               ; =>This Inner Loop Header: Depth=1
	s_load_b32 s9, s[14:15], 0x0
	s_add_i32 s6, s6, 1
	s_waitcnt lgkmcnt(0)
	s_sub_i32 s9, s9, s12
	s_add_u32 s14, s14, 4
	v_lshl_or_b32 v6, s9, 5, v5
	s_addc_u32 s15, s15, 0
	s_cmp_lt_i32 s6, s7
	s_delay_alu instid0(VALU_DEP_1) | instskip(NEXT) | instid1(VALU_DEP_1)
	v_ashrrev_i32_e32 v7, 31, v6
	v_lshlrev_b64 v[6:7], 2, v[6:7]
	s_delay_alu instid0(VALU_DEP_1) | instskip(NEXT) | instid1(VALU_DEP_2)
	v_add_co_u32 v6, vcc_lo, s0, v6
	v_add_co_ci_u32_e32 v7, vcc_lo, s1, v7, vcc_lo
	global_load_b32 v8, v[1:2], off
	global_load_b32 v6, v[6:7], off
	v_add_co_u32 v1, vcc_lo, 0x1000, v1
	v_add_co_ci_u32_e32 v2, vcc_lo, 0, v2, vcc_lo
	s_waitcnt vmcnt(0)
	v_fmac_f32_e32 v3, v8, v6
	s_cbranch_scc1 .LBB15_9
.LBB15_10:
	v_lshlrev_b32_e32 v1, 2, v0
	s_and_b32 vcc_lo, exec_lo, s3
	ds_store_b32 v1, v3
	s_waitcnt lgkmcnt(0)
	s_barrier
	buffer_gl0_inv
	s_cbranch_vccz .LBB15_22
; %bb.11:
	s_mov_b32 s0, exec_lo
	v_cmpx_gt_u32_e32 16, v4
	s_cbranch_execz .LBB15_13
; %bb.12:
	ds_load_2addr_b32 v[5:6], v1 offset1:16
	s_waitcnt lgkmcnt(0)
	v_add_f32_e32 v2, v6, v5
	ds_store_b32 v1, v2
.LBB15_13:
	s_or_b32 exec_lo, exec_lo, s0
	s_delay_alu instid0(SALU_CYCLE_1)
	s_mov_b32 s0, exec_lo
	s_waitcnt lgkmcnt(0)
	s_barrier
	buffer_gl0_inv
	v_cmpx_gt_u32_e32 8, v4
	s_cbranch_execz .LBB15_15
; %bb.14:
	ds_load_2addr_b32 v[5:6], v1 offset1:8
	s_waitcnt lgkmcnt(0)
	v_add_f32_e32 v2, v6, v5
	ds_store_b32 v1, v2
.LBB15_15:
	s_or_b32 exec_lo, exec_lo, s0
	s_delay_alu instid0(SALU_CYCLE_1)
	s_mov_b32 s0, exec_lo
	s_waitcnt lgkmcnt(0)
	s_barrier
	buffer_gl0_inv
	;; [unrolled: 14-line block ×3, first 2 shown]
	v_cmpx_gt_u32_e32 2, v4
	s_cbranch_execz .LBB15_19
; %bb.18:
	ds_load_2addr_b32 v[4:5], v1 offset1:2
	s_waitcnt lgkmcnt(0)
	v_add_f32_e32 v2, v5, v4
	ds_store_b32 v1, v2
.LBB15_19:
	s_or_b32 exec_lo, exec_lo, s0
	s_mov_b32 s1, 0
	s_mov_b32 s0, 0
	s_mov_b32 s3, exec_lo
	s_waitcnt lgkmcnt(0)
	s_barrier
	buffer_gl0_inv
                                        ; implicit-def: $vgpr2
                                        ; implicit-def: $vgpr4
	v_cmpx_gt_u32_e32 32, v0
	s_xor_b32 s3, exec_lo, s3
; %bb.20:
	v_lshl_or_b32 v2, v0, 5, 1
	v_mad_u32_u24 v4, 0x7c, v0, v1
	s_mov_b32 s0, exec_lo
; %bb.21:
	s_or_b32 exec_lo, exec_lo, s3
	s_delay_alu instid0(SALU_CYCLE_1)
	s_and_b32 vcc_lo, exec_lo, s1
	s_cbranch_vccnz .LBB15_23
	s_branch .LBB15_34
.LBB15_22:
	s_mov_b32 s0, 0
                                        ; implicit-def: $vgpr2
                                        ; implicit-def: $vgpr4
	s_cbranch_execz .LBB15_34
.LBB15_23:
	s_mov_b32 s1, exec_lo
	v_cmpx_gt_u32_e32 0x200, v0
	s_cbranch_execz .LBB15_25
; %bb.24:
	ds_load_2addr_stride64_b32 v[4:5], v1 offset1:8
	s_waitcnt lgkmcnt(0)
	v_add_f32_e32 v2, v5, v4
	ds_store_b32 v1, v2
.LBB15_25:
	s_or_b32 exec_lo, exec_lo, s1
	s_delay_alu instid0(SALU_CYCLE_1)
	s_mov_b32 s1, exec_lo
	s_waitcnt lgkmcnt(0)
	s_barrier
	buffer_gl0_inv
	v_cmpx_gt_u32_e32 0x100, v0
	s_cbranch_execz .LBB15_27
; %bb.26:
	ds_load_2addr_stride64_b32 v[4:5], v1 offset1:4
	s_waitcnt lgkmcnt(0)
	v_add_f32_e32 v2, v5, v4
	ds_store_b32 v1, v2
.LBB15_27:
	s_or_b32 exec_lo, exec_lo, s1
	s_delay_alu instid0(SALU_CYCLE_1)
	s_mov_b32 s1, exec_lo
	s_waitcnt lgkmcnt(0)
	s_barrier
	buffer_gl0_inv
	;; [unrolled: 14-line block ×3, first 2 shown]
	v_cmpx_gt_u32_e32 64, v0
	s_cbranch_execz .LBB15_31
; %bb.30:
	ds_load_2addr_stride64_b32 v[4:5], v1 offset1:1
	s_waitcnt lgkmcnt(0)
	v_add_f32_e32 v2, v5, v4
	ds_store_b32 v1, v2
.LBB15_31:
	s_or_b32 exec_lo, exec_lo, s1
	s_delay_alu instid0(SALU_CYCLE_1)
	s_mov_b32 s1, exec_lo
	s_waitcnt lgkmcnt(0)
	buffer_gl0_inv
                                        ; implicit-def: $vgpr2
	v_cmpx_gt_u32_e32 32, v0
; %bb.32:
	v_or_b32_e32 v2, 32, v0
	s_or_b32 s0, s0, exec_lo
                                        ; implicit-def: $vgpr3
; %bb.33:
	s_or_b32 exec_lo, exec_lo, s1
	v_mov_b32_e32 v4, v1
.LBB15_34:
	s_and_saveexec_b32 s1, s0
	s_cbranch_execz .LBB15_36
; %bb.35:
	v_lshlrev_b32_e32 v1, 2, v2
	ds_load_b32 v2, v4
	ds_load_b32 v1, v1
	s_waitcnt lgkmcnt(0)
	v_add_f32_e32 v3, v2, v1
.LBB15_36:
	s_or_b32 exec_lo, exec_lo, s1
	s_delay_alu instid0(SALU_CYCLE_1)
	s_mov_b32 s0, exec_lo
	v_cmpx_gt_u32_e32 32, v0
	s_cbranch_execz .LBB15_40
; %bb.37:
	v_cmp_eq_f32_e64 s0, s2, 0
	v_mul_f32_e32 v2, s10, v3
	v_lshl_or_b32 v0, s8, 5, v0
	s_delay_alu instid0(VALU_DEP_3)
	s_and_b32 vcc_lo, exec_lo, s0
	s_mov_b32 s0, 0
	s_cbranch_vccz .LBB15_41
; %bb.38:
	v_mov_b32_e32 v1, 0
	s_delay_alu instid0(VALU_DEP_1) | instskip(NEXT) | instid1(VALU_DEP_1)
	v_lshlrev_b64 v[3:4], 2, v[0:1]
	v_add_co_u32 v3, vcc_lo, s4, v3
	s_delay_alu instid0(VALU_DEP_2)
	v_add_co_ci_u32_e32 v4, vcc_lo, s5, v4, vcc_lo
	global_store_b32 v[3:4], v2, off
	s_and_not1_b32 vcc_lo, exec_lo, s0
	s_cbranch_vccnz .LBB15_40
.LBB15_39:
	v_mov_b32_e32 v1, 0
	s_delay_alu instid0(VALU_DEP_1) | instskip(NEXT) | instid1(VALU_DEP_1)
	v_lshlrev_b64 v[0:1], 2, v[0:1]
	v_add_co_u32 v0, vcc_lo, s4, v0
	s_delay_alu instid0(VALU_DEP_2)
	v_add_co_ci_u32_e32 v1, vcc_lo, s5, v1, vcc_lo
	global_load_b32 v3, v[0:1], off
	s_waitcnt vmcnt(0)
	v_fmac_f32_e32 v2, s2, v3
	global_store_b32 v[0:1], v2, off
.LBB15_40:
	s_nop 0
	s_sendmsg sendmsg(MSG_DEALLOC_VGPRS)
	s_endpgm
.LBB15_41:
	s_branch .LBB15_39
	.section	.rodata,"a",@progbits
	.p2align	6, 0x0
	.amdhsa_kernel _ZN9rocsparseL20bsrxmvn_17_32_kernelILj32EfiifffEEvT2_20rocsparse_direction_NS_24const_host_device_scalarIT0_EES1_PKS1_PKT1_SA_S7_PKT3_PKT4_S5_PT5_21rocsparse_index_base_b
		.amdhsa_group_segment_fixed_size 4096
		.amdhsa_private_segment_fixed_size 0
		.amdhsa_kernarg_size 96
		.amdhsa_user_sgpr_count 15
		.amdhsa_user_sgpr_dispatch_ptr 0
		.amdhsa_user_sgpr_queue_ptr 0
		.amdhsa_user_sgpr_kernarg_segment_ptr 1
		.amdhsa_user_sgpr_dispatch_id 0
		.amdhsa_user_sgpr_private_segment_size 0
		.amdhsa_wavefront_size32 1
		.amdhsa_uses_dynamic_stack 0
		.amdhsa_enable_private_segment 0
		.amdhsa_system_sgpr_workgroup_id_x 1
		.amdhsa_system_sgpr_workgroup_id_y 0
		.amdhsa_system_sgpr_workgroup_id_z 0
		.amdhsa_system_sgpr_workgroup_info 0
		.amdhsa_system_vgpr_workitem_id 0
		.amdhsa_next_free_vgpr 9
		.amdhsa_next_free_sgpr 22
		.amdhsa_reserve_vcc 1
		.amdhsa_float_round_mode_32 0
		.amdhsa_float_round_mode_16_64 0
		.amdhsa_float_denorm_mode_32 3
		.amdhsa_float_denorm_mode_16_64 3
		.amdhsa_dx10_clamp 1
		.amdhsa_ieee_mode 1
		.amdhsa_fp16_overflow 0
		.amdhsa_workgroup_processor_mode 1
		.amdhsa_memory_ordered 1
		.amdhsa_forward_progress 0
		.amdhsa_shared_vgpr_count 0
		.amdhsa_exception_fp_ieee_invalid_op 0
		.amdhsa_exception_fp_denorm_src 0
		.amdhsa_exception_fp_ieee_div_zero 0
		.amdhsa_exception_fp_ieee_overflow 0
		.amdhsa_exception_fp_ieee_underflow 0
		.amdhsa_exception_fp_ieee_inexact 0
		.amdhsa_exception_int_div_zero 0
	.end_amdhsa_kernel
	.section	.text._ZN9rocsparseL20bsrxmvn_17_32_kernelILj32EfiifffEEvT2_20rocsparse_direction_NS_24const_host_device_scalarIT0_EES1_PKS1_PKT1_SA_S7_PKT3_PKT4_S5_PT5_21rocsparse_index_base_b,"axG",@progbits,_ZN9rocsparseL20bsrxmvn_17_32_kernelILj32EfiifffEEvT2_20rocsparse_direction_NS_24const_host_device_scalarIT0_EES1_PKS1_PKT1_SA_S7_PKT3_PKT4_S5_PT5_21rocsparse_index_base_b,comdat
.Lfunc_end15:
	.size	_ZN9rocsparseL20bsrxmvn_17_32_kernelILj32EfiifffEEvT2_20rocsparse_direction_NS_24const_host_device_scalarIT0_EES1_PKS1_PKT1_SA_S7_PKT3_PKT4_S5_PT5_21rocsparse_index_base_b, .Lfunc_end15-_ZN9rocsparseL20bsrxmvn_17_32_kernelILj32EfiifffEEvT2_20rocsparse_direction_NS_24const_host_device_scalarIT0_EES1_PKS1_PKT1_SA_S7_PKT3_PKT4_S5_PT5_21rocsparse_index_base_b
                                        ; -- End function
	.section	.AMDGPU.csdata,"",@progbits
; Kernel info:
; codeLenInByte = 1344
; NumSgprs: 24
; NumVgprs: 9
; ScratchSize: 0
; MemoryBound: 0
; FloatMode: 240
; IeeeMode: 1
; LDSByteSize: 4096 bytes/workgroup (compile time only)
; SGPRBlocks: 2
; VGPRBlocks: 1
; NumSGPRsForWavesPerEU: 24
; NumVGPRsForWavesPerEU: 9
; Occupancy: 16
; WaveLimiterHint : 1
; COMPUTE_PGM_RSRC2:SCRATCH_EN: 0
; COMPUTE_PGM_RSRC2:USER_SGPR: 15
; COMPUTE_PGM_RSRC2:TRAP_HANDLER: 0
; COMPUTE_PGM_RSRC2:TGID_X_EN: 1
; COMPUTE_PGM_RSRC2:TGID_Y_EN: 0
; COMPUTE_PGM_RSRC2:TGID_Z_EN: 0
; COMPUTE_PGM_RSRC2:TIDIG_COMP_CNT: 0
	.section	.text._ZN9rocsparseL20bsrxmvn_17_32_kernelILj17EdiidddEEvT2_20rocsparse_direction_NS_24const_host_device_scalarIT0_EES1_PKS1_PKT1_SA_S7_PKT3_PKT4_S5_PT5_21rocsparse_index_base_b,"axG",@progbits,_ZN9rocsparseL20bsrxmvn_17_32_kernelILj17EdiidddEEvT2_20rocsparse_direction_NS_24const_host_device_scalarIT0_EES1_PKS1_PKT1_SA_S7_PKT3_PKT4_S5_PT5_21rocsparse_index_base_b,comdat
	.globl	_ZN9rocsparseL20bsrxmvn_17_32_kernelILj17EdiidddEEvT2_20rocsparse_direction_NS_24const_host_device_scalarIT0_EES1_PKS1_PKT1_SA_S7_PKT3_PKT4_S5_PT5_21rocsparse_index_base_b ; -- Begin function _ZN9rocsparseL20bsrxmvn_17_32_kernelILj17EdiidddEEvT2_20rocsparse_direction_NS_24const_host_device_scalarIT0_EES1_PKS1_PKT1_SA_S7_PKT3_PKT4_S5_PT5_21rocsparse_index_base_b
	.p2align	8
	.type	_ZN9rocsparseL20bsrxmvn_17_32_kernelILj17EdiidddEEvT2_20rocsparse_direction_NS_24const_host_device_scalarIT0_EES1_PKS1_PKT1_SA_S7_PKT3_PKT4_S5_PT5_21rocsparse_index_base_b,@function
_ZN9rocsparseL20bsrxmvn_17_32_kernelILj17EdiidddEEvT2_20rocsparse_direction_NS_24const_host_device_scalarIT0_EES1_PKS1_PKT1_SA_S7_PKT3_PKT4_S5_PT5_21rocsparse_index_base_b: ; @_ZN9rocsparseL20bsrxmvn_17_32_kernelILj17EdiidddEEvT2_20rocsparse_direction_NS_24const_host_device_scalarIT0_EES1_PKS1_PKT1_SA_S7_PKT3_PKT4_S5_PT5_21rocsparse_index_base_b
; %bb.0:
	s_clause 0x2
	s_load_b64 s[10:11], s[0:1], 0x58
	s_load_b64 s[4:5], s[0:1], 0x8
	;; [unrolled: 1-line block ×3, first 2 shown]
	s_mov_b32 s8, s15
	s_waitcnt lgkmcnt(0)
	s_bitcmp1_b32 s11, 0
	v_dual_mov_b32 v3, s4 :: v_dual_mov_b32 v4, s5
	s_cselect_b32 s6, -1, 0
	s_delay_alu instid0(SALU_CYCLE_1)
	s_and_b32 vcc_lo, exec_lo, s6
	s_xor_b32 s6, s6, -1
	s_cbranch_vccnz .LBB16_2
; %bb.1:
	v_dual_mov_b32 v1, s4 :: v_dual_mov_b32 v2, s5
	flat_load_b64 v[3:4], v[1:2]
.LBB16_2:
	v_dual_mov_b32 v1, s2 :: v_dual_mov_b32 v2, s3
	s_and_not1_b32 vcc_lo, exec_lo, s6
	s_cbranch_vccnz .LBB16_4
; %bb.3:
	v_dual_mov_b32 v1, s2 :: v_dual_mov_b32 v2, s3
	flat_load_b64 v[1:2], v[1:2]
.LBB16_4:
	s_waitcnt vmcnt(0) lgkmcnt(0)
	v_cmp_neq_f64_e32 vcc_lo, 0, v[3:4]
	v_cmp_neq_f64_e64 s2, 1.0, v[1:2]
	s_delay_alu instid0(VALU_DEP_1) | instskip(NEXT) | instid1(SALU_CYCLE_1)
	s_or_b32 s2, vcc_lo, s2
	s_and_saveexec_b32 s3, s2
	s_cbranch_execz .LBB16_38
; %bb.5:
	s_clause 0x1
	s_load_b128 s[4:7], s[0:1], 0x18
	s_load_b64 s[2:3], s[0:1], 0x28
	s_waitcnt lgkmcnt(0)
	s_cmp_eq_u64 s[4:5], 0
	s_cbranch_scc1 .LBB16_7
; %bb.6:
	s_ashr_i32 s9, s8, 31
	s_delay_alu instid0(SALU_CYCLE_1) | instskip(NEXT) | instid1(SALU_CYCLE_1)
	s_lshl_b64 s[8:9], s[8:9], 2
	s_add_u32 s4, s4, s8
	s_addc_u32 s5, s5, s9
	s_load_b32 s4, s[4:5], 0x0
	s_waitcnt lgkmcnt(0)
	s_sub_i32 s8, s4, s10
.LBB16_7:
	s_load_b32 s4, s[0:1], 0x4
	v_mul_u32_u24_e32 v5, 0xf10, v0
	v_lshlrev_b32_e32 v12, 3, v0
	s_delay_alu instid0(VALU_DEP_2) | instskip(NEXT) | instid1(VALU_DEP_1)
	v_lshrrev_b32_e32 v7, 16, v5
	v_mul_lo_u16 v5, v7, 17
	s_delay_alu instid0(VALU_DEP_1)
	v_sub_nc_u16 v13, v0, v5
	v_mov_b32_e32 v5, 0
	v_mov_b32_e32 v6, 0
	s_waitcnt lgkmcnt(0)
	s_cmp_eq_u32 s4, 1
	s_cselect_b32 vcc_lo, -1, 0
	s_cmp_lg_u32 s4, 1
	s_cselect_b32 s11, -1, 0
	s_ashr_i32 s9, s8, 31
	s_delay_alu instid0(SALU_CYCLE_1) | instskip(NEXT) | instid1(SALU_CYCLE_1)
	s_lshl_b64 s[4:5], s[8:9], 2
	s_add_u32 s6, s6, s4
	s_addc_u32 s7, s7, s5
	s_add_u32 s9, s6, 4
	s_addc_u32 s12, s7, 0
	;; [unrolled: 2-line block ×3, first 2 shown]
	s_cmp_eq_u64 s[2:3], 0
	s_cselect_b32 s3, s12, s5
	s_cselect_b32 s2, s9, s4
	s_load_b32 s12, s[6:7], 0x0
	s_load_b32 s9, s[2:3], 0x0
	s_load_b64 s[2:3], s[0:1], 0x50
	s_waitcnt lgkmcnt(0)
	s_cmp_ge_i32 s12, s9
	s_cbranch_scc1 .LBB16_12
; %bb.8:
	v_mul_lo_u16 v5, v7, 31
	s_clause 0x1
	s_load_b128 s[4:7], s[0:1], 0x30
	s_load_b64 s[0:1], s[0:1], 0x40
	v_lshlrev_b32_e32 v8, 3, v0
	v_and_b32_e32 v9, 0xffff, v13
	v_lshrrev_b16 v5, 9, v5
	s_sub_i32 s12, s12, s10
	s_sub_i32 s9, s9, s10
	s_mul_i32 s14, s12, 0x908
	s_mul_hi_i32 s13, s12, 0x908
	v_mul_lo_u16 v5, v5, 17
	s_delay_alu instid0(VALU_DEP_1) | instskip(SKIP_1) | instid1(VALU_DEP_2)
	v_sub_nc_u16 v7, v7, v5
	v_mov_b32_e32 v5, 0
	v_dual_mov_b32 v6, 0 :: v_dual_and_b32 v11, 0xff, v7
	v_and_b32_e32 v10, 0xffff, v0
	s_waitcnt lgkmcnt(0)
	s_add_u32 s6, s6, s14
	s_addc_u32 s7, s7, s13
	v_add_co_u32 v7, s6, s6, v8
	v_cndmask_b32_e32 v9, v9, v11, vcc_lo
	v_mul_u32_u24_e32 v10, 0xe3, v10
	v_add_co_ci_u32_e64 v8, null, s7, 0, s6
	s_delay_alu instid0(VALU_DEP_2)
	v_lshrrev_b32_e32 v14, 16, v10
	s_set_inst_prefetch_distance 0x1
	s_branch .LBB16_10
	.p2align	6
.LBB16_9:                               ;   in Loop: Header=BB16_10 Depth=1
	s_or_b32 exec_lo, exec_lo, s6
	s_add_i32 s12, s12, 1
	s_delay_alu instid0(SALU_CYCLE_1)
	s_cmp_lt_i32 s12, s9
	s_cbranch_scc0 .LBB16_12
.LBB16_10:                              ; =>This Inner Loop Header: Depth=1
	s_delay_alu instid0(VALU_DEP_1) | instskip(SKIP_1) | instid1(VALU_DEP_1)
	v_add_nc_u32_e32 v10, s12, v14
	s_mov_b32 s6, exec_lo
	v_cmpx_gt_i32_e64 s9, v10
	s_cbranch_execz .LBB16_9
; %bb.11:                               ;   in Loop: Header=BB16_10 Depth=1
	v_ashrrev_i32_e32 v11, 31, v10
	s_delay_alu instid0(VALU_DEP_1) | instskip(NEXT) | instid1(VALU_DEP_1)
	v_lshlrev_b64 v[10:11], 2, v[10:11]
	v_add_co_u32 v10, vcc_lo, s4, v10
	s_delay_alu instid0(VALU_DEP_2) | instskip(SKIP_3) | instid1(VALU_DEP_1)
	v_add_co_ci_u32_e32 v11, vcc_lo, s5, v11, vcc_lo
	global_load_b32 v10, v[10:11], off
	s_waitcnt vmcnt(0)
	v_subrev_nc_u32_e32 v15, s10, v10
	v_mad_u64_u32 v[10:11], null, v15, 17, v[9:10]
	s_delay_alu instid0(VALU_DEP_1) | instskip(NEXT) | instid1(VALU_DEP_1)
	v_ashrrev_i32_e32 v11, 31, v10
	v_lshlrev_b64 v[10:11], 3, v[10:11]
	s_delay_alu instid0(VALU_DEP_1) | instskip(NEXT) | instid1(VALU_DEP_2)
	v_add_co_u32 v10, vcc_lo, s0, v10
	v_add_co_ci_u32_e32 v11, vcc_lo, s1, v11, vcc_lo
	global_load_b64 v[15:16], v[7:8], off
	global_load_b64 v[10:11], v[10:11], off
	v_add_co_u32 v7, vcc_lo, 0x908, v7
	v_add_co_ci_u32_e32 v8, vcc_lo, 0, v8, vcc_lo
	s_waitcnt vmcnt(0)
	v_fma_f64 v[5:6], v[15:16], v[10:11], v[5:6]
	s_branch .LBB16_9
.LBB16_12:
	s_set_inst_prefetch_distance 0x2
	s_and_b32 vcc_lo, exec_lo, s11
	ds_store_b64 v12, v[5:6]
	s_waitcnt lgkmcnt(0)
	s_barrier
	buffer_gl0_inv
	s_cbranch_vccz .LBB16_24
; %bb.13:
	s_mov_b32 s0, exec_lo
	v_cmpx_eq_u16_e32 0, v13
	s_cbranch_execz .LBB16_15
; %bb.14:
	ds_load_2addr_b64 v[7:10], v12 offset1:16
	s_waitcnt lgkmcnt(0)
	v_add_f64 v[7:8], v[9:10], v[7:8]
	ds_store_b64 v12, v[7:8]
.LBB16_15:
	s_or_b32 exec_lo, exec_lo, s0
	s_delay_alu instid0(SALU_CYCLE_1)
	s_mov_b32 s0, exec_lo
	s_waitcnt lgkmcnt(0)
	s_barrier
	buffer_gl0_inv
	v_cmpx_gt_u16_e32 8, v13
	s_cbranch_execz .LBB16_17
; %bb.16:
	ds_load_2addr_b64 v[7:10], v12 offset1:8
	s_waitcnt lgkmcnt(0)
	v_add_f64 v[7:8], v[9:10], v[7:8]
	ds_store_b64 v12, v[7:8]
.LBB16_17:
	s_or_b32 exec_lo, exec_lo, s0
	s_delay_alu instid0(SALU_CYCLE_1)
	s_mov_b32 s0, exec_lo
	s_waitcnt lgkmcnt(0)
	s_barrier
	buffer_gl0_inv
	v_cmpx_gt_u16_e32 4, v13
	;; [unrolled: 14-line block ×3, first 2 shown]
	s_cbranch_execz .LBB16_21
; %bb.20:
	ds_load_2addr_b64 v[7:10], v12 offset1:2
	s_waitcnt lgkmcnt(0)
	v_add_f64 v[7:8], v[9:10], v[7:8]
	ds_store_b64 v12, v[7:8]
.LBB16_21:
	s_or_b32 exec_lo, exec_lo, s0
	s_mov_b32 s0, 0
	s_mov_b32 s1, 0
	s_mov_b32 s4, exec_lo
	s_waitcnt lgkmcnt(0)
	s_barrier
	buffer_gl0_inv
                                        ; implicit-def: $vgpr7
                                        ; implicit-def: $vgpr8
	v_cmpx_gt_u32_e32 17, v0
	s_xor_b32 s4, exec_lo, s4
; %bb.22:
	v_mad_u32_u24 v7, v0, 17, 1
	v_lshl_add_u32 v8, v0, 7, v12
	s_mov_b32 s1, exec_lo
; %bb.23:
	s_or_b32 exec_lo, exec_lo, s4
	s_delay_alu instid0(SALU_CYCLE_1)
	s_and_b32 vcc_lo, exec_lo, s0
	v_cmp_gt_u32_e64 s0, 17, v0
	s_cbranch_vccnz .LBB16_25
	s_branch .LBB16_36
.LBB16_24:
	s_mov_b32 s1, 0
                                        ; implicit-def: $vgpr7
                                        ; implicit-def: $vgpr8
	v_cmp_gt_u32_e64 s0, 17, v0
	s_cbranch_execz .LBB16_36
.LBB16_25:
	s_delay_alu instid0(VALU_DEP_1)
	s_and_saveexec_b32 s4, s0
	s_cbranch_execz .LBB16_27
; %bb.26:
	ds_load_b64 v[7:8], v12 offset:2176
	ds_load_b64 v[9:10], v12
	s_waitcnt lgkmcnt(0)
	v_add_f64 v[7:8], v[7:8], v[9:10]
	ds_store_b64 v12, v[7:8]
.LBB16_27:
	s_or_b32 exec_lo, exec_lo, s4
	s_delay_alu instid0(SALU_CYCLE_1)
	s_mov_b32 s4, exec_lo
	s_waitcnt lgkmcnt(0)
	s_barrier
	buffer_gl0_inv
	v_cmpx_gt_u32_e32 0x88, v0
	s_cbranch_execz .LBB16_29
; %bb.28:
	ds_load_2addr_b64 v[7:10], v12 offset1:136
	s_waitcnt lgkmcnt(0)
	v_add_f64 v[7:8], v[9:10], v[7:8]
	ds_store_b64 v12, v[7:8]
.LBB16_29:
	s_or_b32 exec_lo, exec_lo, s4
	s_delay_alu instid0(SALU_CYCLE_1)
	s_mov_b32 s4, exec_lo
	s_waitcnt lgkmcnt(0)
	s_barrier
	buffer_gl0_inv
	v_cmpx_gt_u32_e32 0x44, v0
	s_cbranch_execz .LBB16_31
; %bb.30:
	ds_load_2addr_b64 v[7:10], v12 offset1:68
	s_waitcnt lgkmcnt(0)
	v_add_f64 v[7:8], v[9:10], v[7:8]
	ds_store_b64 v12, v[7:8]
.LBB16_31:
	;; [unrolled: 14-line block ×3, first 2 shown]
	s_or_b32 exec_lo, exec_lo, s4
	s_waitcnt lgkmcnt(0)
	buffer_gl0_inv
                                        ; implicit-def: $vgpr7
	s_and_saveexec_b32 s4, s0
; %bb.34:
	v_add_nc_u32_e32 v7, 17, v0
	s_or_b32 s1, s1, exec_lo
                                        ; implicit-def: $vgpr5_vgpr6
; %bb.35:
	s_or_b32 exec_lo, exec_lo, s4
	v_mov_b32_e32 v8, v12
.LBB16_36:
	s_and_saveexec_b32 s0, s1
	s_cbranch_execnz .LBB16_39
; %bb.37:
	s_or_b32 exec_lo, exec_lo, s0
	v_cmp_gt_u32_e32 vcc_lo, 17, v0
	s_and_b32 exec_lo, exec_lo, vcc_lo
	s_cbranch_execnz .LBB16_40
.LBB16_38:
	s_nop 0
	s_sendmsg sendmsg(MSG_DEALLOC_VGPRS)
	s_endpgm
.LBB16_39:
	v_lshlrev_b32_e32 v7, 3, v7
	ds_load_b64 v[5:6], v8
	ds_load_b64 v[7:8], v7
	s_waitcnt lgkmcnt(0)
	v_add_f64 v[5:6], v[5:6], v[7:8]
	s_or_b32 exec_lo, exec_lo, s0
	v_cmp_gt_u32_e32 vcc_lo, 17, v0
	s_and_b32 exec_lo, exec_lo, vcc_lo
	s_cbranch_execz .LBB16_38
.LBB16_40:
	s_delay_alu instid0(VALU_DEP_2)
	v_mul_f64 v[3:4], v[3:4], v[5:6]
	s_mov_b32 s0, exec_lo
	v_cmpx_eq_f64_e32 0, v[1:2]
	s_xor_b32 s0, exec_lo, s0
	s_cbranch_execz .LBB16_42
; %bb.41:
	v_mad_u64_u32 v[1:2], null, s8, 17, v[0:1]
	v_mov_b32_e32 v2, 0
	s_delay_alu instid0(VALU_DEP_1) | instskip(NEXT) | instid1(VALU_DEP_1)
	v_lshlrev_b64 v[0:1], 3, v[1:2]
	v_add_co_u32 v0, vcc_lo, s2, v0
	s_delay_alu instid0(VALU_DEP_2)
	v_add_co_ci_u32_e32 v1, vcc_lo, s3, v1, vcc_lo
	global_store_b64 v[0:1], v[3:4], off
                                        ; implicit-def: $vgpr0
                                        ; implicit-def: $vgpr1_vgpr2
                                        ; implicit-def: $vgpr3_vgpr4
.LBB16_42:
	s_and_not1_saveexec_b32 s0, s0
	s_cbranch_execz .LBB16_38
; %bb.43:
	v_mad_u64_u32 v[5:6], null, s8, 17, v[0:1]
	v_mov_b32_e32 v6, 0
	s_delay_alu instid0(VALU_DEP_1) | instskip(NEXT) | instid1(VALU_DEP_1)
	v_lshlrev_b64 v[5:6], 3, v[5:6]
	v_add_co_u32 v5, vcc_lo, s2, v5
	s_delay_alu instid0(VALU_DEP_2)
	v_add_co_ci_u32_e32 v6, vcc_lo, s3, v6, vcc_lo
	global_load_b64 v[7:8], v[5:6], off
	s_waitcnt vmcnt(0)
	v_fma_f64 v[0:1], v[1:2], v[7:8], v[3:4]
	global_store_b64 v[5:6], v[0:1], off
	s_nop 0
	s_sendmsg sendmsg(MSG_DEALLOC_VGPRS)
	s_endpgm
	.section	.rodata,"a",@progbits
	.p2align	6, 0x0
	.amdhsa_kernel _ZN9rocsparseL20bsrxmvn_17_32_kernelILj17EdiidddEEvT2_20rocsparse_direction_NS_24const_host_device_scalarIT0_EES1_PKS1_PKT1_SA_S7_PKT3_PKT4_S5_PT5_21rocsparse_index_base_b
		.amdhsa_group_segment_fixed_size 2312
		.amdhsa_private_segment_fixed_size 0
		.amdhsa_kernarg_size 96
		.amdhsa_user_sgpr_count 15
		.amdhsa_user_sgpr_dispatch_ptr 0
		.amdhsa_user_sgpr_queue_ptr 0
		.amdhsa_user_sgpr_kernarg_segment_ptr 1
		.amdhsa_user_sgpr_dispatch_id 0
		.amdhsa_user_sgpr_private_segment_size 0
		.amdhsa_wavefront_size32 1
		.amdhsa_uses_dynamic_stack 0
		.amdhsa_enable_private_segment 0
		.amdhsa_system_sgpr_workgroup_id_x 1
		.amdhsa_system_sgpr_workgroup_id_y 0
		.amdhsa_system_sgpr_workgroup_id_z 0
		.amdhsa_system_sgpr_workgroup_info 0
		.amdhsa_system_vgpr_workitem_id 0
		.amdhsa_next_free_vgpr 17
		.amdhsa_next_free_sgpr 16
		.amdhsa_reserve_vcc 1
		.amdhsa_float_round_mode_32 0
		.amdhsa_float_round_mode_16_64 0
		.amdhsa_float_denorm_mode_32 3
		.amdhsa_float_denorm_mode_16_64 3
		.amdhsa_dx10_clamp 1
		.amdhsa_ieee_mode 1
		.amdhsa_fp16_overflow 0
		.amdhsa_workgroup_processor_mode 1
		.amdhsa_memory_ordered 1
		.amdhsa_forward_progress 0
		.amdhsa_shared_vgpr_count 0
		.amdhsa_exception_fp_ieee_invalid_op 0
		.amdhsa_exception_fp_denorm_src 0
		.amdhsa_exception_fp_ieee_div_zero 0
		.amdhsa_exception_fp_ieee_overflow 0
		.amdhsa_exception_fp_ieee_underflow 0
		.amdhsa_exception_fp_ieee_inexact 0
		.amdhsa_exception_int_div_zero 0
	.end_amdhsa_kernel
	.section	.text._ZN9rocsparseL20bsrxmvn_17_32_kernelILj17EdiidddEEvT2_20rocsparse_direction_NS_24const_host_device_scalarIT0_EES1_PKS1_PKT1_SA_S7_PKT3_PKT4_S5_PT5_21rocsparse_index_base_b,"axG",@progbits,_ZN9rocsparseL20bsrxmvn_17_32_kernelILj17EdiidddEEvT2_20rocsparse_direction_NS_24const_host_device_scalarIT0_EES1_PKS1_PKT1_SA_S7_PKT3_PKT4_S5_PT5_21rocsparse_index_base_b,comdat
.Lfunc_end16:
	.size	_ZN9rocsparseL20bsrxmvn_17_32_kernelILj17EdiidddEEvT2_20rocsparse_direction_NS_24const_host_device_scalarIT0_EES1_PKS1_PKT1_SA_S7_PKT3_PKT4_S5_PT5_21rocsparse_index_base_b, .Lfunc_end16-_ZN9rocsparseL20bsrxmvn_17_32_kernelILj17EdiidddEEvT2_20rocsparse_direction_NS_24const_host_device_scalarIT0_EES1_PKS1_PKT1_SA_S7_PKT3_PKT4_S5_PT5_21rocsparse_index_base_b
                                        ; -- End function
	.section	.AMDGPU.csdata,"",@progbits
; Kernel info:
; codeLenInByte = 1632
; NumSgprs: 18
; NumVgprs: 17
; ScratchSize: 0
; MemoryBound: 0
; FloatMode: 240
; IeeeMode: 1
; LDSByteSize: 2312 bytes/workgroup (compile time only)
; SGPRBlocks: 2
; VGPRBlocks: 2
; NumSGPRsForWavesPerEU: 18
; NumVGPRsForWavesPerEU: 17
; Occupancy: 15
; WaveLimiterHint : 1
; COMPUTE_PGM_RSRC2:SCRATCH_EN: 0
; COMPUTE_PGM_RSRC2:USER_SGPR: 15
; COMPUTE_PGM_RSRC2:TRAP_HANDLER: 0
; COMPUTE_PGM_RSRC2:TGID_X_EN: 1
; COMPUTE_PGM_RSRC2:TGID_Y_EN: 0
; COMPUTE_PGM_RSRC2:TGID_Z_EN: 0
; COMPUTE_PGM_RSRC2:TIDIG_COMP_CNT: 0
	.section	.text._ZN9rocsparseL20bsrxmvn_17_32_kernelILj18EdiidddEEvT2_20rocsparse_direction_NS_24const_host_device_scalarIT0_EES1_PKS1_PKT1_SA_S7_PKT3_PKT4_S5_PT5_21rocsparse_index_base_b,"axG",@progbits,_ZN9rocsparseL20bsrxmvn_17_32_kernelILj18EdiidddEEvT2_20rocsparse_direction_NS_24const_host_device_scalarIT0_EES1_PKS1_PKT1_SA_S7_PKT3_PKT4_S5_PT5_21rocsparse_index_base_b,comdat
	.globl	_ZN9rocsparseL20bsrxmvn_17_32_kernelILj18EdiidddEEvT2_20rocsparse_direction_NS_24const_host_device_scalarIT0_EES1_PKS1_PKT1_SA_S7_PKT3_PKT4_S5_PT5_21rocsparse_index_base_b ; -- Begin function _ZN9rocsparseL20bsrxmvn_17_32_kernelILj18EdiidddEEvT2_20rocsparse_direction_NS_24const_host_device_scalarIT0_EES1_PKS1_PKT1_SA_S7_PKT3_PKT4_S5_PT5_21rocsparse_index_base_b
	.p2align	8
	.type	_ZN9rocsparseL20bsrxmvn_17_32_kernelILj18EdiidddEEvT2_20rocsparse_direction_NS_24const_host_device_scalarIT0_EES1_PKS1_PKT1_SA_S7_PKT3_PKT4_S5_PT5_21rocsparse_index_base_b,@function
_ZN9rocsparseL20bsrxmvn_17_32_kernelILj18EdiidddEEvT2_20rocsparse_direction_NS_24const_host_device_scalarIT0_EES1_PKS1_PKT1_SA_S7_PKT3_PKT4_S5_PT5_21rocsparse_index_base_b: ; @_ZN9rocsparseL20bsrxmvn_17_32_kernelILj18EdiidddEEvT2_20rocsparse_direction_NS_24const_host_device_scalarIT0_EES1_PKS1_PKT1_SA_S7_PKT3_PKT4_S5_PT5_21rocsparse_index_base_b
; %bb.0:
	s_clause 0x2
	s_load_b64 s[10:11], s[0:1], 0x58
	s_load_b64 s[4:5], s[0:1], 0x8
	;; [unrolled: 1-line block ×3, first 2 shown]
	s_mov_b32 s8, s15
	s_waitcnt lgkmcnt(0)
	s_bitcmp1_b32 s11, 0
	v_dual_mov_b32 v3, s4 :: v_dual_mov_b32 v4, s5
	s_cselect_b32 s6, -1, 0
	s_delay_alu instid0(SALU_CYCLE_1)
	s_and_b32 vcc_lo, exec_lo, s6
	s_xor_b32 s6, s6, -1
	s_cbranch_vccnz .LBB17_2
; %bb.1:
	v_dual_mov_b32 v1, s4 :: v_dual_mov_b32 v2, s5
	flat_load_b64 v[3:4], v[1:2]
.LBB17_2:
	v_dual_mov_b32 v1, s2 :: v_dual_mov_b32 v2, s3
	s_and_not1_b32 vcc_lo, exec_lo, s6
	s_cbranch_vccnz .LBB17_4
; %bb.3:
	v_dual_mov_b32 v1, s2 :: v_dual_mov_b32 v2, s3
	flat_load_b64 v[1:2], v[1:2]
.LBB17_4:
	s_waitcnt vmcnt(0) lgkmcnt(0)
	v_cmp_neq_f64_e32 vcc_lo, 0, v[3:4]
	v_cmp_neq_f64_e64 s2, 1.0, v[1:2]
	s_delay_alu instid0(VALU_DEP_1) | instskip(NEXT) | instid1(SALU_CYCLE_1)
	s_or_b32 s2, vcc_lo, s2
	s_and_saveexec_b32 s3, s2
	s_cbranch_execz .LBB17_38
; %bb.5:
	s_clause 0x1
	s_load_b128 s[4:7], s[0:1], 0x18
	s_load_b64 s[2:3], s[0:1], 0x28
	s_waitcnt lgkmcnt(0)
	s_cmp_eq_u64 s[4:5], 0
	s_cbranch_scc1 .LBB17_7
; %bb.6:
	s_ashr_i32 s9, s8, 31
	s_delay_alu instid0(SALU_CYCLE_1) | instskip(NEXT) | instid1(SALU_CYCLE_1)
	s_lshl_b64 s[8:9], s[8:9], 2
	s_add_u32 s4, s4, s8
	s_addc_u32 s5, s5, s9
	s_load_b32 s4, s[4:5], 0x0
	s_waitcnt lgkmcnt(0)
	s_sub_i32 s8, s4, s10
.LBB17_7:
	s_load_b32 s4, s[0:1], 0x4
	v_mul_u32_u24_e32 v5, 0xe39, v0
	v_lshlrev_b32_e32 v12, 3, v0
	s_delay_alu instid0(VALU_DEP_2) | instskip(NEXT) | instid1(VALU_DEP_1)
	v_lshrrev_b32_e32 v7, 16, v5
	v_mul_lo_u16 v5, v7, 18
	s_delay_alu instid0(VALU_DEP_1)
	v_sub_nc_u16 v13, v0, v5
	v_mov_b32_e32 v5, 0
	v_mov_b32_e32 v6, 0
	s_waitcnt lgkmcnt(0)
	s_cmp_eq_u32 s4, 1
	s_cselect_b32 vcc_lo, -1, 0
	s_cmp_lg_u32 s4, 1
	s_cselect_b32 s11, -1, 0
	s_ashr_i32 s9, s8, 31
	s_delay_alu instid0(SALU_CYCLE_1) | instskip(NEXT) | instid1(SALU_CYCLE_1)
	s_lshl_b64 s[4:5], s[8:9], 2
	s_add_u32 s6, s6, s4
	s_addc_u32 s7, s7, s5
	s_add_u32 s9, s6, 4
	s_addc_u32 s12, s7, 0
	;; [unrolled: 2-line block ×3, first 2 shown]
	s_cmp_eq_u64 s[2:3], 0
	s_cselect_b32 s3, s12, s5
	s_cselect_b32 s2, s9, s4
	s_load_b32 s12, s[6:7], 0x0
	s_load_b32 s9, s[2:3], 0x0
	s_load_b64 s[2:3], s[0:1], 0x50
	s_waitcnt lgkmcnt(0)
	s_cmp_ge_i32 s12, s9
	s_cbranch_scc1 .LBB17_12
; %bb.8:
	v_mul_lo_u16 v5, v7, 15
	s_clause 0x1
	s_load_b128 s[4:7], s[0:1], 0x30
	s_load_b64 s[0:1], s[0:1], 0x40
	v_lshlrev_b32_e32 v8, 3, v0
	v_and_b32_e32 v9, 0xffff, v13
	v_lshrrev_b16 v5, 8, v5
	s_sub_i32 s12, s12, s10
	s_sub_i32 s9, s9, s10
	s_mul_i32 s14, s12, 0xa20
	s_mul_hi_i32 s13, s12, 0xa20
	v_mul_lo_u16 v5, v5, 18
	s_delay_alu instid0(VALU_DEP_1) | instskip(SKIP_1) | instid1(VALU_DEP_2)
	v_sub_nc_u16 v7, v7, v5
	v_mov_b32_e32 v5, 0
	v_dual_mov_b32 v6, 0 :: v_dual_and_b32 v11, 0xff, v7
	v_and_b32_e32 v10, 0xffff, v0
	s_waitcnt lgkmcnt(0)
	s_add_u32 s6, s6, s14
	s_addc_u32 s7, s7, s13
	v_add_co_u32 v7, s6, s6, v8
	v_cndmask_b32_e32 v9, v9, v11, vcc_lo
	v_mul_u32_u24_e32 v10, 0x195, v10
	v_add_co_ci_u32_e64 v8, null, s7, 0, s6
	s_delay_alu instid0(VALU_DEP_2)
	v_lshrrev_b32_e32 v14, 17, v10
	s_set_inst_prefetch_distance 0x1
	s_branch .LBB17_10
	.p2align	6
.LBB17_9:                               ;   in Loop: Header=BB17_10 Depth=1
	s_or_b32 exec_lo, exec_lo, s6
	s_add_i32 s12, s12, 1
	s_delay_alu instid0(SALU_CYCLE_1)
	s_cmp_lt_i32 s12, s9
	s_cbranch_scc0 .LBB17_12
.LBB17_10:                              ; =>This Inner Loop Header: Depth=1
	s_delay_alu instid0(VALU_DEP_1) | instskip(SKIP_1) | instid1(VALU_DEP_1)
	v_add_nc_u32_e32 v10, s12, v14
	s_mov_b32 s6, exec_lo
	v_cmpx_gt_i32_e64 s9, v10
	s_cbranch_execz .LBB17_9
; %bb.11:                               ;   in Loop: Header=BB17_10 Depth=1
	v_ashrrev_i32_e32 v11, 31, v10
	s_delay_alu instid0(VALU_DEP_1) | instskip(NEXT) | instid1(VALU_DEP_1)
	v_lshlrev_b64 v[10:11], 2, v[10:11]
	v_add_co_u32 v10, vcc_lo, s4, v10
	s_delay_alu instid0(VALU_DEP_2) | instskip(SKIP_3) | instid1(VALU_DEP_1)
	v_add_co_ci_u32_e32 v11, vcc_lo, s5, v11, vcc_lo
	global_load_b32 v10, v[10:11], off
	s_waitcnt vmcnt(0)
	v_subrev_nc_u32_e32 v15, s10, v10
	v_mad_u64_u32 v[10:11], null, v15, 18, v[9:10]
	s_delay_alu instid0(VALU_DEP_1) | instskip(NEXT) | instid1(VALU_DEP_1)
	v_ashrrev_i32_e32 v11, 31, v10
	v_lshlrev_b64 v[10:11], 3, v[10:11]
	s_delay_alu instid0(VALU_DEP_1) | instskip(NEXT) | instid1(VALU_DEP_2)
	v_add_co_u32 v10, vcc_lo, s0, v10
	v_add_co_ci_u32_e32 v11, vcc_lo, s1, v11, vcc_lo
	global_load_b64 v[15:16], v[7:8], off
	global_load_b64 v[10:11], v[10:11], off
	v_add_co_u32 v7, vcc_lo, 0xa20, v7
	v_add_co_ci_u32_e32 v8, vcc_lo, 0, v8, vcc_lo
	s_waitcnt vmcnt(0)
	v_fma_f64 v[5:6], v[15:16], v[10:11], v[5:6]
	s_branch .LBB17_9
.LBB17_12:
	s_set_inst_prefetch_distance 0x2
	s_and_b32 vcc_lo, exec_lo, s11
	ds_store_b64 v12, v[5:6]
	s_waitcnt lgkmcnt(0)
	s_barrier
	buffer_gl0_inv
	s_cbranch_vccz .LBB17_24
; %bb.13:
	v_cmp_gt_u16_e32 vcc_lo, 2, v13
	s_and_saveexec_b32 s0, vcc_lo
	s_cbranch_execz .LBB17_15
; %bb.14:
	ds_load_2addr_b64 v[7:10], v12 offset1:16
	s_waitcnt lgkmcnt(0)
	v_add_f64 v[7:8], v[9:10], v[7:8]
	ds_store_b64 v12, v[7:8]
.LBB17_15:
	s_or_b32 exec_lo, exec_lo, s0
	s_delay_alu instid0(SALU_CYCLE_1)
	s_mov_b32 s1, exec_lo
	s_waitcnt lgkmcnt(0)
	s_barrier
	buffer_gl0_inv
	v_cmpx_gt_u16_e32 8, v13
	s_cbranch_execz .LBB17_17
; %bb.16:
	ds_load_2addr_b64 v[7:10], v12 offset1:8
	s_waitcnt lgkmcnt(0)
	v_add_f64 v[7:8], v[9:10], v[7:8]
	ds_store_b64 v12, v[7:8]
.LBB17_17:
	s_or_b32 exec_lo, exec_lo, s1
	s_delay_alu instid0(SALU_CYCLE_1)
	s_mov_b32 s1, exec_lo
	s_waitcnt lgkmcnt(0)
	s_barrier
	buffer_gl0_inv
	v_cmpx_gt_u16_e32 4, v13
	s_cbranch_execz .LBB17_19
; %bb.18:
	ds_load_2addr_b64 v[7:10], v12 offset1:4
	s_waitcnt lgkmcnt(0)
	v_add_f64 v[7:8], v[9:10], v[7:8]
	ds_store_b64 v12, v[7:8]
.LBB17_19:
	s_or_b32 exec_lo, exec_lo, s1
	s_waitcnt lgkmcnt(0)
	s_barrier
	buffer_gl0_inv
	s_and_saveexec_b32 s0, vcc_lo
	s_cbranch_execz .LBB17_21
; %bb.20:
	ds_load_2addr_b64 v[7:10], v12 offset1:2
	s_waitcnt lgkmcnt(0)
	v_add_f64 v[7:8], v[9:10], v[7:8]
	ds_store_b64 v12, v[7:8]
.LBB17_21:
	s_or_b32 exec_lo, exec_lo, s0
	s_mov_b32 s0, 0
	s_mov_b32 s1, 0
	s_mov_b32 s4, exec_lo
	s_waitcnt lgkmcnt(0)
	s_barrier
	buffer_gl0_inv
                                        ; implicit-def: $vgpr7
                                        ; implicit-def: $vgpr8
	v_cmpx_gt_u32_e32 18, v0
	s_xor_b32 s4, exec_lo, s4
; %bb.22:
	v_mul_u32_u24_e32 v7, 18, v0
	v_mad_u32_u24 v8, 0x88, v0, v12
	s_mov_b32 s1, exec_lo
	s_delay_alu instid0(VALU_DEP_2)
	v_or_b32_e32 v7, 1, v7
; %bb.23:
	s_or_b32 exec_lo, exec_lo, s4
	s_delay_alu instid0(SALU_CYCLE_1)
	s_and_b32 vcc_lo, exec_lo, s0
	s_cbranch_vccnz .LBB17_25
	s_branch .LBB17_36
.LBB17_24:
	s_mov_b32 s1, 0
                                        ; implicit-def: $vgpr7
                                        ; implicit-def: $vgpr8
	s_cbranch_execz .LBB17_36
.LBB17_25:
	v_cmp_gt_u32_e32 vcc_lo, 36, v0
	s_and_saveexec_b32 s0, vcc_lo
	s_cbranch_execz .LBB17_27
; %bb.26:
	ds_load_b64 v[7:8], v12 offset:2304
	ds_load_b64 v[9:10], v12
	s_waitcnt lgkmcnt(0)
	v_add_f64 v[7:8], v[7:8], v[9:10]
	ds_store_b64 v12, v[7:8]
.LBB17_27:
	s_or_b32 exec_lo, exec_lo, s0
	s_delay_alu instid0(SALU_CYCLE_1)
	s_mov_b32 s4, exec_lo
	s_waitcnt lgkmcnt(0)
	s_barrier
	buffer_gl0_inv
	v_cmpx_gt_u32_e32 0x90, v0
	s_cbranch_execz .LBB17_29
; %bb.28:
	ds_load_2addr_b64 v[7:10], v12 offset1:144
	s_waitcnt lgkmcnt(0)
	v_add_f64 v[7:8], v[9:10], v[7:8]
	ds_store_b64 v12, v[7:8]
.LBB17_29:
	s_or_b32 exec_lo, exec_lo, s4
	s_delay_alu instid0(SALU_CYCLE_1)
	s_mov_b32 s4, exec_lo
	s_waitcnt lgkmcnt(0)
	s_barrier
	buffer_gl0_inv
	v_cmpx_gt_u32_e32 0x48, v0
	s_cbranch_execz .LBB17_31
; %bb.30:
	ds_load_2addr_b64 v[7:10], v12 offset1:72
	s_waitcnt lgkmcnt(0)
	v_add_f64 v[7:8], v[9:10], v[7:8]
	ds_store_b64 v12, v[7:8]
.LBB17_31:
	s_or_b32 exec_lo, exec_lo, s4
	s_waitcnt lgkmcnt(0)
	s_barrier
	buffer_gl0_inv
	s_and_saveexec_b32 s0, vcc_lo
	s_cbranch_execz .LBB17_33
; %bb.32:
	ds_load_2addr_b64 v[7:10], v12 offset1:36
	s_waitcnt lgkmcnt(0)
	v_add_f64 v[7:8], v[9:10], v[7:8]
	ds_store_b64 v12, v[7:8]
.LBB17_33:
	s_or_b32 exec_lo, exec_lo, s0
	s_delay_alu instid0(SALU_CYCLE_1)
	s_mov_b32 s0, exec_lo
	s_waitcnt lgkmcnt(0)
	buffer_gl0_inv
                                        ; implicit-def: $vgpr7
	v_cmpx_gt_u32_e32 18, v0
; %bb.34:
	v_add_nc_u32_e32 v7, 18, v0
	s_or_b32 s1, s1, exec_lo
                                        ; implicit-def: $vgpr5_vgpr6
; %bb.35:
	s_or_b32 exec_lo, exec_lo, s0
	v_mov_b32_e32 v8, v12
.LBB17_36:
	s_and_saveexec_b32 s0, s1
	s_cbranch_execnz .LBB17_39
; %bb.37:
	s_or_b32 exec_lo, exec_lo, s0
	v_cmp_gt_u32_e32 vcc_lo, 18, v0
	s_and_b32 exec_lo, exec_lo, vcc_lo
	s_cbranch_execnz .LBB17_40
.LBB17_38:
	s_nop 0
	s_sendmsg sendmsg(MSG_DEALLOC_VGPRS)
	s_endpgm
.LBB17_39:
	v_lshlrev_b32_e32 v7, 3, v7
	ds_load_b64 v[5:6], v8
	ds_load_b64 v[7:8], v7
	s_waitcnt lgkmcnt(0)
	v_add_f64 v[5:6], v[5:6], v[7:8]
	s_or_b32 exec_lo, exec_lo, s0
	v_cmp_gt_u32_e32 vcc_lo, 18, v0
	s_and_b32 exec_lo, exec_lo, vcc_lo
	s_cbranch_execz .LBB17_38
.LBB17_40:
	s_delay_alu instid0(VALU_DEP_2)
	v_mul_f64 v[3:4], v[3:4], v[5:6]
	s_mov_b32 s0, exec_lo
	v_cmpx_eq_f64_e32 0, v[1:2]
	s_xor_b32 s0, exec_lo, s0
	s_cbranch_execz .LBB17_42
; %bb.41:
	v_mad_u64_u32 v[1:2], null, s8, 18, v[0:1]
	v_mov_b32_e32 v2, 0
	s_delay_alu instid0(VALU_DEP_1) | instskip(NEXT) | instid1(VALU_DEP_1)
	v_lshlrev_b64 v[0:1], 3, v[1:2]
	v_add_co_u32 v0, vcc_lo, s2, v0
	s_delay_alu instid0(VALU_DEP_2)
	v_add_co_ci_u32_e32 v1, vcc_lo, s3, v1, vcc_lo
	global_store_b64 v[0:1], v[3:4], off
                                        ; implicit-def: $vgpr0
                                        ; implicit-def: $vgpr1_vgpr2
                                        ; implicit-def: $vgpr3_vgpr4
.LBB17_42:
	s_and_not1_saveexec_b32 s0, s0
	s_cbranch_execz .LBB17_38
; %bb.43:
	v_mad_u64_u32 v[5:6], null, s8, 18, v[0:1]
	v_mov_b32_e32 v6, 0
	s_delay_alu instid0(VALU_DEP_1) | instskip(NEXT) | instid1(VALU_DEP_1)
	v_lshlrev_b64 v[5:6], 3, v[5:6]
	v_add_co_u32 v5, vcc_lo, s2, v5
	s_delay_alu instid0(VALU_DEP_2)
	v_add_co_ci_u32_e32 v6, vcc_lo, s3, v6, vcc_lo
	global_load_b64 v[7:8], v[5:6], off
	s_waitcnt vmcnt(0)
	v_fma_f64 v[0:1], v[1:2], v[7:8], v[3:4]
	global_store_b64 v[5:6], v[0:1], off
	s_nop 0
	s_sendmsg sendmsg(MSG_DEALLOC_VGPRS)
	s_endpgm
	.section	.rodata,"a",@progbits
	.p2align	6, 0x0
	.amdhsa_kernel _ZN9rocsparseL20bsrxmvn_17_32_kernelILj18EdiidddEEvT2_20rocsparse_direction_NS_24const_host_device_scalarIT0_EES1_PKS1_PKT1_SA_S7_PKT3_PKT4_S5_PT5_21rocsparse_index_base_b
		.amdhsa_group_segment_fixed_size 2592
		.amdhsa_private_segment_fixed_size 0
		.amdhsa_kernarg_size 96
		.amdhsa_user_sgpr_count 15
		.amdhsa_user_sgpr_dispatch_ptr 0
		.amdhsa_user_sgpr_queue_ptr 0
		.amdhsa_user_sgpr_kernarg_segment_ptr 1
		.amdhsa_user_sgpr_dispatch_id 0
		.amdhsa_user_sgpr_private_segment_size 0
		.amdhsa_wavefront_size32 1
		.amdhsa_uses_dynamic_stack 0
		.amdhsa_enable_private_segment 0
		.amdhsa_system_sgpr_workgroup_id_x 1
		.amdhsa_system_sgpr_workgroup_id_y 0
		.amdhsa_system_sgpr_workgroup_id_z 0
		.amdhsa_system_sgpr_workgroup_info 0
		.amdhsa_system_vgpr_workitem_id 0
		.amdhsa_next_free_vgpr 17
		.amdhsa_next_free_sgpr 16
		.amdhsa_reserve_vcc 1
		.amdhsa_float_round_mode_32 0
		.amdhsa_float_round_mode_16_64 0
		.amdhsa_float_denorm_mode_32 3
		.amdhsa_float_denorm_mode_16_64 3
		.amdhsa_dx10_clamp 1
		.amdhsa_ieee_mode 1
		.amdhsa_fp16_overflow 0
		.amdhsa_workgroup_processor_mode 1
		.amdhsa_memory_ordered 1
		.amdhsa_forward_progress 0
		.amdhsa_shared_vgpr_count 0
		.amdhsa_exception_fp_ieee_invalid_op 0
		.amdhsa_exception_fp_denorm_src 0
		.amdhsa_exception_fp_ieee_div_zero 0
		.amdhsa_exception_fp_ieee_overflow 0
		.amdhsa_exception_fp_ieee_underflow 0
		.amdhsa_exception_fp_ieee_inexact 0
		.amdhsa_exception_int_div_zero 0
	.end_amdhsa_kernel
	.section	.text._ZN9rocsparseL20bsrxmvn_17_32_kernelILj18EdiidddEEvT2_20rocsparse_direction_NS_24const_host_device_scalarIT0_EES1_PKS1_PKT1_SA_S7_PKT3_PKT4_S5_PT5_21rocsparse_index_base_b,"axG",@progbits,_ZN9rocsparseL20bsrxmvn_17_32_kernelILj18EdiidddEEvT2_20rocsparse_direction_NS_24const_host_device_scalarIT0_EES1_PKS1_PKT1_SA_S7_PKT3_PKT4_S5_PT5_21rocsparse_index_base_b,comdat
.Lfunc_end17:
	.size	_ZN9rocsparseL20bsrxmvn_17_32_kernelILj18EdiidddEEvT2_20rocsparse_direction_NS_24const_host_device_scalarIT0_EES1_PKS1_PKT1_SA_S7_PKT3_PKT4_S5_PT5_21rocsparse_index_base_b, .Lfunc_end17-_ZN9rocsparseL20bsrxmvn_17_32_kernelILj18EdiidddEEvT2_20rocsparse_direction_NS_24const_host_device_scalarIT0_EES1_PKS1_PKT1_SA_S7_PKT3_PKT4_S5_PT5_21rocsparse_index_base_b
                                        ; -- End function
	.section	.AMDGPU.csdata,"",@progbits
; Kernel info:
; codeLenInByte = 1616
; NumSgprs: 18
; NumVgprs: 17
; ScratchSize: 0
; MemoryBound: 0
; FloatMode: 240
; IeeeMode: 1
; LDSByteSize: 2592 bytes/workgroup (compile time only)
; SGPRBlocks: 2
; VGPRBlocks: 2
; NumSGPRsForWavesPerEU: 18
; NumVGPRsForWavesPerEU: 17
; Occupancy: 14
; WaveLimiterHint : 1
; COMPUTE_PGM_RSRC2:SCRATCH_EN: 0
; COMPUTE_PGM_RSRC2:USER_SGPR: 15
; COMPUTE_PGM_RSRC2:TRAP_HANDLER: 0
; COMPUTE_PGM_RSRC2:TGID_X_EN: 1
; COMPUTE_PGM_RSRC2:TGID_Y_EN: 0
; COMPUTE_PGM_RSRC2:TGID_Z_EN: 0
; COMPUTE_PGM_RSRC2:TIDIG_COMP_CNT: 0
	.section	.text._ZN9rocsparseL20bsrxmvn_17_32_kernelILj19EdiidddEEvT2_20rocsparse_direction_NS_24const_host_device_scalarIT0_EES1_PKS1_PKT1_SA_S7_PKT3_PKT4_S5_PT5_21rocsparse_index_base_b,"axG",@progbits,_ZN9rocsparseL20bsrxmvn_17_32_kernelILj19EdiidddEEvT2_20rocsparse_direction_NS_24const_host_device_scalarIT0_EES1_PKS1_PKT1_SA_S7_PKT3_PKT4_S5_PT5_21rocsparse_index_base_b,comdat
	.globl	_ZN9rocsparseL20bsrxmvn_17_32_kernelILj19EdiidddEEvT2_20rocsparse_direction_NS_24const_host_device_scalarIT0_EES1_PKS1_PKT1_SA_S7_PKT3_PKT4_S5_PT5_21rocsparse_index_base_b ; -- Begin function _ZN9rocsparseL20bsrxmvn_17_32_kernelILj19EdiidddEEvT2_20rocsparse_direction_NS_24const_host_device_scalarIT0_EES1_PKS1_PKT1_SA_S7_PKT3_PKT4_S5_PT5_21rocsparse_index_base_b
	.p2align	8
	.type	_ZN9rocsparseL20bsrxmvn_17_32_kernelILj19EdiidddEEvT2_20rocsparse_direction_NS_24const_host_device_scalarIT0_EES1_PKS1_PKT1_SA_S7_PKT3_PKT4_S5_PT5_21rocsparse_index_base_b,@function
_ZN9rocsparseL20bsrxmvn_17_32_kernelILj19EdiidddEEvT2_20rocsparse_direction_NS_24const_host_device_scalarIT0_EES1_PKS1_PKT1_SA_S7_PKT3_PKT4_S5_PT5_21rocsparse_index_base_b: ; @_ZN9rocsparseL20bsrxmvn_17_32_kernelILj19EdiidddEEvT2_20rocsparse_direction_NS_24const_host_device_scalarIT0_EES1_PKS1_PKT1_SA_S7_PKT3_PKT4_S5_PT5_21rocsparse_index_base_b
; %bb.0:
	s_clause 0x2
	s_load_b64 s[10:11], s[0:1], 0x58
	s_load_b64 s[4:5], s[0:1], 0x8
	;; [unrolled: 1-line block ×3, first 2 shown]
	s_mov_b32 s8, s15
	s_waitcnt lgkmcnt(0)
	s_bitcmp1_b32 s11, 0
	v_dual_mov_b32 v3, s4 :: v_dual_mov_b32 v4, s5
	s_cselect_b32 s6, -1, 0
	s_delay_alu instid0(SALU_CYCLE_1)
	s_and_b32 vcc_lo, exec_lo, s6
	s_xor_b32 s6, s6, -1
	s_cbranch_vccnz .LBB18_2
; %bb.1:
	v_dual_mov_b32 v1, s4 :: v_dual_mov_b32 v2, s5
	flat_load_b64 v[3:4], v[1:2]
.LBB18_2:
	v_dual_mov_b32 v1, s2 :: v_dual_mov_b32 v2, s3
	s_and_not1_b32 vcc_lo, exec_lo, s6
	s_cbranch_vccnz .LBB18_4
; %bb.3:
	v_dual_mov_b32 v1, s2 :: v_dual_mov_b32 v2, s3
	flat_load_b64 v[1:2], v[1:2]
.LBB18_4:
	s_waitcnt vmcnt(0) lgkmcnt(0)
	v_cmp_neq_f64_e32 vcc_lo, 0, v[3:4]
	v_cmp_neq_f64_e64 s2, 1.0, v[1:2]
	s_delay_alu instid0(VALU_DEP_1) | instskip(NEXT) | instid1(SALU_CYCLE_1)
	s_or_b32 s2, vcc_lo, s2
	s_and_saveexec_b32 s3, s2
	s_cbranch_execz .LBB18_38
; %bb.5:
	s_clause 0x1
	s_load_b128 s[4:7], s[0:1], 0x18
	s_load_b64 s[2:3], s[0:1], 0x28
	s_waitcnt lgkmcnt(0)
	s_cmp_eq_u64 s[4:5], 0
	s_cbranch_scc1 .LBB18_7
; %bb.6:
	s_ashr_i32 s9, s8, 31
	s_delay_alu instid0(SALU_CYCLE_1) | instskip(NEXT) | instid1(SALU_CYCLE_1)
	s_lshl_b64 s[8:9], s[8:9], 2
	s_add_u32 s4, s4, s8
	s_addc_u32 s5, s5, s9
	s_load_b32 s4, s[4:5], 0x0
	s_waitcnt lgkmcnt(0)
	s_sub_i32 s8, s4, s10
.LBB18_7:
	s_load_b32 s4, s[0:1], 0x4
	v_mul_u32_u24_e32 v5, 0xd7a, v0
	v_lshlrev_b32_e32 v12, 3, v0
	s_delay_alu instid0(VALU_DEP_2) | instskip(NEXT) | instid1(VALU_DEP_1)
	v_lshrrev_b32_e32 v7, 16, v5
	v_mul_lo_u16 v5, v7, 19
	s_delay_alu instid0(VALU_DEP_1)
	v_sub_nc_u16 v13, v0, v5
	v_mov_b32_e32 v5, 0
	v_mov_b32_e32 v6, 0
	s_waitcnt lgkmcnt(0)
	s_cmp_eq_u32 s4, 1
	s_cselect_b32 vcc_lo, -1, 0
	s_cmp_lg_u32 s4, 1
	s_cselect_b32 s11, -1, 0
	s_ashr_i32 s9, s8, 31
	s_delay_alu instid0(SALU_CYCLE_1) | instskip(NEXT) | instid1(SALU_CYCLE_1)
	s_lshl_b64 s[4:5], s[8:9], 2
	s_add_u32 s6, s6, s4
	s_addc_u32 s7, s7, s5
	s_add_u32 s9, s6, 4
	s_addc_u32 s12, s7, 0
	;; [unrolled: 2-line block ×3, first 2 shown]
	s_cmp_eq_u64 s[2:3], 0
	s_cselect_b32 s3, s12, s5
	s_cselect_b32 s2, s9, s4
	s_load_b32 s12, s[6:7], 0x0
	s_load_b32 s9, s[2:3], 0x0
	s_load_b64 s[2:3], s[0:1], 0x50
	s_waitcnt lgkmcnt(0)
	s_cmp_ge_i32 s12, s9
	s_cbranch_scc1 .LBB18_12
; %bb.8:
	v_mul_lo_u16 v5, v7, 14
	s_clause 0x1
	s_load_b128 s[4:7], s[0:1], 0x30
	s_load_b64 s[0:1], s[0:1], 0x40
	v_lshlrev_b32_e32 v8, 3, v0
	v_and_b32_e32 v9, 0xffff, v13
	v_lshrrev_b16 v5, 8, v5
	s_sub_i32 s12, s12, s10
	s_sub_i32 s9, s9, s10
	s_mul_i32 s14, s12, 0xb48
	s_mul_hi_i32 s13, s12, 0xb48
	v_mul_lo_u16 v5, v5, 19
	s_delay_alu instid0(VALU_DEP_1) | instskip(SKIP_1) | instid1(VALU_DEP_2)
	v_sub_nc_u16 v7, v7, v5
	v_mov_b32_e32 v5, 0
	v_dual_mov_b32 v6, 0 :: v_dual_and_b32 v11, 0xff, v7
	v_and_b32_e32 v10, 0xffff, v0
	s_waitcnt lgkmcnt(0)
	s_add_u32 s6, s6, s14
	s_addc_u32 s7, s7, s13
	v_add_co_u32 v7, s6, s6, v8
	v_cndmask_b32_e32 v9, v9, v11, vcc_lo
	v_mul_u32_u24_e32 v10, 0xb6, v10
	v_add_co_ci_u32_e64 v8, null, s7, 0, s6
	s_delay_alu instid0(VALU_DEP_2)
	v_lshrrev_b32_e32 v14, 16, v10
	s_set_inst_prefetch_distance 0x1
	s_branch .LBB18_10
	.p2align	6
.LBB18_9:                               ;   in Loop: Header=BB18_10 Depth=1
	s_or_b32 exec_lo, exec_lo, s6
	s_add_i32 s12, s12, 1
	s_delay_alu instid0(SALU_CYCLE_1)
	s_cmp_lt_i32 s12, s9
	s_cbranch_scc0 .LBB18_12
.LBB18_10:                              ; =>This Inner Loop Header: Depth=1
	s_delay_alu instid0(VALU_DEP_1) | instskip(SKIP_1) | instid1(VALU_DEP_1)
	v_add_nc_u32_e32 v10, s12, v14
	s_mov_b32 s6, exec_lo
	v_cmpx_gt_i32_e64 s9, v10
	s_cbranch_execz .LBB18_9
; %bb.11:                               ;   in Loop: Header=BB18_10 Depth=1
	v_ashrrev_i32_e32 v11, 31, v10
	s_delay_alu instid0(VALU_DEP_1) | instskip(NEXT) | instid1(VALU_DEP_1)
	v_lshlrev_b64 v[10:11], 2, v[10:11]
	v_add_co_u32 v10, vcc_lo, s4, v10
	s_delay_alu instid0(VALU_DEP_2) | instskip(SKIP_3) | instid1(VALU_DEP_1)
	v_add_co_ci_u32_e32 v11, vcc_lo, s5, v11, vcc_lo
	global_load_b32 v10, v[10:11], off
	s_waitcnt vmcnt(0)
	v_subrev_nc_u32_e32 v15, s10, v10
	v_mad_u64_u32 v[10:11], null, v15, 19, v[9:10]
	s_delay_alu instid0(VALU_DEP_1) | instskip(NEXT) | instid1(VALU_DEP_1)
	v_ashrrev_i32_e32 v11, 31, v10
	v_lshlrev_b64 v[10:11], 3, v[10:11]
	s_delay_alu instid0(VALU_DEP_1) | instskip(NEXT) | instid1(VALU_DEP_2)
	v_add_co_u32 v10, vcc_lo, s0, v10
	v_add_co_ci_u32_e32 v11, vcc_lo, s1, v11, vcc_lo
	global_load_b64 v[15:16], v[7:8], off
	global_load_b64 v[10:11], v[10:11], off
	v_add_co_u32 v7, vcc_lo, 0xb48, v7
	v_add_co_ci_u32_e32 v8, vcc_lo, 0, v8, vcc_lo
	s_waitcnt vmcnt(0)
	v_fma_f64 v[5:6], v[15:16], v[10:11], v[5:6]
	s_branch .LBB18_9
.LBB18_12:
	s_set_inst_prefetch_distance 0x2
	s_and_b32 vcc_lo, exec_lo, s11
	ds_store_b64 v12, v[5:6]
	s_waitcnt lgkmcnt(0)
	s_barrier
	buffer_gl0_inv
	s_cbranch_vccz .LBB18_24
; %bb.13:
	s_mov_b32 s0, exec_lo
	v_cmpx_gt_u16_e32 3, v13
	s_cbranch_execz .LBB18_15
; %bb.14:
	ds_load_2addr_b64 v[7:10], v12 offset1:16
	s_waitcnt lgkmcnt(0)
	v_add_f64 v[7:8], v[9:10], v[7:8]
	ds_store_b64 v12, v[7:8]
.LBB18_15:
	s_or_b32 exec_lo, exec_lo, s0
	s_delay_alu instid0(SALU_CYCLE_1)
	s_mov_b32 s0, exec_lo
	s_waitcnt lgkmcnt(0)
	s_barrier
	buffer_gl0_inv
	v_cmpx_gt_u16_e32 8, v13
	s_cbranch_execz .LBB18_17
; %bb.16:
	ds_load_2addr_b64 v[7:10], v12 offset1:8
	s_waitcnt lgkmcnt(0)
	v_add_f64 v[7:8], v[9:10], v[7:8]
	ds_store_b64 v12, v[7:8]
.LBB18_17:
	s_or_b32 exec_lo, exec_lo, s0
	s_delay_alu instid0(SALU_CYCLE_1)
	s_mov_b32 s0, exec_lo
	s_waitcnt lgkmcnt(0)
	s_barrier
	buffer_gl0_inv
	;; [unrolled: 14-line block ×3, first 2 shown]
	v_cmpx_gt_u16_e32 2, v13
	s_cbranch_execz .LBB18_21
; %bb.20:
	ds_load_2addr_b64 v[7:10], v12 offset1:2
	s_waitcnt lgkmcnt(0)
	v_add_f64 v[7:8], v[9:10], v[7:8]
	ds_store_b64 v12, v[7:8]
.LBB18_21:
	s_or_b32 exec_lo, exec_lo, s0
	s_mov_b32 s1, 0
	s_mov_b32 s0, 0
	s_mov_b32 s4, exec_lo
	s_waitcnt lgkmcnt(0)
	s_barrier
	buffer_gl0_inv
                                        ; implicit-def: $vgpr7
                                        ; implicit-def: $vgpr8
	v_cmpx_gt_u32_e32 19, v0
	s_xor_b32 s4, exec_lo, s4
; %bb.22:
	v_mad_u32_u24 v7, v0, 19, 1
	v_mad_u32_u24 v8, 0x90, v0, v12
	s_mov_b32 s0, exec_lo
; %bb.23:
	s_or_b32 exec_lo, exec_lo, s4
	s_delay_alu instid0(SALU_CYCLE_1)
	s_and_b32 vcc_lo, exec_lo, s1
	s_cbranch_vccnz .LBB18_25
	s_branch .LBB18_36
.LBB18_24:
	s_mov_b32 s0, 0
                                        ; implicit-def: $vgpr7
                                        ; implicit-def: $vgpr8
	s_cbranch_execz .LBB18_36
.LBB18_25:
	s_mov_b32 s1, exec_lo
	v_cmpx_gt_u32_e32 57, v0
	s_cbranch_execz .LBB18_27
; %bb.26:
	ds_load_b64 v[7:8], v12 offset:2432
	ds_load_b64 v[9:10], v12
	s_waitcnt lgkmcnt(0)
	v_add_f64 v[7:8], v[7:8], v[9:10]
	ds_store_b64 v12, v[7:8]
.LBB18_27:
	s_or_b32 exec_lo, exec_lo, s1
	s_delay_alu instid0(SALU_CYCLE_1)
	s_mov_b32 s1, exec_lo
	s_waitcnt lgkmcnt(0)
	s_barrier
	buffer_gl0_inv
	v_cmpx_gt_u32_e32 0x98, v0
	s_cbranch_execz .LBB18_29
; %bb.28:
	ds_load_2addr_b64 v[7:10], v12 offset1:152
	s_waitcnt lgkmcnt(0)
	v_add_f64 v[7:8], v[9:10], v[7:8]
	ds_store_b64 v12, v[7:8]
.LBB18_29:
	s_or_b32 exec_lo, exec_lo, s1
	s_delay_alu instid0(SALU_CYCLE_1)
	s_mov_b32 s1, exec_lo
	s_waitcnt lgkmcnt(0)
	s_barrier
	buffer_gl0_inv
	v_cmpx_gt_u32_e32 0x4c, v0
	s_cbranch_execz .LBB18_31
; %bb.30:
	ds_load_2addr_b64 v[7:10], v12 offset1:76
	s_waitcnt lgkmcnt(0)
	v_add_f64 v[7:8], v[9:10], v[7:8]
	ds_store_b64 v12, v[7:8]
.LBB18_31:
	;; [unrolled: 14-line block ×3, first 2 shown]
	s_or_b32 exec_lo, exec_lo, s1
	s_delay_alu instid0(SALU_CYCLE_1)
	s_mov_b32 s1, exec_lo
	s_waitcnt lgkmcnt(0)
	buffer_gl0_inv
                                        ; implicit-def: $vgpr7
	v_cmpx_gt_u32_e32 19, v0
; %bb.34:
	v_add_nc_u32_e32 v7, 19, v0
	s_or_b32 s0, s0, exec_lo
                                        ; implicit-def: $vgpr5_vgpr6
; %bb.35:
	s_or_b32 exec_lo, exec_lo, s1
	v_mov_b32_e32 v8, v12
.LBB18_36:
	s_and_saveexec_b32 s1, s0
	s_cbranch_execnz .LBB18_39
; %bb.37:
	s_or_b32 exec_lo, exec_lo, s1
	v_cmp_gt_u32_e32 vcc_lo, 19, v0
	s_and_b32 exec_lo, exec_lo, vcc_lo
	s_cbranch_execnz .LBB18_40
.LBB18_38:
	s_nop 0
	s_sendmsg sendmsg(MSG_DEALLOC_VGPRS)
	s_endpgm
.LBB18_39:
	v_lshlrev_b32_e32 v7, 3, v7
	ds_load_b64 v[5:6], v8
	ds_load_b64 v[7:8], v7
	s_waitcnt lgkmcnt(0)
	v_add_f64 v[5:6], v[5:6], v[7:8]
	s_or_b32 exec_lo, exec_lo, s1
	v_cmp_gt_u32_e32 vcc_lo, 19, v0
	s_and_b32 exec_lo, exec_lo, vcc_lo
	s_cbranch_execz .LBB18_38
.LBB18_40:
	s_delay_alu instid0(VALU_DEP_2)
	v_mul_f64 v[3:4], v[3:4], v[5:6]
	s_mov_b32 s0, exec_lo
	v_cmpx_eq_f64_e32 0, v[1:2]
	s_xor_b32 s0, exec_lo, s0
	s_cbranch_execz .LBB18_42
; %bb.41:
	v_mad_u64_u32 v[1:2], null, s8, 19, v[0:1]
	v_mov_b32_e32 v2, 0
	s_delay_alu instid0(VALU_DEP_1) | instskip(NEXT) | instid1(VALU_DEP_1)
	v_lshlrev_b64 v[0:1], 3, v[1:2]
	v_add_co_u32 v0, vcc_lo, s2, v0
	s_delay_alu instid0(VALU_DEP_2)
	v_add_co_ci_u32_e32 v1, vcc_lo, s3, v1, vcc_lo
	global_store_b64 v[0:1], v[3:4], off
                                        ; implicit-def: $vgpr0
                                        ; implicit-def: $vgpr1_vgpr2
                                        ; implicit-def: $vgpr3_vgpr4
.LBB18_42:
	s_and_not1_saveexec_b32 s0, s0
	s_cbranch_execz .LBB18_38
; %bb.43:
	v_mad_u64_u32 v[5:6], null, s8, 19, v[0:1]
	v_mov_b32_e32 v6, 0
	s_delay_alu instid0(VALU_DEP_1) | instskip(NEXT) | instid1(VALU_DEP_1)
	v_lshlrev_b64 v[5:6], 3, v[5:6]
	v_add_co_u32 v5, vcc_lo, s2, v5
	s_delay_alu instid0(VALU_DEP_2)
	v_add_co_ci_u32_e32 v6, vcc_lo, s3, v6, vcc_lo
	global_load_b64 v[7:8], v[5:6], off
	s_waitcnt vmcnt(0)
	v_fma_f64 v[0:1], v[1:2], v[7:8], v[3:4]
	global_store_b64 v[5:6], v[0:1], off
	s_nop 0
	s_sendmsg sendmsg(MSG_DEALLOC_VGPRS)
	s_endpgm
	.section	.rodata,"a",@progbits
	.p2align	6, 0x0
	.amdhsa_kernel _ZN9rocsparseL20bsrxmvn_17_32_kernelILj19EdiidddEEvT2_20rocsparse_direction_NS_24const_host_device_scalarIT0_EES1_PKS1_PKT1_SA_S7_PKT3_PKT4_S5_PT5_21rocsparse_index_base_b
		.amdhsa_group_segment_fixed_size 2888
		.amdhsa_private_segment_fixed_size 0
		.amdhsa_kernarg_size 96
		.amdhsa_user_sgpr_count 15
		.amdhsa_user_sgpr_dispatch_ptr 0
		.amdhsa_user_sgpr_queue_ptr 0
		.amdhsa_user_sgpr_kernarg_segment_ptr 1
		.amdhsa_user_sgpr_dispatch_id 0
		.amdhsa_user_sgpr_private_segment_size 0
		.amdhsa_wavefront_size32 1
		.amdhsa_uses_dynamic_stack 0
		.amdhsa_enable_private_segment 0
		.amdhsa_system_sgpr_workgroup_id_x 1
		.amdhsa_system_sgpr_workgroup_id_y 0
		.amdhsa_system_sgpr_workgroup_id_z 0
		.amdhsa_system_sgpr_workgroup_info 0
		.amdhsa_system_vgpr_workitem_id 0
		.amdhsa_next_free_vgpr 17
		.amdhsa_next_free_sgpr 16
		.amdhsa_reserve_vcc 1
		.amdhsa_float_round_mode_32 0
		.amdhsa_float_round_mode_16_64 0
		.amdhsa_float_denorm_mode_32 3
		.amdhsa_float_denorm_mode_16_64 3
		.amdhsa_dx10_clamp 1
		.amdhsa_ieee_mode 1
		.amdhsa_fp16_overflow 0
		.amdhsa_workgroup_processor_mode 1
		.amdhsa_memory_ordered 1
		.amdhsa_forward_progress 0
		.amdhsa_shared_vgpr_count 0
		.amdhsa_exception_fp_ieee_invalid_op 0
		.amdhsa_exception_fp_denorm_src 0
		.amdhsa_exception_fp_ieee_div_zero 0
		.amdhsa_exception_fp_ieee_overflow 0
		.amdhsa_exception_fp_ieee_underflow 0
		.amdhsa_exception_fp_ieee_inexact 0
		.amdhsa_exception_int_div_zero 0
	.end_amdhsa_kernel
	.section	.text._ZN9rocsparseL20bsrxmvn_17_32_kernelILj19EdiidddEEvT2_20rocsparse_direction_NS_24const_host_device_scalarIT0_EES1_PKS1_PKT1_SA_S7_PKT3_PKT4_S5_PT5_21rocsparse_index_base_b,"axG",@progbits,_ZN9rocsparseL20bsrxmvn_17_32_kernelILj19EdiidddEEvT2_20rocsparse_direction_NS_24const_host_device_scalarIT0_EES1_PKS1_PKT1_SA_S7_PKT3_PKT4_S5_PT5_21rocsparse_index_base_b,comdat
.Lfunc_end18:
	.size	_ZN9rocsparseL20bsrxmvn_17_32_kernelILj19EdiidddEEvT2_20rocsparse_direction_NS_24const_host_device_scalarIT0_EES1_PKS1_PKT1_SA_S7_PKT3_PKT4_S5_PT5_21rocsparse_index_base_b, .Lfunc_end18-_ZN9rocsparseL20bsrxmvn_17_32_kernelILj19EdiidddEEvT2_20rocsparse_direction_NS_24const_host_device_scalarIT0_EES1_PKS1_PKT1_SA_S7_PKT3_PKT4_S5_PT5_21rocsparse_index_base_b
                                        ; -- End function
	.section	.AMDGPU.csdata,"",@progbits
; Kernel info:
; codeLenInByte = 1628
; NumSgprs: 18
; NumVgprs: 17
; ScratchSize: 0
; MemoryBound: 0
; FloatMode: 240
; IeeeMode: 1
; LDSByteSize: 2888 bytes/workgroup (compile time only)
; SGPRBlocks: 2
; VGPRBlocks: 2
; NumSGPRsForWavesPerEU: 18
; NumVGPRsForWavesPerEU: 17
; Occupancy: 15
; WaveLimiterHint : 1
; COMPUTE_PGM_RSRC2:SCRATCH_EN: 0
; COMPUTE_PGM_RSRC2:USER_SGPR: 15
; COMPUTE_PGM_RSRC2:TRAP_HANDLER: 0
; COMPUTE_PGM_RSRC2:TGID_X_EN: 1
; COMPUTE_PGM_RSRC2:TGID_Y_EN: 0
; COMPUTE_PGM_RSRC2:TGID_Z_EN: 0
; COMPUTE_PGM_RSRC2:TIDIG_COMP_CNT: 0
	.section	.text._ZN9rocsparseL20bsrxmvn_17_32_kernelILj20EdiidddEEvT2_20rocsparse_direction_NS_24const_host_device_scalarIT0_EES1_PKS1_PKT1_SA_S7_PKT3_PKT4_S5_PT5_21rocsparse_index_base_b,"axG",@progbits,_ZN9rocsparseL20bsrxmvn_17_32_kernelILj20EdiidddEEvT2_20rocsparse_direction_NS_24const_host_device_scalarIT0_EES1_PKS1_PKT1_SA_S7_PKT3_PKT4_S5_PT5_21rocsparse_index_base_b,comdat
	.globl	_ZN9rocsparseL20bsrxmvn_17_32_kernelILj20EdiidddEEvT2_20rocsparse_direction_NS_24const_host_device_scalarIT0_EES1_PKS1_PKT1_SA_S7_PKT3_PKT4_S5_PT5_21rocsparse_index_base_b ; -- Begin function _ZN9rocsparseL20bsrxmvn_17_32_kernelILj20EdiidddEEvT2_20rocsparse_direction_NS_24const_host_device_scalarIT0_EES1_PKS1_PKT1_SA_S7_PKT3_PKT4_S5_PT5_21rocsparse_index_base_b
	.p2align	8
	.type	_ZN9rocsparseL20bsrxmvn_17_32_kernelILj20EdiidddEEvT2_20rocsparse_direction_NS_24const_host_device_scalarIT0_EES1_PKS1_PKT1_SA_S7_PKT3_PKT4_S5_PT5_21rocsparse_index_base_b,@function
_ZN9rocsparseL20bsrxmvn_17_32_kernelILj20EdiidddEEvT2_20rocsparse_direction_NS_24const_host_device_scalarIT0_EES1_PKS1_PKT1_SA_S7_PKT3_PKT4_S5_PT5_21rocsparse_index_base_b: ; @_ZN9rocsparseL20bsrxmvn_17_32_kernelILj20EdiidddEEvT2_20rocsparse_direction_NS_24const_host_device_scalarIT0_EES1_PKS1_PKT1_SA_S7_PKT3_PKT4_S5_PT5_21rocsparse_index_base_b
; %bb.0:
	s_clause 0x2
	s_load_b64 s[10:11], s[0:1], 0x58
	s_load_b64 s[4:5], s[0:1], 0x8
	;; [unrolled: 1-line block ×3, first 2 shown]
	s_mov_b32 s8, s15
	s_waitcnt lgkmcnt(0)
	s_bitcmp1_b32 s11, 0
	v_dual_mov_b32 v3, s4 :: v_dual_mov_b32 v4, s5
	s_cselect_b32 s6, -1, 0
	s_delay_alu instid0(SALU_CYCLE_1)
	s_and_b32 vcc_lo, exec_lo, s6
	s_xor_b32 s6, s6, -1
	s_cbranch_vccnz .LBB19_2
; %bb.1:
	v_dual_mov_b32 v1, s4 :: v_dual_mov_b32 v2, s5
	flat_load_b64 v[3:4], v[1:2]
.LBB19_2:
	v_dual_mov_b32 v1, s2 :: v_dual_mov_b32 v2, s3
	s_and_not1_b32 vcc_lo, exec_lo, s6
	s_cbranch_vccnz .LBB19_4
; %bb.3:
	v_dual_mov_b32 v1, s2 :: v_dual_mov_b32 v2, s3
	flat_load_b64 v[1:2], v[1:2]
.LBB19_4:
	s_waitcnt vmcnt(0) lgkmcnt(0)
	v_cmp_neq_f64_e32 vcc_lo, 0, v[3:4]
	v_cmp_neq_f64_e64 s2, 1.0, v[1:2]
	s_delay_alu instid0(VALU_DEP_1) | instskip(NEXT) | instid1(SALU_CYCLE_1)
	s_or_b32 s2, vcc_lo, s2
	s_and_saveexec_b32 s3, s2
	s_cbranch_execz .LBB19_38
; %bb.5:
	s_clause 0x1
	s_load_b128 s[4:7], s[0:1], 0x18
	s_load_b64 s[2:3], s[0:1], 0x28
	s_waitcnt lgkmcnt(0)
	s_cmp_eq_u64 s[4:5], 0
	s_cbranch_scc1 .LBB19_7
; %bb.6:
	s_ashr_i32 s9, s8, 31
	s_delay_alu instid0(SALU_CYCLE_1) | instskip(NEXT) | instid1(SALU_CYCLE_1)
	s_lshl_b64 s[8:9], s[8:9], 2
	s_add_u32 s4, s4, s8
	s_addc_u32 s5, s5, s9
	s_load_b32 s4, s[4:5], 0x0
	s_waitcnt lgkmcnt(0)
	s_sub_i32 s8, s4, s10
.LBB19_7:
	s_load_b32 s4, s[0:1], 0x4
	v_mul_u32_u24_e32 v5, 0xccd, v0
	v_lshlrev_b32_e32 v12, 3, v0
	s_delay_alu instid0(VALU_DEP_2) | instskip(NEXT) | instid1(VALU_DEP_1)
	v_lshrrev_b32_e32 v7, 16, v5
	v_mul_lo_u16 v5, v7, 20
	s_delay_alu instid0(VALU_DEP_1)
	v_sub_nc_u16 v13, v0, v5
	v_mov_b32_e32 v5, 0
	v_mov_b32_e32 v6, 0
	s_waitcnt lgkmcnt(0)
	s_cmp_eq_u32 s4, 1
	s_cselect_b32 vcc_lo, -1, 0
	s_cmp_lg_u32 s4, 1
	s_cselect_b32 s11, -1, 0
	s_ashr_i32 s9, s8, 31
	s_delay_alu instid0(SALU_CYCLE_1) | instskip(NEXT) | instid1(SALU_CYCLE_1)
	s_lshl_b64 s[4:5], s[8:9], 2
	s_add_u32 s6, s6, s4
	s_addc_u32 s7, s7, s5
	s_add_u32 s9, s6, 4
	s_addc_u32 s12, s7, 0
	;; [unrolled: 2-line block ×3, first 2 shown]
	s_cmp_eq_u64 s[2:3], 0
	s_cselect_b32 s3, s12, s5
	s_cselect_b32 s2, s9, s4
	s_load_b32 s12, s[6:7], 0x0
	s_load_b32 s9, s[2:3], 0x0
	s_load_b64 s[2:3], s[0:1], 0x50
	s_waitcnt lgkmcnt(0)
	s_cmp_ge_i32 s12, s9
	s_cbranch_scc1 .LBB19_12
; %bb.8:
	v_mul_lo_u16 v5, v7, 13
	s_clause 0x1
	s_load_b128 s[4:7], s[0:1], 0x30
	s_load_b64 s[0:1], s[0:1], 0x40
	v_lshlrev_b32_e32 v8, 3, v0
	v_and_b32_e32 v9, 0xffff, v13
	v_lshrrev_b16 v5, 8, v5
	s_sub_i32 s12, s12, s10
	s_sub_i32 s9, s9, s10
	s_mul_i32 s14, s12, 0xc80
	s_mul_hi_i32 s13, s12, 0xc80
	v_mul_lo_u16 v5, v5, 20
	s_delay_alu instid0(VALU_DEP_1) | instskip(SKIP_1) | instid1(VALU_DEP_2)
	v_sub_nc_u16 v7, v7, v5
	v_mov_b32_e32 v5, 0
	v_dual_mov_b32 v6, 0 :: v_dual_and_b32 v11, 0xff, v7
	v_and_b32_e32 v10, 0xffff, v0
	s_waitcnt lgkmcnt(0)
	s_add_u32 s6, s6, s14
	s_addc_u32 s7, s7, s13
	v_add_co_u32 v7, s6, s6, v8
	v_cndmask_b32_e32 v9, v9, v11, vcc_lo
	v_mul_u32_u24_e32 v10, 0xa4, v10
	v_add_co_ci_u32_e64 v8, null, s7, 0, s6
	s_delay_alu instid0(VALU_DEP_2)
	v_lshrrev_b32_e32 v14, 16, v10
	s_set_inst_prefetch_distance 0x1
	s_branch .LBB19_10
	.p2align	6
.LBB19_9:                               ;   in Loop: Header=BB19_10 Depth=1
	s_or_b32 exec_lo, exec_lo, s6
	s_add_i32 s12, s12, 1
	s_delay_alu instid0(SALU_CYCLE_1)
	s_cmp_lt_i32 s12, s9
	s_cbranch_scc0 .LBB19_12
.LBB19_10:                              ; =>This Inner Loop Header: Depth=1
	s_delay_alu instid0(VALU_DEP_1) | instskip(SKIP_1) | instid1(VALU_DEP_1)
	v_add_nc_u32_e32 v10, s12, v14
	s_mov_b32 s6, exec_lo
	v_cmpx_gt_i32_e64 s9, v10
	s_cbranch_execz .LBB19_9
; %bb.11:                               ;   in Loop: Header=BB19_10 Depth=1
	v_ashrrev_i32_e32 v11, 31, v10
	s_delay_alu instid0(VALU_DEP_1) | instskip(NEXT) | instid1(VALU_DEP_1)
	v_lshlrev_b64 v[10:11], 2, v[10:11]
	v_add_co_u32 v10, vcc_lo, s4, v10
	s_delay_alu instid0(VALU_DEP_2) | instskip(SKIP_3) | instid1(VALU_DEP_1)
	v_add_co_ci_u32_e32 v11, vcc_lo, s5, v11, vcc_lo
	global_load_b32 v10, v[10:11], off
	s_waitcnt vmcnt(0)
	v_subrev_nc_u32_e32 v15, s10, v10
	v_mad_u64_u32 v[10:11], null, v15, 20, v[9:10]
	s_delay_alu instid0(VALU_DEP_1) | instskip(NEXT) | instid1(VALU_DEP_1)
	v_ashrrev_i32_e32 v11, 31, v10
	v_lshlrev_b64 v[10:11], 3, v[10:11]
	s_delay_alu instid0(VALU_DEP_1) | instskip(NEXT) | instid1(VALU_DEP_2)
	v_add_co_u32 v10, vcc_lo, s0, v10
	v_add_co_ci_u32_e32 v11, vcc_lo, s1, v11, vcc_lo
	global_load_b64 v[15:16], v[7:8], off
	global_load_b64 v[10:11], v[10:11], off
	v_add_co_u32 v7, vcc_lo, 0xc80, v7
	v_add_co_ci_u32_e32 v8, vcc_lo, 0, v8, vcc_lo
	s_waitcnt vmcnt(0)
	v_fma_f64 v[5:6], v[15:16], v[10:11], v[5:6]
	s_branch .LBB19_9
.LBB19_12:
	s_set_inst_prefetch_distance 0x2
	s_and_b32 vcc_lo, exec_lo, s11
	ds_store_b64 v12, v[5:6]
	s_waitcnt lgkmcnt(0)
	s_barrier
	buffer_gl0_inv
	s_cbranch_vccz .LBB19_24
; %bb.13:
	v_cmp_gt_u16_e32 vcc_lo, 4, v13
	s_and_saveexec_b32 s0, vcc_lo
	s_cbranch_execz .LBB19_15
; %bb.14:
	ds_load_2addr_b64 v[7:10], v12 offset1:16
	s_waitcnt lgkmcnt(0)
	v_add_f64 v[7:8], v[9:10], v[7:8]
	ds_store_b64 v12, v[7:8]
.LBB19_15:
	s_or_b32 exec_lo, exec_lo, s0
	s_delay_alu instid0(SALU_CYCLE_1)
	s_mov_b32 s1, exec_lo
	s_waitcnt lgkmcnt(0)
	s_barrier
	buffer_gl0_inv
	v_cmpx_gt_u16_e32 8, v13
	s_cbranch_execz .LBB19_17
; %bb.16:
	ds_load_2addr_b64 v[7:10], v12 offset1:8
	s_waitcnt lgkmcnt(0)
	v_add_f64 v[7:8], v[9:10], v[7:8]
	ds_store_b64 v12, v[7:8]
.LBB19_17:
	s_or_b32 exec_lo, exec_lo, s1
	s_waitcnt lgkmcnt(0)
	s_barrier
	buffer_gl0_inv
	s_and_saveexec_b32 s0, vcc_lo
	s_cbranch_execz .LBB19_19
; %bb.18:
	ds_load_2addr_b64 v[7:10], v12 offset1:4
	s_waitcnt lgkmcnt(0)
	v_add_f64 v[7:8], v[9:10], v[7:8]
	ds_store_b64 v12, v[7:8]
.LBB19_19:
	s_or_b32 exec_lo, exec_lo, s0
	s_delay_alu instid0(SALU_CYCLE_1)
	s_mov_b32 s0, exec_lo
	s_waitcnt lgkmcnt(0)
	s_barrier
	buffer_gl0_inv
	v_cmpx_gt_u16_e32 2, v13
	s_cbranch_execz .LBB19_21
; %bb.20:
	ds_load_2addr_b64 v[7:10], v12 offset1:2
	s_waitcnt lgkmcnt(0)
	v_add_f64 v[7:8], v[9:10], v[7:8]
	ds_store_b64 v12, v[7:8]
.LBB19_21:
	s_or_b32 exec_lo, exec_lo, s0
	s_mov_b32 s0, 0
	s_mov_b32 s1, 0
	s_mov_b32 s4, exec_lo
	s_waitcnt lgkmcnt(0)
	s_barrier
	buffer_gl0_inv
                                        ; implicit-def: $vgpr7
                                        ; implicit-def: $vgpr8
	v_cmpx_gt_u32_e32 20, v0
	s_xor_b32 s4, exec_lo, s4
; %bb.22:
	v_mul_u32_u24_e32 v7, 20, v0
	v_mad_u32_u24 v8, 0x98, v0, v12
	s_mov_b32 s1, exec_lo
	s_delay_alu instid0(VALU_DEP_2)
	v_or_b32_e32 v7, 1, v7
; %bb.23:
	s_or_b32 exec_lo, exec_lo, s4
	s_delay_alu instid0(SALU_CYCLE_1)
	s_and_b32 vcc_lo, exec_lo, s0
	s_cbranch_vccnz .LBB19_25
	s_branch .LBB19_36
.LBB19_24:
	s_mov_b32 s1, 0
                                        ; implicit-def: $vgpr7
                                        ; implicit-def: $vgpr8
	s_cbranch_execz .LBB19_36
.LBB19_25:
	v_cmp_gt_u32_e32 vcc_lo, 0x50, v0
	s_and_saveexec_b32 s0, vcc_lo
	s_cbranch_execz .LBB19_27
; %bb.26:
	ds_load_2addr_stride64_b64 v[7:10], v12 offset1:5
	s_waitcnt lgkmcnt(0)
	v_add_f64 v[7:8], v[9:10], v[7:8]
	ds_store_b64 v12, v[7:8]
.LBB19_27:
	s_or_b32 exec_lo, exec_lo, s0
	s_delay_alu instid0(SALU_CYCLE_1)
	s_mov_b32 s4, exec_lo
	s_waitcnt lgkmcnt(0)
	s_barrier
	buffer_gl0_inv
	v_cmpx_gt_u32_e32 0xa0, v0
	s_cbranch_execz .LBB19_29
; %bb.28:
	ds_load_2addr_b64 v[7:10], v12 offset1:160
	s_waitcnt lgkmcnt(0)
	v_add_f64 v[7:8], v[9:10], v[7:8]
	ds_store_b64 v12, v[7:8]
.LBB19_29:
	s_or_b32 exec_lo, exec_lo, s4
	s_waitcnt lgkmcnt(0)
	s_barrier
	buffer_gl0_inv
	s_and_saveexec_b32 s0, vcc_lo
	s_cbranch_execz .LBB19_31
; %bb.30:
	ds_load_2addr_b64 v[7:10], v12 offset1:80
	s_waitcnt lgkmcnt(0)
	v_add_f64 v[7:8], v[9:10], v[7:8]
	ds_store_b64 v12, v[7:8]
.LBB19_31:
	s_or_b32 exec_lo, exec_lo, s0
	s_delay_alu instid0(SALU_CYCLE_1)
	s_mov_b32 s0, exec_lo
	s_waitcnt lgkmcnt(0)
	s_barrier
	buffer_gl0_inv
	v_cmpx_gt_u32_e32 40, v0
	s_cbranch_execz .LBB19_33
; %bb.32:
	ds_load_2addr_b64 v[7:10], v12 offset1:40
	s_waitcnt lgkmcnt(0)
	v_add_f64 v[7:8], v[9:10], v[7:8]
	ds_store_b64 v12, v[7:8]
.LBB19_33:
	s_or_b32 exec_lo, exec_lo, s0
	s_delay_alu instid0(SALU_CYCLE_1)
	s_mov_b32 s0, exec_lo
	s_waitcnt lgkmcnt(0)
	buffer_gl0_inv
                                        ; implicit-def: $vgpr7
	v_cmpx_gt_u32_e32 20, v0
; %bb.34:
	v_add_nc_u32_e32 v7, 20, v0
	s_or_b32 s1, s1, exec_lo
                                        ; implicit-def: $vgpr5_vgpr6
; %bb.35:
	s_or_b32 exec_lo, exec_lo, s0
	v_mov_b32_e32 v8, v12
.LBB19_36:
	s_and_saveexec_b32 s0, s1
	s_cbranch_execnz .LBB19_39
; %bb.37:
	s_or_b32 exec_lo, exec_lo, s0
	v_cmp_gt_u32_e32 vcc_lo, 20, v0
	s_and_b32 exec_lo, exec_lo, vcc_lo
	s_cbranch_execnz .LBB19_40
.LBB19_38:
	s_nop 0
	s_sendmsg sendmsg(MSG_DEALLOC_VGPRS)
	s_endpgm
.LBB19_39:
	v_lshlrev_b32_e32 v7, 3, v7
	ds_load_b64 v[5:6], v8
	ds_load_b64 v[7:8], v7
	s_waitcnt lgkmcnt(0)
	v_add_f64 v[5:6], v[5:6], v[7:8]
	s_or_b32 exec_lo, exec_lo, s0
	v_cmp_gt_u32_e32 vcc_lo, 20, v0
	s_and_b32 exec_lo, exec_lo, vcc_lo
	s_cbranch_execz .LBB19_38
.LBB19_40:
	s_delay_alu instid0(VALU_DEP_2)
	v_mul_f64 v[3:4], v[3:4], v[5:6]
	s_mov_b32 s0, exec_lo
	v_cmpx_eq_f64_e32 0, v[1:2]
	s_xor_b32 s0, exec_lo, s0
	s_cbranch_execz .LBB19_42
; %bb.41:
	v_mad_u64_u32 v[1:2], null, s8, 20, v[0:1]
	v_mov_b32_e32 v2, 0
	s_delay_alu instid0(VALU_DEP_1) | instskip(NEXT) | instid1(VALU_DEP_1)
	v_lshlrev_b64 v[0:1], 3, v[1:2]
	v_add_co_u32 v0, vcc_lo, s2, v0
	s_delay_alu instid0(VALU_DEP_2)
	v_add_co_ci_u32_e32 v1, vcc_lo, s3, v1, vcc_lo
	global_store_b64 v[0:1], v[3:4], off
                                        ; implicit-def: $vgpr0
                                        ; implicit-def: $vgpr1_vgpr2
                                        ; implicit-def: $vgpr3_vgpr4
.LBB19_42:
	s_and_not1_saveexec_b32 s0, s0
	s_cbranch_execz .LBB19_38
; %bb.43:
	v_mad_u64_u32 v[5:6], null, s8, 20, v[0:1]
	v_mov_b32_e32 v6, 0
	s_delay_alu instid0(VALU_DEP_1) | instskip(NEXT) | instid1(VALU_DEP_1)
	v_lshlrev_b64 v[5:6], 3, v[5:6]
	v_add_co_u32 v5, vcc_lo, s2, v5
	s_delay_alu instid0(VALU_DEP_2)
	v_add_co_ci_u32_e32 v6, vcc_lo, s3, v6, vcc_lo
	global_load_b64 v[7:8], v[5:6], off
	s_waitcnt vmcnt(0)
	v_fma_f64 v[0:1], v[1:2], v[7:8], v[3:4]
	global_store_b64 v[5:6], v[0:1], off
	s_nop 0
	s_sendmsg sendmsg(MSG_DEALLOC_VGPRS)
	s_endpgm
	.section	.rodata,"a",@progbits
	.p2align	6, 0x0
	.amdhsa_kernel _ZN9rocsparseL20bsrxmvn_17_32_kernelILj20EdiidddEEvT2_20rocsparse_direction_NS_24const_host_device_scalarIT0_EES1_PKS1_PKT1_SA_S7_PKT3_PKT4_S5_PT5_21rocsparse_index_base_b
		.amdhsa_group_segment_fixed_size 3200
		.amdhsa_private_segment_fixed_size 0
		.amdhsa_kernarg_size 96
		.amdhsa_user_sgpr_count 15
		.amdhsa_user_sgpr_dispatch_ptr 0
		.amdhsa_user_sgpr_queue_ptr 0
		.amdhsa_user_sgpr_kernarg_segment_ptr 1
		.amdhsa_user_sgpr_dispatch_id 0
		.amdhsa_user_sgpr_private_segment_size 0
		.amdhsa_wavefront_size32 1
		.amdhsa_uses_dynamic_stack 0
		.amdhsa_enable_private_segment 0
		.amdhsa_system_sgpr_workgroup_id_x 1
		.amdhsa_system_sgpr_workgroup_id_y 0
		.amdhsa_system_sgpr_workgroup_id_z 0
		.amdhsa_system_sgpr_workgroup_info 0
		.amdhsa_system_vgpr_workitem_id 0
		.amdhsa_next_free_vgpr 17
		.amdhsa_next_free_sgpr 16
		.amdhsa_reserve_vcc 1
		.amdhsa_float_round_mode_32 0
		.amdhsa_float_round_mode_16_64 0
		.amdhsa_float_denorm_mode_32 3
		.amdhsa_float_denorm_mode_16_64 3
		.amdhsa_dx10_clamp 1
		.amdhsa_ieee_mode 1
		.amdhsa_fp16_overflow 0
		.amdhsa_workgroup_processor_mode 1
		.amdhsa_memory_ordered 1
		.amdhsa_forward_progress 0
		.amdhsa_shared_vgpr_count 0
		.amdhsa_exception_fp_ieee_invalid_op 0
		.amdhsa_exception_fp_denorm_src 0
		.amdhsa_exception_fp_ieee_div_zero 0
		.amdhsa_exception_fp_ieee_overflow 0
		.amdhsa_exception_fp_ieee_underflow 0
		.amdhsa_exception_fp_ieee_inexact 0
		.amdhsa_exception_int_div_zero 0
	.end_amdhsa_kernel
	.section	.text._ZN9rocsparseL20bsrxmvn_17_32_kernelILj20EdiidddEEvT2_20rocsparse_direction_NS_24const_host_device_scalarIT0_EES1_PKS1_PKT1_SA_S7_PKT3_PKT4_S5_PT5_21rocsparse_index_base_b,"axG",@progbits,_ZN9rocsparseL20bsrxmvn_17_32_kernelILj20EdiidddEEvT2_20rocsparse_direction_NS_24const_host_device_scalarIT0_EES1_PKS1_PKT1_SA_S7_PKT3_PKT4_S5_PT5_21rocsparse_index_base_b,comdat
.Lfunc_end19:
	.size	_ZN9rocsparseL20bsrxmvn_17_32_kernelILj20EdiidddEEvT2_20rocsparse_direction_NS_24const_host_device_scalarIT0_EES1_PKS1_PKT1_SA_S7_PKT3_PKT4_S5_PT5_21rocsparse_index_base_b, .Lfunc_end19-_ZN9rocsparseL20bsrxmvn_17_32_kernelILj20EdiidddEEvT2_20rocsparse_direction_NS_24const_host_device_scalarIT0_EES1_PKS1_PKT1_SA_S7_PKT3_PKT4_S5_PT5_21rocsparse_index_base_b
                                        ; -- End function
	.section	.AMDGPU.csdata,"",@progbits
; Kernel info:
; codeLenInByte = 1608
; NumSgprs: 18
; NumVgprs: 17
; ScratchSize: 0
; MemoryBound: 0
; FloatMode: 240
; IeeeMode: 1
; LDSByteSize: 3200 bytes/workgroup (compile time only)
; SGPRBlocks: 2
; VGPRBlocks: 2
; NumSGPRsForWavesPerEU: 18
; NumVGPRsForWavesPerEU: 17
; Occupancy: 13
; WaveLimiterHint : 1
; COMPUTE_PGM_RSRC2:SCRATCH_EN: 0
; COMPUTE_PGM_RSRC2:USER_SGPR: 15
; COMPUTE_PGM_RSRC2:TRAP_HANDLER: 0
; COMPUTE_PGM_RSRC2:TGID_X_EN: 1
; COMPUTE_PGM_RSRC2:TGID_Y_EN: 0
; COMPUTE_PGM_RSRC2:TGID_Z_EN: 0
; COMPUTE_PGM_RSRC2:TIDIG_COMP_CNT: 0
	.section	.text._ZN9rocsparseL20bsrxmvn_17_32_kernelILj21EdiidddEEvT2_20rocsparse_direction_NS_24const_host_device_scalarIT0_EES1_PKS1_PKT1_SA_S7_PKT3_PKT4_S5_PT5_21rocsparse_index_base_b,"axG",@progbits,_ZN9rocsparseL20bsrxmvn_17_32_kernelILj21EdiidddEEvT2_20rocsparse_direction_NS_24const_host_device_scalarIT0_EES1_PKS1_PKT1_SA_S7_PKT3_PKT4_S5_PT5_21rocsparse_index_base_b,comdat
	.globl	_ZN9rocsparseL20bsrxmvn_17_32_kernelILj21EdiidddEEvT2_20rocsparse_direction_NS_24const_host_device_scalarIT0_EES1_PKS1_PKT1_SA_S7_PKT3_PKT4_S5_PT5_21rocsparse_index_base_b ; -- Begin function _ZN9rocsparseL20bsrxmvn_17_32_kernelILj21EdiidddEEvT2_20rocsparse_direction_NS_24const_host_device_scalarIT0_EES1_PKS1_PKT1_SA_S7_PKT3_PKT4_S5_PT5_21rocsparse_index_base_b
	.p2align	8
	.type	_ZN9rocsparseL20bsrxmvn_17_32_kernelILj21EdiidddEEvT2_20rocsparse_direction_NS_24const_host_device_scalarIT0_EES1_PKS1_PKT1_SA_S7_PKT3_PKT4_S5_PT5_21rocsparse_index_base_b,@function
_ZN9rocsparseL20bsrxmvn_17_32_kernelILj21EdiidddEEvT2_20rocsparse_direction_NS_24const_host_device_scalarIT0_EES1_PKS1_PKT1_SA_S7_PKT3_PKT4_S5_PT5_21rocsparse_index_base_b: ; @_ZN9rocsparseL20bsrxmvn_17_32_kernelILj21EdiidddEEvT2_20rocsparse_direction_NS_24const_host_device_scalarIT0_EES1_PKS1_PKT1_SA_S7_PKT3_PKT4_S5_PT5_21rocsparse_index_base_b
; %bb.0:
	s_clause 0x2
	s_load_b64 s[10:11], s[0:1], 0x58
	s_load_b64 s[4:5], s[0:1], 0x8
	;; [unrolled: 1-line block ×3, first 2 shown]
	s_mov_b32 s8, s15
	s_waitcnt lgkmcnt(0)
	s_bitcmp1_b32 s11, 0
	v_dual_mov_b32 v3, s4 :: v_dual_mov_b32 v4, s5
	s_cselect_b32 s6, -1, 0
	s_delay_alu instid0(SALU_CYCLE_1)
	s_and_b32 vcc_lo, exec_lo, s6
	s_xor_b32 s6, s6, -1
	s_cbranch_vccnz .LBB20_2
; %bb.1:
	v_dual_mov_b32 v1, s4 :: v_dual_mov_b32 v2, s5
	flat_load_b64 v[3:4], v[1:2]
.LBB20_2:
	v_dual_mov_b32 v1, s2 :: v_dual_mov_b32 v2, s3
	s_and_not1_b32 vcc_lo, exec_lo, s6
	s_cbranch_vccnz .LBB20_4
; %bb.3:
	v_dual_mov_b32 v1, s2 :: v_dual_mov_b32 v2, s3
	flat_load_b64 v[1:2], v[1:2]
.LBB20_4:
	s_waitcnt vmcnt(0) lgkmcnt(0)
	v_cmp_neq_f64_e32 vcc_lo, 0, v[3:4]
	v_cmp_neq_f64_e64 s2, 1.0, v[1:2]
	s_delay_alu instid0(VALU_DEP_1) | instskip(NEXT) | instid1(SALU_CYCLE_1)
	s_or_b32 s2, vcc_lo, s2
	s_and_saveexec_b32 s3, s2
	s_cbranch_execz .LBB20_38
; %bb.5:
	s_clause 0x1
	s_load_b128 s[4:7], s[0:1], 0x18
	s_load_b64 s[2:3], s[0:1], 0x28
	s_waitcnt lgkmcnt(0)
	s_cmp_eq_u64 s[4:5], 0
	s_cbranch_scc1 .LBB20_7
; %bb.6:
	s_ashr_i32 s9, s8, 31
	s_delay_alu instid0(SALU_CYCLE_1) | instskip(NEXT) | instid1(SALU_CYCLE_1)
	s_lshl_b64 s[8:9], s[8:9], 2
	s_add_u32 s4, s4, s8
	s_addc_u32 s5, s5, s9
	s_load_b32 s4, s[4:5], 0x0
	s_waitcnt lgkmcnt(0)
	s_sub_i32 s8, s4, s10
.LBB20_7:
	s_load_b32 s4, s[0:1], 0x4
	v_mul_u32_u24_e32 v5, 0xc31, v0
	v_lshlrev_b32_e32 v12, 3, v0
	s_delay_alu instid0(VALU_DEP_2) | instskip(NEXT) | instid1(VALU_DEP_1)
	v_lshrrev_b32_e32 v7, 16, v5
	v_mul_lo_u16 v5, v7, 21
	s_delay_alu instid0(VALU_DEP_1)
	v_sub_nc_u16 v13, v0, v5
	v_mov_b32_e32 v5, 0
	v_mov_b32_e32 v6, 0
	s_waitcnt lgkmcnt(0)
	s_cmp_eq_u32 s4, 1
	s_cselect_b32 vcc_lo, -1, 0
	s_cmp_lg_u32 s4, 1
	s_cselect_b32 s11, -1, 0
	s_ashr_i32 s9, s8, 31
	s_delay_alu instid0(SALU_CYCLE_1) | instskip(NEXT) | instid1(SALU_CYCLE_1)
	s_lshl_b64 s[4:5], s[8:9], 2
	s_add_u32 s6, s6, s4
	s_addc_u32 s7, s7, s5
	s_add_u32 s9, s6, 4
	s_addc_u32 s12, s7, 0
	;; [unrolled: 2-line block ×3, first 2 shown]
	s_cmp_eq_u64 s[2:3], 0
	s_cselect_b32 s3, s12, s5
	s_cselect_b32 s2, s9, s4
	s_load_b32 s12, s[6:7], 0x0
	s_load_b32 s9, s[2:3], 0x0
	s_load_b64 s[2:3], s[0:1], 0x50
	s_waitcnt lgkmcnt(0)
	s_cmp_ge_i32 s12, s9
	s_cbranch_scc1 .LBB20_12
; %bb.8:
	v_mul_lo_u16 v5, v7, 25
	s_clause 0x1
	s_load_b128 s[4:7], s[0:1], 0x30
	s_load_b64 s[0:1], s[0:1], 0x40
	v_lshlrev_b32_e32 v8, 3, v0
	v_and_b32_e32 v9, 0xffff, v13
	v_lshrrev_b16 v5, 9, v5
	s_sub_i32 s12, s12, s10
	s_sub_i32 s9, s9, s10
	s_mul_i32 s14, s12, 0xdc8
	s_mul_hi_i32 s13, s12, 0xdc8
	v_mul_lo_u16 v5, v5, 21
	s_delay_alu instid0(VALU_DEP_1) | instskip(SKIP_1) | instid1(VALU_DEP_2)
	v_sub_nc_u16 v7, v7, v5
	v_mov_b32_e32 v5, 0
	v_dual_mov_b32 v6, 0 :: v_dual_and_b32 v11, 0xff, v7
	v_and_b32_e32 v10, 0xffff, v0
	s_waitcnt lgkmcnt(0)
	s_add_u32 s6, s6, s14
	s_addc_u32 s7, s7, s13
	v_add_co_u32 v7, s6, s6, v8
	v_cndmask_b32_e32 v9, v9, v11, vcc_lo
	v_mul_u32_u24_e32 v10, 0x253, v10
	v_add_co_ci_u32_e64 v8, null, s7, 0, s6
	s_delay_alu instid0(VALU_DEP_2)
	v_lshrrev_b32_e32 v14, 18, v10
	s_set_inst_prefetch_distance 0x1
	s_branch .LBB20_10
	.p2align	6
.LBB20_9:                               ;   in Loop: Header=BB20_10 Depth=1
	s_or_b32 exec_lo, exec_lo, s6
	s_add_i32 s12, s12, 1
	s_delay_alu instid0(SALU_CYCLE_1)
	s_cmp_lt_i32 s12, s9
	s_cbranch_scc0 .LBB20_12
.LBB20_10:                              ; =>This Inner Loop Header: Depth=1
	s_delay_alu instid0(VALU_DEP_1) | instskip(SKIP_1) | instid1(VALU_DEP_1)
	v_add_nc_u32_e32 v10, s12, v14
	s_mov_b32 s6, exec_lo
	v_cmpx_gt_i32_e64 s9, v10
	s_cbranch_execz .LBB20_9
; %bb.11:                               ;   in Loop: Header=BB20_10 Depth=1
	v_ashrrev_i32_e32 v11, 31, v10
	s_delay_alu instid0(VALU_DEP_1) | instskip(NEXT) | instid1(VALU_DEP_1)
	v_lshlrev_b64 v[10:11], 2, v[10:11]
	v_add_co_u32 v10, vcc_lo, s4, v10
	s_delay_alu instid0(VALU_DEP_2) | instskip(SKIP_3) | instid1(VALU_DEP_1)
	v_add_co_ci_u32_e32 v11, vcc_lo, s5, v11, vcc_lo
	global_load_b32 v10, v[10:11], off
	s_waitcnt vmcnt(0)
	v_subrev_nc_u32_e32 v15, s10, v10
	v_mad_u64_u32 v[10:11], null, v15, 21, v[9:10]
	s_delay_alu instid0(VALU_DEP_1) | instskip(NEXT) | instid1(VALU_DEP_1)
	v_ashrrev_i32_e32 v11, 31, v10
	v_lshlrev_b64 v[10:11], 3, v[10:11]
	s_delay_alu instid0(VALU_DEP_1) | instskip(NEXT) | instid1(VALU_DEP_2)
	v_add_co_u32 v10, vcc_lo, s0, v10
	v_add_co_ci_u32_e32 v11, vcc_lo, s1, v11, vcc_lo
	global_load_b64 v[15:16], v[7:8], off
	global_load_b64 v[10:11], v[10:11], off
	v_add_co_u32 v7, vcc_lo, 0xdc8, v7
	v_add_co_ci_u32_e32 v8, vcc_lo, 0, v8, vcc_lo
	s_waitcnt vmcnt(0)
	v_fma_f64 v[5:6], v[15:16], v[10:11], v[5:6]
	s_branch .LBB20_9
.LBB20_12:
	s_set_inst_prefetch_distance 0x2
	s_and_b32 vcc_lo, exec_lo, s11
	ds_store_b64 v12, v[5:6]
	s_waitcnt lgkmcnt(0)
	s_barrier
	buffer_gl0_inv
	s_cbranch_vccz .LBB20_24
; %bb.13:
	s_mov_b32 s0, exec_lo
	v_cmpx_gt_u16_e32 5, v13
	s_cbranch_execz .LBB20_15
; %bb.14:
	ds_load_2addr_b64 v[7:10], v12 offset1:16
	s_waitcnt lgkmcnt(0)
	v_add_f64 v[7:8], v[9:10], v[7:8]
	ds_store_b64 v12, v[7:8]
.LBB20_15:
	s_or_b32 exec_lo, exec_lo, s0
	s_delay_alu instid0(SALU_CYCLE_1)
	s_mov_b32 s0, exec_lo
	s_waitcnt lgkmcnt(0)
	s_barrier
	buffer_gl0_inv
	v_cmpx_gt_u16_e32 8, v13
	s_cbranch_execz .LBB20_17
; %bb.16:
	ds_load_2addr_b64 v[7:10], v12 offset1:8
	s_waitcnt lgkmcnt(0)
	v_add_f64 v[7:8], v[9:10], v[7:8]
	ds_store_b64 v12, v[7:8]
.LBB20_17:
	s_or_b32 exec_lo, exec_lo, s0
	s_delay_alu instid0(SALU_CYCLE_1)
	s_mov_b32 s0, exec_lo
	s_waitcnt lgkmcnt(0)
	s_barrier
	buffer_gl0_inv
	;; [unrolled: 14-line block ×3, first 2 shown]
	v_cmpx_gt_u16_e32 2, v13
	s_cbranch_execz .LBB20_21
; %bb.20:
	ds_load_2addr_b64 v[7:10], v12 offset1:2
	s_waitcnt lgkmcnt(0)
	v_add_f64 v[7:8], v[9:10], v[7:8]
	ds_store_b64 v12, v[7:8]
.LBB20_21:
	s_or_b32 exec_lo, exec_lo, s0
	s_mov_b32 s1, 0
	s_mov_b32 s0, 0
	s_mov_b32 s4, exec_lo
	s_waitcnt lgkmcnt(0)
	s_barrier
	buffer_gl0_inv
                                        ; implicit-def: $vgpr7
                                        ; implicit-def: $vgpr8
	v_cmpx_gt_u32_e32 21, v0
	s_xor_b32 s4, exec_lo, s4
; %bb.22:
	v_mad_u32_u24 v7, v0, 21, 1
	v_mad_u32_u24 v8, 0xa0, v0, v12
	s_mov_b32 s0, exec_lo
; %bb.23:
	s_or_b32 exec_lo, exec_lo, s4
	s_delay_alu instid0(SALU_CYCLE_1)
	s_and_b32 vcc_lo, exec_lo, s1
	s_cbranch_vccnz .LBB20_25
	s_branch .LBB20_36
.LBB20_24:
	s_mov_b32 s0, 0
                                        ; implicit-def: $vgpr7
                                        ; implicit-def: $vgpr8
	s_cbranch_execz .LBB20_36
.LBB20_25:
	s_mov_b32 s1, exec_lo
	v_cmpx_gt_u32_e32 0x69, v0
	s_cbranch_execz .LBB20_27
; %bb.26:
	ds_load_b64 v[7:8], v12 offset:2688
	ds_load_b64 v[9:10], v12
	s_waitcnt lgkmcnt(0)
	v_add_f64 v[7:8], v[7:8], v[9:10]
	ds_store_b64 v12, v[7:8]
.LBB20_27:
	s_or_b32 exec_lo, exec_lo, s1
	s_delay_alu instid0(SALU_CYCLE_1)
	s_mov_b32 s1, exec_lo
	s_waitcnt lgkmcnt(0)
	s_barrier
	buffer_gl0_inv
	v_cmpx_gt_u32_e32 0xa8, v0
	s_cbranch_execz .LBB20_29
; %bb.28:
	ds_load_2addr_b64 v[7:10], v12 offset1:168
	s_waitcnt lgkmcnt(0)
	v_add_f64 v[7:8], v[9:10], v[7:8]
	ds_store_b64 v12, v[7:8]
.LBB20_29:
	s_or_b32 exec_lo, exec_lo, s1
	s_delay_alu instid0(SALU_CYCLE_1)
	s_mov_b32 s1, exec_lo
	s_waitcnt lgkmcnt(0)
	s_barrier
	buffer_gl0_inv
	v_cmpx_gt_u32_e32 0x54, v0
	s_cbranch_execz .LBB20_31
; %bb.30:
	ds_load_2addr_b64 v[7:10], v12 offset1:84
	s_waitcnt lgkmcnt(0)
	v_add_f64 v[7:8], v[9:10], v[7:8]
	ds_store_b64 v12, v[7:8]
.LBB20_31:
	;; [unrolled: 14-line block ×3, first 2 shown]
	s_or_b32 exec_lo, exec_lo, s1
	s_delay_alu instid0(SALU_CYCLE_1)
	s_mov_b32 s1, exec_lo
	s_waitcnt lgkmcnt(0)
	buffer_gl0_inv
                                        ; implicit-def: $vgpr7
	v_cmpx_gt_u32_e32 21, v0
; %bb.34:
	v_add_nc_u32_e32 v7, 21, v0
	s_or_b32 s0, s0, exec_lo
                                        ; implicit-def: $vgpr5_vgpr6
; %bb.35:
	s_or_b32 exec_lo, exec_lo, s1
	v_mov_b32_e32 v8, v12
.LBB20_36:
	s_and_saveexec_b32 s1, s0
	s_cbranch_execnz .LBB20_39
; %bb.37:
	s_or_b32 exec_lo, exec_lo, s1
	v_cmp_gt_u32_e32 vcc_lo, 21, v0
	s_and_b32 exec_lo, exec_lo, vcc_lo
	s_cbranch_execnz .LBB20_40
.LBB20_38:
	s_nop 0
	s_sendmsg sendmsg(MSG_DEALLOC_VGPRS)
	s_endpgm
.LBB20_39:
	v_lshlrev_b32_e32 v7, 3, v7
	ds_load_b64 v[5:6], v8
	ds_load_b64 v[7:8], v7
	s_waitcnt lgkmcnt(0)
	v_add_f64 v[5:6], v[5:6], v[7:8]
	s_or_b32 exec_lo, exec_lo, s1
	v_cmp_gt_u32_e32 vcc_lo, 21, v0
	s_and_b32 exec_lo, exec_lo, vcc_lo
	s_cbranch_execz .LBB20_38
.LBB20_40:
	s_delay_alu instid0(VALU_DEP_2)
	v_mul_f64 v[3:4], v[3:4], v[5:6]
	s_mov_b32 s0, exec_lo
	v_cmpx_eq_f64_e32 0, v[1:2]
	s_xor_b32 s0, exec_lo, s0
	s_cbranch_execz .LBB20_42
; %bb.41:
	v_mad_u64_u32 v[1:2], null, s8, 21, v[0:1]
	v_mov_b32_e32 v2, 0
	s_delay_alu instid0(VALU_DEP_1) | instskip(NEXT) | instid1(VALU_DEP_1)
	v_lshlrev_b64 v[0:1], 3, v[1:2]
	v_add_co_u32 v0, vcc_lo, s2, v0
	s_delay_alu instid0(VALU_DEP_2)
	v_add_co_ci_u32_e32 v1, vcc_lo, s3, v1, vcc_lo
	global_store_b64 v[0:1], v[3:4], off
                                        ; implicit-def: $vgpr0
                                        ; implicit-def: $vgpr1_vgpr2
                                        ; implicit-def: $vgpr3_vgpr4
.LBB20_42:
	s_and_not1_saveexec_b32 s0, s0
	s_cbranch_execz .LBB20_38
; %bb.43:
	v_mad_u64_u32 v[5:6], null, s8, 21, v[0:1]
	v_mov_b32_e32 v6, 0
	s_delay_alu instid0(VALU_DEP_1) | instskip(NEXT) | instid1(VALU_DEP_1)
	v_lshlrev_b64 v[5:6], 3, v[5:6]
	v_add_co_u32 v5, vcc_lo, s2, v5
	s_delay_alu instid0(VALU_DEP_2)
	v_add_co_ci_u32_e32 v6, vcc_lo, s3, v6, vcc_lo
	global_load_b64 v[7:8], v[5:6], off
	s_waitcnt vmcnt(0)
	v_fma_f64 v[0:1], v[1:2], v[7:8], v[3:4]
	global_store_b64 v[5:6], v[0:1], off
	s_nop 0
	s_sendmsg sendmsg(MSG_DEALLOC_VGPRS)
	s_endpgm
	.section	.rodata,"a",@progbits
	.p2align	6, 0x0
	.amdhsa_kernel _ZN9rocsparseL20bsrxmvn_17_32_kernelILj21EdiidddEEvT2_20rocsparse_direction_NS_24const_host_device_scalarIT0_EES1_PKS1_PKT1_SA_S7_PKT3_PKT4_S5_PT5_21rocsparse_index_base_b
		.amdhsa_group_segment_fixed_size 3528
		.amdhsa_private_segment_fixed_size 0
		.amdhsa_kernarg_size 96
		.amdhsa_user_sgpr_count 15
		.amdhsa_user_sgpr_dispatch_ptr 0
		.amdhsa_user_sgpr_queue_ptr 0
		.amdhsa_user_sgpr_kernarg_segment_ptr 1
		.amdhsa_user_sgpr_dispatch_id 0
		.amdhsa_user_sgpr_private_segment_size 0
		.amdhsa_wavefront_size32 1
		.amdhsa_uses_dynamic_stack 0
		.amdhsa_enable_private_segment 0
		.amdhsa_system_sgpr_workgroup_id_x 1
		.amdhsa_system_sgpr_workgroup_id_y 0
		.amdhsa_system_sgpr_workgroup_id_z 0
		.amdhsa_system_sgpr_workgroup_info 0
		.amdhsa_system_vgpr_workitem_id 0
		.amdhsa_next_free_vgpr 17
		.amdhsa_next_free_sgpr 16
		.amdhsa_reserve_vcc 1
		.amdhsa_float_round_mode_32 0
		.amdhsa_float_round_mode_16_64 0
		.amdhsa_float_denorm_mode_32 3
		.amdhsa_float_denorm_mode_16_64 3
		.amdhsa_dx10_clamp 1
		.amdhsa_ieee_mode 1
		.amdhsa_fp16_overflow 0
		.amdhsa_workgroup_processor_mode 1
		.amdhsa_memory_ordered 1
		.amdhsa_forward_progress 0
		.amdhsa_shared_vgpr_count 0
		.amdhsa_exception_fp_ieee_invalid_op 0
		.amdhsa_exception_fp_denorm_src 0
		.amdhsa_exception_fp_ieee_div_zero 0
		.amdhsa_exception_fp_ieee_overflow 0
		.amdhsa_exception_fp_ieee_underflow 0
		.amdhsa_exception_fp_ieee_inexact 0
		.amdhsa_exception_int_div_zero 0
	.end_amdhsa_kernel
	.section	.text._ZN9rocsparseL20bsrxmvn_17_32_kernelILj21EdiidddEEvT2_20rocsparse_direction_NS_24const_host_device_scalarIT0_EES1_PKS1_PKT1_SA_S7_PKT3_PKT4_S5_PT5_21rocsparse_index_base_b,"axG",@progbits,_ZN9rocsparseL20bsrxmvn_17_32_kernelILj21EdiidddEEvT2_20rocsparse_direction_NS_24const_host_device_scalarIT0_EES1_PKS1_PKT1_SA_S7_PKT3_PKT4_S5_PT5_21rocsparse_index_base_b,comdat
.Lfunc_end20:
	.size	_ZN9rocsparseL20bsrxmvn_17_32_kernelILj21EdiidddEEvT2_20rocsparse_direction_NS_24const_host_device_scalarIT0_EES1_PKS1_PKT1_SA_S7_PKT3_PKT4_S5_PT5_21rocsparse_index_base_b, .Lfunc_end20-_ZN9rocsparseL20bsrxmvn_17_32_kernelILj21EdiidddEEvT2_20rocsparse_direction_NS_24const_host_device_scalarIT0_EES1_PKS1_PKT1_SA_S7_PKT3_PKT4_S5_PT5_21rocsparse_index_base_b
                                        ; -- End function
	.section	.AMDGPU.csdata,"",@progbits
; Kernel info:
; codeLenInByte = 1632
; NumSgprs: 18
; NumVgprs: 17
; ScratchSize: 0
; MemoryBound: 0
; FloatMode: 240
; IeeeMode: 1
; LDSByteSize: 3528 bytes/workgroup (compile time only)
; SGPRBlocks: 2
; VGPRBlocks: 2
; NumSGPRsForWavesPerEU: 18
; NumVGPRsForWavesPerEU: 17
; Occupancy: 14
; WaveLimiterHint : 1
; COMPUTE_PGM_RSRC2:SCRATCH_EN: 0
; COMPUTE_PGM_RSRC2:USER_SGPR: 15
; COMPUTE_PGM_RSRC2:TRAP_HANDLER: 0
; COMPUTE_PGM_RSRC2:TGID_X_EN: 1
; COMPUTE_PGM_RSRC2:TGID_Y_EN: 0
; COMPUTE_PGM_RSRC2:TGID_Z_EN: 0
; COMPUTE_PGM_RSRC2:TIDIG_COMP_CNT: 0
	.section	.text._ZN9rocsparseL20bsrxmvn_17_32_kernelILj22EdiidddEEvT2_20rocsparse_direction_NS_24const_host_device_scalarIT0_EES1_PKS1_PKT1_SA_S7_PKT3_PKT4_S5_PT5_21rocsparse_index_base_b,"axG",@progbits,_ZN9rocsparseL20bsrxmvn_17_32_kernelILj22EdiidddEEvT2_20rocsparse_direction_NS_24const_host_device_scalarIT0_EES1_PKS1_PKT1_SA_S7_PKT3_PKT4_S5_PT5_21rocsparse_index_base_b,comdat
	.globl	_ZN9rocsparseL20bsrxmvn_17_32_kernelILj22EdiidddEEvT2_20rocsparse_direction_NS_24const_host_device_scalarIT0_EES1_PKS1_PKT1_SA_S7_PKT3_PKT4_S5_PT5_21rocsparse_index_base_b ; -- Begin function _ZN9rocsparseL20bsrxmvn_17_32_kernelILj22EdiidddEEvT2_20rocsparse_direction_NS_24const_host_device_scalarIT0_EES1_PKS1_PKT1_SA_S7_PKT3_PKT4_S5_PT5_21rocsparse_index_base_b
	.p2align	8
	.type	_ZN9rocsparseL20bsrxmvn_17_32_kernelILj22EdiidddEEvT2_20rocsparse_direction_NS_24const_host_device_scalarIT0_EES1_PKS1_PKT1_SA_S7_PKT3_PKT4_S5_PT5_21rocsparse_index_base_b,@function
_ZN9rocsparseL20bsrxmvn_17_32_kernelILj22EdiidddEEvT2_20rocsparse_direction_NS_24const_host_device_scalarIT0_EES1_PKS1_PKT1_SA_S7_PKT3_PKT4_S5_PT5_21rocsparse_index_base_b: ; @_ZN9rocsparseL20bsrxmvn_17_32_kernelILj22EdiidddEEvT2_20rocsparse_direction_NS_24const_host_device_scalarIT0_EES1_PKS1_PKT1_SA_S7_PKT3_PKT4_S5_PT5_21rocsparse_index_base_b
; %bb.0:
	s_clause 0x2
	s_load_b64 s[10:11], s[0:1], 0x58
	s_load_b64 s[4:5], s[0:1], 0x8
	;; [unrolled: 1-line block ×3, first 2 shown]
	s_mov_b32 s8, s15
	s_waitcnt lgkmcnt(0)
	s_bitcmp1_b32 s11, 0
	v_dual_mov_b32 v3, s4 :: v_dual_mov_b32 v4, s5
	s_cselect_b32 s6, -1, 0
	s_delay_alu instid0(SALU_CYCLE_1)
	s_and_b32 vcc_lo, exec_lo, s6
	s_xor_b32 s6, s6, -1
	s_cbranch_vccnz .LBB21_2
; %bb.1:
	v_dual_mov_b32 v1, s4 :: v_dual_mov_b32 v2, s5
	flat_load_b64 v[3:4], v[1:2]
.LBB21_2:
	v_dual_mov_b32 v1, s2 :: v_dual_mov_b32 v2, s3
	s_and_not1_b32 vcc_lo, exec_lo, s6
	s_cbranch_vccnz .LBB21_4
; %bb.3:
	v_dual_mov_b32 v1, s2 :: v_dual_mov_b32 v2, s3
	flat_load_b64 v[1:2], v[1:2]
.LBB21_4:
	s_waitcnt vmcnt(0) lgkmcnt(0)
	v_cmp_neq_f64_e32 vcc_lo, 0, v[3:4]
	v_cmp_neq_f64_e64 s2, 1.0, v[1:2]
	s_delay_alu instid0(VALU_DEP_1) | instskip(NEXT) | instid1(SALU_CYCLE_1)
	s_or_b32 s2, vcc_lo, s2
	s_and_saveexec_b32 s3, s2
	s_cbranch_execz .LBB21_38
; %bb.5:
	s_clause 0x1
	s_load_b128 s[4:7], s[0:1], 0x18
	s_load_b64 s[2:3], s[0:1], 0x28
	s_waitcnt lgkmcnt(0)
	s_cmp_eq_u64 s[4:5], 0
	s_cbranch_scc1 .LBB21_7
; %bb.6:
	s_ashr_i32 s9, s8, 31
	s_delay_alu instid0(SALU_CYCLE_1) | instskip(NEXT) | instid1(SALU_CYCLE_1)
	s_lshl_b64 s[8:9], s[8:9], 2
	s_add_u32 s4, s4, s8
	s_addc_u32 s5, s5, s9
	s_load_b32 s4, s[4:5], 0x0
	s_waitcnt lgkmcnt(0)
	s_sub_i32 s8, s4, s10
.LBB21_7:
	s_load_b32 s4, s[0:1], 0x4
	v_mul_u32_u24_e32 v5, 0xba3, v0
	v_lshlrev_b32_e32 v12, 3, v0
	s_delay_alu instid0(VALU_DEP_2) | instskip(NEXT) | instid1(VALU_DEP_1)
	v_lshrrev_b32_e32 v7, 16, v5
	v_mul_lo_u16 v5, v7, 22
	s_delay_alu instid0(VALU_DEP_1)
	v_sub_nc_u16 v13, v0, v5
	v_mov_b32_e32 v5, 0
	v_mov_b32_e32 v6, 0
	s_waitcnt lgkmcnt(0)
	s_cmp_eq_u32 s4, 1
	s_cselect_b32 vcc_lo, -1, 0
	s_cmp_lg_u32 s4, 1
	s_cselect_b32 s11, -1, 0
	s_ashr_i32 s9, s8, 31
	s_delay_alu instid0(SALU_CYCLE_1) | instskip(NEXT) | instid1(SALU_CYCLE_1)
	s_lshl_b64 s[4:5], s[8:9], 2
	s_add_u32 s6, s6, s4
	s_addc_u32 s7, s7, s5
	s_add_u32 s9, s6, 4
	s_addc_u32 s12, s7, 0
	;; [unrolled: 2-line block ×3, first 2 shown]
	s_cmp_eq_u64 s[2:3], 0
	s_cselect_b32 s3, s12, s5
	s_cselect_b32 s2, s9, s4
	s_load_b32 s12, s[6:7], 0x0
	s_load_b32 s9, s[2:3], 0x0
	s_load_b64 s[2:3], s[0:1], 0x50
	s_waitcnt lgkmcnt(0)
	s_cmp_ge_i32 s12, s9
	s_cbranch_scc1 .LBB21_12
; %bb.8:
	v_mul_lo_u16 v5, v7, 12
	s_clause 0x1
	s_load_b128 s[4:7], s[0:1], 0x30
	s_load_b64 s[0:1], s[0:1], 0x40
	v_lshlrev_b32_e32 v8, 3, v0
	v_and_b32_e32 v9, 0xffff, v13
	v_lshrrev_b16 v5, 8, v5
	s_sub_i32 s12, s12, s10
	s_sub_i32 s9, s9, s10
	s_mul_i32 s14, s12, 0xf20
	s_mul_hi_i32 s13, s12, 0xf20
	v_mul_lo_u16 v5, v5, 22
	s_delay_alu instid0(VALU_DEP_1) | instskip(SKIP_1) | instid1(VALU_DEP_2)
	v_sub_nc_u16 v7, v7, v5
	v_mov_b32_e32 v5, 0
	v_dual_mov_b32 v6, 0 :: v_dual_and_b32 v11, 0xff, v7
	v_and_b32_e32 v10, 0xffff, v0
	s_waitcnt lgkmcnt(0)
	s_add_u32 s6, s6, s14
	s_addc_u32 s7, s7, s13
	v_add_co_u32 v7, s6, s6, v8
	v_cndmask_b32_e32 v9, v9, v11, vcc_lo
	v_mul_u32_u24_e32 v10, 0x10f, v10
	v_add_co_ci_u32_e64 v8, null, s7, 0, s6
	s_delay_alu instid0(VALU_DEP_2)
	v_lshrrev_b32_e32 v14, 17, v10
	s_set_inst_prefetch_distance 0x1
	s_branch .LBB21_10
	.p2align	6
.LBB21_9:                               ;   in Loop: Header=BB21_10 Depth=1
	s_or_b32 exec_lo, exec_lo, s6
	s_add_i32 s12, s12, 1
	s_delay_alu instid0(SALU_CYCLE_1)
	s_cmp_lt_i32 s12, s9
	s_cbranch_scc0 .LBB21_12
.LBB21_10:                              ; =>This Inner Loop Header: Depth=1
	s_delay_alu instid0(VALU_DEP_1) | instskip(SKIP_1) | instid1(VALU_DEP_1)
	v_add_nc_u32_e32 v10, s12, v14
	s_mov_b32 s6, exec_lo
	v_cmpx_gt_i32_e64 s9, v10
	s_cbranch_execz .LBB21_9
; %bb.11:                               ;   in Loop: Header=BB21_10 Depth=1
	v_ashrrev_i32_e32 v11, 31, v10
	s_delay_alu instid0(VALU_DEP_1) | instskip(NEXT) | instid1(VALU_DEP_1)
	v_lshlrev_b64 v[10:11], 2, v[10:11]
	v_add_co_u32 v10, vcc_lo, s4, v10
	s_delay_alu instid0(VALU_DEP_2) | instskip(SKIP_3) | instid1(VALU_DEP_1)
	v_add_co_ci_u32_e32 v11, vcc_lo, s5, v11, vcc_lo
	global_load_b32 v10, v[10:11], off
	s_waitcnt vmcnt(0)
	v_subrev_nc_u32_e32 v15, s10, v10
	v_mad_u64_u32 v[10:11], null, v15, 22, v[9:10]
	s_delay_alu instid0(VALU_DEP_1) | instskip(NEXT) | instid1(VALU_DEP_1)
	v_ashrrev_i32_e32 v11, 31, v10
	v_lshlrev_b64 v[10:11], 3, v[10:11]
	s_delay_alu instid0(VALU_DEP_1) | instskip(NEXT) | instid1(VALU_DEP_2)
	v_add_co_u32 v10, vcc_lo, s0, v10
	v_add_co_ci_u32_e32 v11, vcc_lo, s1, v11, vcc_lo
	global_load_b64 v[15:16], v[7:8], off
	global_load_b64 v[10:11], v[10:11], off
	v_add_co_u32 v7, vcc_lo, 0xf20, v7
	v_add_co_ci_u32_e32 v8, vcc_lo, 0, v8, vcc_lo
	s_waitcnt vmcnt(0)
	v_fma_f64 v[5:6], v[15:16], v[10:11], v[5:6]
	s_branch .LBB21_9
.LBB21_12:
	s_set_inst_prefetch_distance 0x2
	s_and_b32 vcc_lo, exec_lo, s11
	ds_store_b64 v12, v[5:6]
	s_waitcnt lgkmcnt(0)
	s_barrier
	buffer_gl0_inv
	s_cbranch_vccz .LBB21_24
; %bb.13:
	s_mov_b32 s0, exec_lo
	v_cmpx_gt_u16_e32 6, v13
	s_cbranch_execz .LBB21_15
; %bb.14:
	ds_load_2addr_b64 v[7:10], v12 offset1:16
	s_waitcnt lgkmcnt(0)
	v_add_f64 v[7:8], v[9:10], v[7:8]
	ds_store_b64 v12, v[7:8]
.LBB21_15:
	s_or_b32 exec_lo, exec_lo, s0
	s_delay_alu instid0(SALU_CYCLE_1)
	s_mov_b32 s0, exec_lo
	s_waitcnt lgkmcnt(0)
	s_barrier
	buffer_gl0_inv
	v_cmpx_gt_u16_e32 8, v13
	s_cbranch_execz .LBB21_17
; %bb.16:
	ds_load_2addr_b64 v[7:10], v12 offset1:8
	s_waitcnt lgkmcnt(0)
	v_add_f64 v[7:8], v[9:10], v[7:8]
	ds_store_b64 v12, v[7:8]
.LBB21_17:
	s_or_b32 exec_lo, exec_lo, s0
	s_delay_alu instid0(SALU_CYCLE_1)
	s_mov_b32 s0, exec_lo
	s_waitcnt lgkmcnt(0)
	s_barrier
	buffer_gl0_inv
	;; [unrolled: 14-line block ×3, first 2 shown]
	v_cmpx_gt_u16_e32 2, v13
	s_cbranch_execz .LBB21_21
; %bb.20:
	ds_load_2addr_b64 v[7:10], v12 offset1:2
	s_waitcnt lgkmcnt(0)
	v_add_f64 v[7:8], v[9:10], v[7:8]
	ds_store_b64 v12, v[7:8]
.LBB21_21:
	s_or_b32 exec_lo, exec_lo, s0
	s_mov_b32 s1, 0
	s_mov_b32 s0, 0
	s_mov_b32 s4, exec_lo
	s_waitcnt lgkmcnt(0)
	s_barrier
	buffer_gl0_inv
                                        ; implicit-def: $vgpr7
                                        ; implicit-def: $vgpr8
	v_cmpx_gt_u32_e32 22, v0
	s_xor_b32 s4, exec_lo, s4
; %bb.22:
	v_mul_u32_u24_e32 v7, 22, v0
	v_mad_u32_u24 v8, 0xa8, v0, v12
	s_mov_b32 s0, exec_lo
	s_delay_alu instid0(VALU_DEP_2)
	v_or_b32_e32 v7, 1, v7
; %bb.23:
	s_or_b32 exec_lo, exec_lo, s4
	s_delay_alu instid0(SALU_CYCLE_1)
	s_and_b32 vcc_lo, exec_lo, s1
	s_cbranch_vccnz .LBB21_25
	s_branch .LBB21_36
.LBB21_24:
	s_mov_b32 s0, 0
                                        ; implicit-def: $vgpr7
                                        ; implicit-def: $vgpr8
	s_cbranch_execz .LBB21_36
.LBB21_25:
	s_mov_b32 s1, exec_lo
	v_cmpx_gt_u32_e32 0x84, v0
	s_cbranch_execz .LBB21_27
; %bb.26:
	ds_load_b64 v[7:8], v12 offset:2816
	ds_load_b64 v[9:10], v12
	s_waitcnt lgkmcnt(0)
	v_add_f64 v[7:8], v[7:8], v[9:10]
	ds_store_b64 v12, v[7:8]
.LBB21_27:
	s_or_b32 exec_lo, exec_lo, s1
	s_delay_alu instid0(SALU_CYCLE_1)
	s_mov_b32 s1, exec_lo
	s_waitcnt lgkmcnt(0)
	s_barrier
	buffer_gl0_inv
	v_cmpx_gt_u32_e32 0xb0, v0
	s_cbranch_execz .LBB21_29
; %bb.28:
	ds_load_2addr_b64 v[7:10], v12 offset1:176
	s_waitcnt lgkmcnt(0)
	v_add_f64 v[7:8], v[9:10], v[7:8]
	ds_store_b64 v12, v[7:8]
.LBB21_29:
	s_or_b32 exec_lo, exec_lo, s1
	s_delay_alu instid0(SALU_CYCLE_1)
	s_mov_b32 s1, exec_lo
	s_waitcnt lgkmcnt(0)
	s_barrier
	buffer_gl0_inv
	v_cmpx_gt_u32_e32 0x58, v0
	s_cbranch_execz .LBB21_31
; %bb.30:
	ds_load_2addr_b64 v[7:10], v12 offset1:88
	s_waitcnt lgkmcnt(0)
	v_add_f64 v[7:8], v[9:10], v[7:8]
	ds_store_b64 v12, v[7:8]
.LBB21_31:
	;; [unrolled: 14-line block ×3, first 2 shown]
	s_or_b32 exec_lo, exec_lo, s1
	s_delay_alu instid0(SALU_CYCLE_1)
	s_mov_b32 s1, exec_lo
	s_waitcnt lgkmcnt(0)
	buffer_gl0_inv
                                        ; implicit-def: $vgpr7
	v_cmpx_gt_u32_e32 22, v0
; %bb.34:
	v_add_nc_u32_e32 v7, 22, v0
	s_or_b32 s0, s0, exec_lo
                                        ; implicit-def: $vgpr5_vgpr6
; %bb.35:
	s_or_b32 exec_lo, exec_lo, s1
	v_mov_b32_e32 v8, v12
.LBB21_36:
	s_and_saveexec_b32 s1, s0
	s_cbranch_execnz .LBB21_39
; %bb.37:
	s_or_b32 exec_lo, exec_lo, s1
	v_cmp_gt_u32_e32 vcc_lo, 22, v0
	s_and_b32 exec_lo, exec_lo, vcc_lo
	s_cbranch_execnz .LBB21_40
.LBB21_38:
	s_nop 0
	s_sendmsg sendmsg(MSG_DEALLOC_VGPRS)
	s_endpgm
.LBB21_39:
	v_lshlrev_b32_e32 v7, 3, v7
	ds_load_b64 v[5:6], v8
	ds_load_b64 v[7:8], v7
	s_waitcnt lgkmcnt(0)
	v_add_f64 v[5:6], v[5:6], v[7:8]
	s_or_b32 exec_lo, exec_lo, s1
	v_cmp_gt_u32_e32 vcc_lo, 22, v0
	s_and_b32 exec_lo, exec_lo, vcc_lo
	s_cbranch_execz .LBB21_38
.LBB21_40:
	s_delay_alu instid0(VALU_DEP_2)
	v_mul_f64 v[3:4], v[3:4], v[5:6]
	s_mov_b32 s0, exec_lo
	v_cmpx_eq_f64_e32 0, v[1:2]
	s_xor_b32 s0, exec_lo, s0
	s_cbranch_execz .LBB21_42
; %bb.41:
	v_mad_u64_u32 v[1:2], null, s8, 22, v[0:1]
	v_mov_b32_e32 v2, 0
	s_delay_alu instid0(VALU_DEP_1) | instskip(NEXT) | instid1(VALU_DEP_1)
	v_lshlrev_b64 v[0:1], 3, v[1:2]
	v_add_co_u32 v0, vcc_lo, s2, v0
	s_delay_alu instid0(VALU_DEP_2)
	v_add_co_ci_u32_e32 v1, vcc_lo, s3, v1, vcc_lo
	global_store_b64 v[0:1], v[3:4], off
                                        ; implicit-def: $vgpr0
                                        ; implicit-def: $vgpr1_vgpr2
                                        ; implicit-def: $vgpr3_vgpr4
.LBB21_42:
	s_and_not1_saveexec_b32 s0, s0
	s_cbranch_execz .LBB21_38
; %bb.43:
	v_mad_u64_u32 v[5:6], null, s8, 22, v[0:1]
	v_mov_b32_e32 v6, 0
	s_delay_alu instid0(VALU_DEP_1) | instskip(NEXT) | instid1(VALU_DEP_1)
	v_lshlrev_b64 v[5:6], 3, v[5:6]
	v_add_co_u32 v5, vcc_lo, s2, v5
	s_delay_alu instid0(VALU_DEP_2)
	v_add_co_ci_u32_e32 v6, vcc_lo, s3, v6, vcc_lo
	global_load_b64 v[7:8], v[5:6], off
	s_waitcnt vmcnt(0)
	v_fma_f64 v[0:1], v[1:2], v[7:8], v[3:4]
	global_store_b64 v[5:6], v[0:1], off
	s_nop 0
	s_sendmsg sendmsg(MSG_DEALLOC_VGPRS)
	s_endpgm
	.section	.rodata,"a",@progbits
	.p2align	6, 0x0
	.amdhsa_kernel _ZN9rocsparseL20bsrxmvn_17_32_kernelILj22EdiidddEEvT2_20rocsparse_direction_NS_24const_host_device_scalarIT0_EES1_PKS1_PKT1_SA_S7_PKT3_PKT4_S5_PT5_21rocsparse_index_base_b
		.amdhsa_group_segment_fixed_size 3872
		.amdhsa_private_segment_fixed_size 0
		.amdhsa_kernarg_size 96
		.amdhsa_user_sgpr_count 15
		.amdhsa_user_sgpr_dispatch_ptr 0
		.amdhsa_user_sgpr_queue_ptr 0
		.amdhsa_user_sgpr_kernarg_segment_ptr 1
		.amdhsa_user_sgpr_dispatch_id 0
		.amdhsa_user_sgpr_private_segment_size 0
		.amdhsa_wavefront_size32 1
		.amdhsa_uses_dynamic_stack 0
		.amdhsa_enable_private_segment 0
		.amdhsa_system_sgpr_workgroup_id_x 1
		.amdhsa_system_sgpr_workgroup_id_y 0
		.amdhsa_system_sgpr_workgroup_id_z 0
		.amdhsa_system_sgpr_workgroup_info 0
		.amdhsa_system_vgpr_workitem_id 0
		.amdhsa_next_free_vgpr 17
		.amdhsa_next_free_sgpr 16
		.amdhsa_reserve_vcc 1
		.amdhsa_float_round_mode_32 0
		.amdhsa_float_round_mode_16_64 0
		.amdhsa_float_denorm_mode_32 3
		.amdhsa_float_denorm_mode_16_64 3
		.amdhsa_dx10_clamp 1
		.amdhsa_ieee_mode 1
		.amdhsa_fp16_overflow 0
		.amdhsa_workgroup_processor_mode 1
		.amdhsa_memory_ordered 1
		.amdhsa_forward_progress 0
		.amdhsa_shared_vgpr_count 0
		.amdhsa_exception_fp_ieee_invalid_op 0
		.amdhsa_exception_fp_denorm_src 0
		.amdhsa_exception_fp_ieee_div_zero 0
		.amdhsa_exception_fp_ieee_overflow 0
		.amdhsa_exception_fp_ieee_underflow 0
		.amdhsa_exception_fp_ieee_inexact 0
		.amdhsa_exception_int_div_zero 0
	.end_amdhsa_kernel
	.section	.text._ZN9rocsparseL20bsrxmvn_17_32_kernelILj22EdiidddEEvT2_20rocsparse_direction_NS_24const_host_device_scalarIT0_EES1_PKS1_PKT1_SA_S7_PKT3_PKT4_S5_PT5_21rocsparse_index_base_b,"axG",@progbits,_ZN9rocsparseL20bsrxmvn_17_32_kernelILj22EdiidddEEvT2_20rocsparse_direction_NS_24const_host_device_scalarIT0_EES1_PKS1_PKT1_SA_S7_PKT3_PKT4_S5_PT5_21rocsparse_index_base_b,comdat
.Lfunc_end21:
	.size	_ZN9rocsparseL20bsrxmvn_17_32_kernelILj22EdiidddEEvT2_20rocsparse_direction_NS_24const_host_device_scalarIT0_EES1_PKS1_PKT1_SA_S7_PKT3_PKT4_S5_PT5_21rocsparse_index_base_b, .Lfunc_end21-_ZN9rocsparseL20bsrxmvn_17_32_kernelILj22EdiidddEEvT2_20rocsparse_direction_NS_24const_host_device_scalarIT0_EES1_PKS1_PKT1_SA_S7_PKT3_PKT4_S5_PT5_21rocsparse_index_base_b
                                        ; -- End function
	.section	.AMDGPU.csdata,"",@progbits
; Kernel info:
; codeLenInByte = 1636
; NumSgprs: 18
; NumVgprs: 17
; ScratchSize: 0
; MemoryBound: 0
; FloatMode: 240
; IeeeMode: 1
; LDSByteSize: 3872 bytes/workgroup (compile time only)
; SGPRBlocks: 2
; VGPRBlocks: 2
; NumSGPRsForWavesPerEU: 18
; NumVGPRsForWavesPerEU: 17
; Occupancy: 16
; WaveLimiterHint : 1
; COMPUTE_PGM_RSRC2:SCRATCH_EN: 0
; COMPUTE_PGM_RSRC2:USER_SGPR: 15
; COMPUTE_PGM_RSRC2:TRAP_HANDLER: 0
; COMPUTE_PGM_RSRC2:TGID_X_EN: 1
; COMPUTE_PGM_RSRC2:TGID_Y_EN: 0
; COMPUTE_PGM_RSRC2:TGID_Z_EN: 0
; COMPUTE_PGM_RSRC2:TIDIG_COMP_CNT: 0
	.section	.text._ZN9rocsparseL20bsrxmvn_17_32_kernelILj23EdiidddEEvT2_20rocsparse_direction_NS_24const_host_device_scalarIT0_EES1_PKS1_PKT1_SA_S7_PKT3_PKT4_S5_PT5_21rocsparse_index_base_b,"axG",@progbits,_ZN9rocsparseL20bsrxmvn_17_32_kernelILj23EdiidddEEvT2_20rocsparse_direction_NS_24const_host_device_scalarIT0_EES1_PKS1_PKT1_SA_S7_PKT3_PKT4_S5_PT5_21rocsparse_index_base_b,comdat
	.globl	_ZN9rocsparseL20bsrxmvn_17_32_kernelILj23EdiidddEEvT2_20rocsparse_direction_NS_24const_host_device_scalarIT0_EES1_PKS1_PKT1_SA_S7_PKT3_PKT4_S5_PT5_21rocsparse_index_base_b ; -- Begin function _ZN9rocsparseL20bsrxmvn_17_32_kernelILj23EdiidddEEvT2_20rocsparse_direction_NS_24const_host_device_scalarIT0_EES1_PKS1_PKT1_SA_S7_PKT3_PKT4_S5_PT5_21rocsparse_index_base_b
	.p2align	8
	.type	_ZN9rocsparseL20bsrxmvn_17_32_kernelILj23EdiidddEEvT2_20rocsparse_direction_NS_24const_host_device_scalarIT0_EES1_PKS1_PKT1_SA_S7_PKT3_PKT4_S5_PT5_21rocsparse_index_base_b,@function
_ZN9rocsparseL20bsrxmvn_17_32_kernelILj23EdiidddEEvT2_20rocsparse_direction_NS_24const_host_device_scalarIT0_EES1_PKS1_PKT1_SA_S7_PKT3_PKT4_S5_PT5_21rocsparse_index_base_b: ; @_ZN9rocsparseL20bsrxmvn_17_32_kernelILj23EdiidddEEvT2_20rocsparse_direction_NS_24const_host_device_scalarIT0_EES1_PKS1_PKT1_SA_S7_PKT3_PKT4_S5_PT5_21rocsparse_index_base_b
; %bb.0:
	s_clause 0x2
	s_load_b64 s[10:11], s[0:1], 0x58
	s_load_b64 s[4:5], s[0:1], 0x8
	;; [unrolled: 1-line block ×3, first 2 shown]
	s_mov_b32 s8, s15
	s_waitcnt lgkmcnt(0)
	s_bitcmp1_b32 s11, 0
	v_dual_mov_b32 v3, s4 :: v_dual_mov_b32 v4, s5
	s_cselect_b32 s6, -1, 0
	s_delay_alu instid0(SALU_CYCLE_1)
	s_and_b32 vcc_lo, exec_lo, s6
	s_xor_b32 s6, s6, -1
	s_cbranch_vccnz .LBB22_2
; %bb.1:
	v_dual_mov_b32 v1, s4 :: v_dual_mov_b32 v2, s5
	flat_load_b64 v[3:4], v[1:2]
.LBB22_2:
	v_dual_mov_b32 v1, s2 :: v_dual_mov_b32 v2, s3
	s_and_not1_b32 vcc_lo, exec_lo, s6
	s_cbranch_vccnz .LBB22_4
; %bb.3:
	v_dual_mov_b32 v1, s2 :: v_dual_mov_b32 v2, s3
	flat_load_b64 v[1:2], v[1:2]
.LBB22_4:
	s_waitcnt vmcnt(0) lgkmcnt(0)
	v_cmp_neq_f64_e32 vcc_lo, 0, v[3:4]
	v_cmp_neq_f64_e64 s2, 1.0, v[1:2]
	s_delay_alu instid0(VALU_DEP_1) | instskip(NEXT) | instid1(SALU_CYCLE_1)
	s_or_b32 s2, vcc_lo, s2
	s_and_saveexec_b32 s3, s2
	s_cbranch_execz .LBB22_38
; %bb.5:
	s_clause 0x1
	s_load_b128 s[4:7], s[0:1], 0x18
	s_load_b64 s[2:3], s[0:1], 0x28
	s_waitcnt lgkmcnt(0)
	s_cmp_eq_u64 s[4:5], 0
	s_cbranch_scc1 .LBB22_7
; %bb.6:
	s_ashr_i32 s9, s8, 31
	s_delay_alu instid0(SALU_CYCLE_1) | instskip(NEXT) | instid1(SALU_CYCLE_1)
	s_lshl_b64 s[8:9], s[8:9], 2
	s_add_u32 s4, s4, s8
	s_addc_u32 s5, s5, s9
	s_load_b32 s4, s[4:5], 0x0
	s_waitcnt lgkmcnt(0)
	s_sub_i32 s8, s4, s10
.LBB22_7:
	s_load_b32 s4, s[0:1], 0x4
	v_mul_u32_u24_e32 v5, 0xb22, v0
	v_lshlrev_b32_e32 v12, 3, v0
	s_delay_alu instid0(VALU_DEP_2) | instskip(NEXT) | instid1(VALU_DEP_1)
	v_lshrrev_b32_e32 v7, 16, v5
	v_mul_lo_u16 v5, v7, 23
	s_delay_alu instid0(VALU_DEP_1)
	v_sub_nc_u16 v13, v0, v5
	v_mov_b32_e32 v5, 0
	v_mov_b32_e32 v6, 0
	s_waitcnt lgkmcnt(0)
	s_cmp_eq_u32 s4, 1
	s_cselect_b32 vcc_lo, -1, 0
	s_cmp_lg_u32 s4, 1
	s_cselect_b32 s11, -1, 0
	s_ashr_i32 s9, s8, 31
	s_delay_alu instid0(SALU_CYCLE_1) | instskip(NEXT) | instid1(SALU_CYCLE_1)
	s_lshl_b64 s[4:5], s[8:9], 2
	s_add_u32 s6, s6, s4
	s_addc_u32 s7, s7, s5
	s_add_u32 s9, s6, 4
	s_addc_u32 s12, s7, 0
	;; [unrolled: 2-line block ×3, first 2 shown]
	s_cmp_eq_u64 s[2:3], 0
	s_cselect_b32 s3, s12, s5
	s_cselect_b32 s2, s9, s4
	s_load_b32 s9, s[6:7], 0x0
	s_load_b32 s14, s[2:3], 0x0
	s_load_b64 s[2:3], s[0:1], 0x50
	s_waitcnt lgkmcnt(0)
	s_cmp_ge_i32 s9, s14
	s_cbranch_scc1 .LBB22_12
; %bb.8:
	s_clause 0x1
	s_load_b128 s[4:7], s[0:1], 0x30
	s_load_b64 s[12:13], s[0:1], 0x40
	v_and_b32_e32 v5, 0xffff, v7
	v_cmp_gt_u32_e64 s0, 0x211, v0
	v_and_b32_e32 v7, 0xffff, v13
	s_sub_i32 s9, s9, s10
	v_lshlrev_b32_e32 v9, 3, v0
	v_subrev_nc_u32_e32 v6, 23, v5
	s_sub_i32 s1, s14, s10
	s_mul_i32 s14, s9, 0x1088
	s_delay_alu instid0(VALU_DEP_1) | instskip(SKIP_3) | instid1(VALU_DEP_3)
	v_cndmask_b32_e64 v8, v6, v5, s0
	v_mov_b32_e32 v5, 0
	v_mov_b32_e32 v6, 0
	s_mul_hi_i32 s0, s9, 0x1088
	v_cndmask_b32_e32 v7, v7, v8, vcc_lo
	v_cmp_lt_u32_e32 vcc_lo, 0x210, v0
	s_waitcnt lgkmcnt(0)
	s_add_u32 s6, s6, s14
	s_addc_u32 s0, s7, s0
	v_add_co_u32 v8, s6, s6, v9
	s_delay_alu instid0(VALU_DEP_1)
	v_add_co_ci_u32_e64 v9, null, s0, 0, s6
	v_cndmask_b32_e64 v14, 0, 1, vcc_lo
	s_set_inst_prefetch_distance 0x1
	s_branch .LBB22_10
	.p2align	6
.LBB22_9:                               ;   in Loop: Header=BB22_10 Depth=1
	s_or_b32 exec_lo, exec_lo, s0
	s_add_i32 s9, s9, 1
	s_delay_alu instid0(SALU_CYCLE_1)
	s_cmp_lt_i32 s9, s1
	s_cbranch_scc0 .LBB22_12
.LBB22_10:                              ; =>This Inner Loop Header: Depth=1
	s_delay_alu instid0(VALU_DEP_1) | instskip(SKIP_1) | instid1(VALU_DEP_1)
	v_add_nc_u32_e32 v10, s9, v14
	s_mov_b32 s0, exec_lo
	v_cmpx_gt_i32_e64 s1, v10
	s_cbranch_execz .LBB22_9
; %bb.11:                               ;   in Loop: Header=BB22_10 Depth=1
	v_ashrrev_i32_e32 v11, 31, v10
	s_delay_alu instid0(VALU_DEP_1) | instskip(NEXT) | instid1(VALU_DEP_1)
	v_lshlrev_b64 v[10:11], 2, v[10:11]
	v_add_co_u32 v10, vcc_lo, s4, v10
	s_delay_alu instid0(VALU_DEP_2) | instskip(SKIP_3) | instid1(VALU_DEP_1)
	v_add_co_ci_u32_e32 v11, vcc_lo, s5, v11, vcc_lo
	global_load_b32 v10, v[10:11], off
	s_waitcnt vmcnt(0)
	v_subrev_nc_u32_e32 v15, s10, v10
	v_mad_u64_u32 v[10:11], null, v15, 23, v[7:8]
	s_delay_alu instid0(VALU_DEP_1) | instskip(NEXT) | instid1(VALU_DEP_1)
	v_ashrrev_i32_e32 v11, 31, v10
	v_lshlrev_b64 v[10:11], 3, v[10:11]
	s_delay_alu instid0(VALU_DEP_1) | instskip(NEXT) | instid1(VALU_DEP_2)
	v_add_co_u32 v10, vcc_lo, s12, v10
	v_add_co_ci_u32_e32 v11, vcc_lo, s13, v11, vcc_lo
	global_load_b64 v[15:16], v[8:9], off
	global_load_b64 v[10:11], v[10:11], off
	v_add_co_u32 v8, vcc_lo, 0x1088, v8
	v_add_co_ci_u32_e32 v9, vcc_lo, 0, v9, vcc_lo
	s_waitcnt vmcnt(0)
	v_fma_f64 v[5:6], v[15:16], v[10:11], v[5:6]
	s_branch .LBB22_9
.LBB22_12:
	s_set_inst_prefetch_distance 0x2
	s_and_b32 vcc_lo, exec_lo, s11
	ds_store_b64 v12, v[5:6]
	s_waitcnt lgkmcnt(0)
	s_barrier
	buffer_gl0_inv
	s_cbranch_vccz .LBB22_24
; %bb.13:
	s_mov_b32 s0, exec_lo
	v_cmpx_gt_u16_e32 7, v13
	s_cbranch_execz .LBB22_15
; %bb.14:
	ds_load_2addr_b64 v[7:10], v12 offset1:16
	s_waitcnt lgkmcnt(0)
	v_add_f64 v[7:8], v[9:10], v[7:8]
	ds_store_b64 v12, v[7:8]
.LBB22_15:
	s_or_b32 exec_lo, exec_lo, s0
	s_delay_alu instid0(SALU_CYCLE_1)
	s_mov_b32 s0, exec_lo
	s_waitcnt lgkmcnt(0)
	s_barrier
	buffer_gl0_inv
	v_cmpx_gt_u16_e32 8, v13
	s_cbranch_execz .LBB22_17
; %bb.16:
	ds_load_2addr_b64 v[7:10], v12 offset1:8
	s_waitcnt lgkmcnt(0)
	v_add_f64 v[7:8], v[9:10], v[7:8]
	ds_store_b64 v12, v[7:8]
.LBB22_17:
	s_or_b32 exec_lo, exec_lo, s0
	s_delay_alu instid0(SALU_CYCLE_1)
	s_mov_b32 s0, exec_lo
	s_waitcnt lgkmcnt(0)
	s_barrier
	buffer_gl0_inv
	;; [unrolled: 14-line block ×3, first 2 shown]
	v_cmpx_gt_u16_e32 2, v13
	s_cbranch_execz .LBB22_21
; %bb.20:
	ds_load_2addr_b64 v[7:10], v12 offset1:2
	s_waitcnt lgkmcnt(0)
	v_add_f64 v[7:8], v[9:10], v[7:8]
	ds_store_b64 v12, v[7:8]
.LBB22_21:
	s_or_b32 exec_lo, exec_lo, s0
	s_mov_b32 s1, 0
	s_mov_b32 s0, 0
	s_mov_b32 s4, exec_lo
	s_waitcnt lgkmcnt(0)
	s_barrier
	buffer_gl0_inv
                                        ; implicit-def: $vgpr7
                                        ; implicit-def: $vgpr8
	v_cmpx_gt_u32_e32 23, v0
	s_xor_b32 s4, exec_lo, s4
; %bb.22:
	v_mad_u32_u24 v7, v0, 23, 1
	v_mad_u32_u24 v8, 0xb0, v0, v12
	s_mov_b32 s0, exec_lo
; %bb.23:
	s_or_b32 exec_lo, exec_lo, s4
	s_delay_alu instid0(SALU_CYCLE_1)
	s_and_b32 vcc_lo, exec_lo, s1
	s_cbranch_vccnz .LBB22_25
	s_branch .LBB22_36
.LBB22_24:
	s_mov_b32 s0, 0
                                        ; implicit-def: $vgpr7
                                        ; implicit-def: $vgpr8
	s_cbranch_execz .LBB22_36
.LBB22_25:
	s_mov_b32 s1, exec_lo
	v_cmpx_gt_u32_e32 0xa1, v0
	s_cbranch_execz .LBB22_27
; %bb.26:
	ds_load_b64 v[7:8], v12 offset:2944
	ds_load_b64 v[9:10], v12
	s_waitcnt lgkmcnt(0)
	v_add_f64 v[7:8], v[7:8], v[9:10]
	ds_store_b64 v12, v[7:8]
.LBB22_27:
	s_or_b32 exec_lo, exec_lo, s1
	s_delay_alu instid0(SALU_CYCLE_1)
	s_mov_b32 s1, exec_lo
	s_waitcnt lgkmcnt(0)
	s_barrier
	buffer_gl0_inv
	v_cmpx_gt_u32_e32 0xb8, v0
	s_cbranch_execz .LBB22_29
; %bb.28:
	ds_load_2addr_b64 v[7:10], v12 offset1:184
	s_waitcnt lgkmcnt(0)
	v_add_f64 v[7:8], v[9:10], v[7:8]
	ds_store_b64 v12, v[7:8]
.LBB22_29:
	s_or_b32 exec_lo, exec_lo, s1
	s_delay_alu instid0(SALU_CYCLE_1)
	s_mov_b32 s1, exec_lo
	s_waitcnt lgkmcnt(0)
	s_barrier
	buffer_gl0_inv
	v_cmpx_gt_u32_e32 0x5c, v0
	s_cbranch_execz .LBB22_31
; %bb.30:
	ds_load_2addr_b64 v[7:10], v12 offset1:92
	s_waitcnt lgkmcnt(0)
	v_add_f64 v[7:8], v[9:10], v[7:8]
	ds_store_b64 v12, v[7:8]
.LBB22_31:
	s_or_b32 exec_lo, exec_lo, s1
	s_delay_alu instid0(SALU_CYCLE_1)
	s_mov_b32 s1, exec_lo
	s_waitcnt lgkmcnt(0)
	s_barrier
	buffer_gl0_inv
	v_cmpx_gt_u32_e32 46, v0
	s_cbranch_execz .LBB22_33
; %bb.32:
	ds_load_2addr_b64 v[7:10], v12 offset1:46
	s_waitcnt lgkmcnt(0)
	v_add_f64 v[7:8], v[9:10], v[7:8]
	ds_store_b64 v12, v[7:8]
.LBB22_33:
	s_or_b32 exec_lo, exec_lo, s1
	s_delay_alu instid0(SALU_CYCLE_1)
	s_mov_b32 s1, exec_lo
	s_waitcnt lgkmcnt(0)
	buffer_gl0_inv
                                        ; implicit-def: $vgpr7
	v_cmpx_gt_u32_e32 23, v0
; %bb.34:
	v_add_nc_u32_e32 v7, 23, v0
	s_or_b32 s0, s0, exec_lo
                                        ; implicit-def: $vgpr5_vgpr6
; %bb.35:
	s_or_b32 exec_lo, exec_lo, s1
	v_mov_b32_e32 v8, v12
.LBB22_36:
	s_and_saveexec_b32 s1, s0
	s_cbranch_execnz .LBB22_39
; %bb.37:
	s_or_b32 exec_lo, exec_lo, s1
	v_cmp_gt_u32_e32 vcc_lo, 23, v0
	s_and_b32 exec_lo, exec_lo, vcc_lo
	s_cbranch_execnz .LBB22_40
.LBB22_38:
	s_nop 0
	s_sendmsg sendmsg(MSG_DEALLOC_VGPRS)
	s_endpgm
.LBB22_39:
	v_lshlrev_b32_e32 v7, 3, v7
	ds_load_b64 v[5:6], v8
	ds_load_b64 v[7:8], v7
	s_waitcnt lgkmcnt(0)
	v_add_f64 v[5:6], v[5:6], v[7:8]
	s_or_b32 exec_lo, exec_lo, s1
	v_cmp_gt_u32_e32 vcc_lo, 23, v0
	s_and_b32 exec_lo, exec_lo, vcc_lo
	s_cbranch_execz .LBB22_38
.LBB22_40:
	s_delay_alu instid0(VALU_DEP_2)
	v_mul_f64 v[3:4], v[3:4], v[5:6]
	s_mov_b32 s0, exec_lo
	v_cmpx_eq_f64_e32 0, v[1:2]
	s_xor_b32 s0, exec_lo, s0
	s_cbranch_execz .LBB22_42
; %bb.41:
	v_mad_u64_u32 v[1:2], null, s8, 23, v[0:1]
	v_mov_b32_e32 v2, 0
	s_delay_alu instid0(VALU_DEP_1) | instskip(NEXT) | instid1(VALU_DEP_1)
	v_lshlrev_b64 v[0:1], 3, v[1:2]
	v_add_co_u32 v0, vcc_lo, s2, v0
	s_delay_alu instid0(VALU_DEP_2)
	v_add_co_ci_u32_e32 v1, vcc_lo, s3, v1, vcc_lo
	global_store_b64 v[0:1], v[3:4], off
                                        ; implicit-def: $vgpr0
                                        ; implicit-def: $vgpr1_vgpr2
                                        ; implicit-def: $vgpr3_vgpr4
.LBB22_42:
	s_and_not1_saveexec_b32 s0, s0
	s_cbranch_execz .LBB22_38
; %bb.43:
	v_mad_u64_u32 v[5:6], null, s8, 23, v[0:1]
	v_mov_b32_e32 v6, 0
	s_delay_alu instid0(VALU_DEP_1) | instskip(NEXT) | instid1(VALU_DEP_1)
	v_lshlrev_b64 v[5:6], 3, v[5:6]
	v_add_co_u32 v5, vcc_lo, s2, v5
	s_delay_alu instid0(VALU_DEP_2)
	v_add_co_ci_u32_e32 v6, vcc_lo, s3, v6, vcc_lo
	global_load_b64 v[7:8], v[5:6], off
	s_waitcnt vmcnt(0)
	v_fma_f64 v[0:1], v[1:2], v[7:8], v[3:4]
	global_store_b64 v[5:6], v[0:1], off
	s_nop 0
	s_sendmsg sendmsg(MSG_DEALLOC_VGPRS)
	s_endpgm
	.section	.rodata,"a",@progbits
	.p2align	6, 0x0
	.amdhsa_kernel _ZN9rocsparseL20bsrxmvn_17_32_kernelILj23EdiidddEEvT2_20rocsparse_direction_NS_24const_host_device_scalarIT0_EES1_PKS1_PKT1_SA_S7_PKT3_PKT4_S5_PT5_21rocsparse_index_base_b
		.amdhsa_group_segment_fixed_size 4232
		.amdhsa_private_segment_fixed_size 0
		.amdhsa_kernarg_size 96
		.amdhsa_user_sgpr_count 15
		.amdhsa_user_sgpr_dispatch_ptr 0
		.amdhsa_user_sgpr_queue_ptr 0
		.amdhsa_user_sgpr_kernarg_segment_ptr 1
		.amdhsa_user_sgpr_dispatch_id 0
		.amdhsa_user_sgpr_private_segment_size 0
		.amdhsa_wavefront_size32 1
		.amdhsa_uses_dynamic_stack 0
		.amdhsa_enable_private_segment 0
		.amdhsa_system_sgpr_workgroup_id_x 1
		.amdhsa_system_sgpr_workgroup_id_y 0
		.amdhsa_system_sgpr_workgroup_id_z 0
		.amdhsa_system_sgpr_workgroup_info 0
		.amdhsa_system_vgpr_workitem_id 0
		.amdhsa_next_free_vgpr 17
		.amdhsa_next_free_sgpr 16
		.amdhsa_reserve_vcc 1
		.amdhsa_float_round_mode_32 0
		.amdhsa_float_round_mode_16_64 0
		.amdhsa_float_denorm_mode_32 3
		.amdhsa_float_denorm_mode_16_64 3
		.amdhsa_dx10_clamp 1
		.amdhsa_ieee_mode 1
		.amdhsa_fp16_overflow 0
		.amdhsa_workgroup_processor_mode 1
		.amdhsa_memory_ordered 1
		.amdhsa_forward_progress 0
		.amdhsa_shared_vgpr_count 0
		.amdhsa_exception_fp_ieee_invalid_op 0
		.amdhsa_exception_fp_denorm_src 0
		.amdhsa_exception_fp_ieee_div_zero 0
		.amdhsa_exception_fp_ieee_overflow 0
		.amdhsa_exception_fp_ieee_underflow 0
		.amdhsa_exception_fp_ieee_inexact 0
		.amdhsa_exception_int_div_zero 0
	.end_amdhsa_kernel
	.section	.text._ZN9rocsparseL20bsrxmvn_17_32_kernelILj23EdiidddEEvT2_20rocsparse_direction_NS_24const_host_device_scalarIT0_EES1_PKS1_PKT1_SA_S7_PKT3_PKT4_S5_PT5_21rocsparse_index_base_b,"axG",@progbits,_ZN9rocsparseL20bsrxmvn_17_32_kernelILj23EdiidddEEvT2_20rocsparse_direction_NS_24const_host_device_scalarIT0_EES1_PKS1_PKT1_SA_S7_PKT3_PKT4_S5_PT5_21rocsparse_index_base_b,comdat
.Lfunc_end22:
	.size	_ZN9rocsparseL20bsrxmvn_17_32_kernelILj23EdiidddEEvT2_20rocsparse_direction_NS_24const_host_device_scalarIT0_EES1_PKS1_PKT1_SA_S7_PKT3_PKT4_S5_PT5_21rocsparse_index_base_b, .Lfunc_end22-_ZN9rocsparseL20bsrxmvn_17_32_kernelILj23EdiidddEEvT2_20rocsparse_direction_NS_24const_host_device_scalarIT0_EES1_PKS1_PKT1_SA_S7_PKT3_PKT4_S5_PT5_21rocsparse_index_base_b
                                        ; -- End function
	.section	.AMDGPU.csdata,"",@progbits
; Kernel info:
; codeLenInByte = 1620
; NumSgprs: 18
; NumVgprs: 17
; ScratchSize: 0
; MemoryBound: 0
; FloatMode: 240
; IeeeMode: 1
; LDSByteSize: 4232 bytes/workgroup (compile time only)
; SGPRBlocks: 2
; VGPRBlocks: 2
; NumSGPRsForWavesPerEU: 18
; NumVGPRsForWavesPerEU: 17
; Occupancy: 13
; WaveLimiterHint : 1
; COMPUTE_PGM_RSRC2:SCRATCH_EN: 0
; COMPUTE_PGM_RSRC2:USER_SGPR: 15
; COMPUTE_PGM_RSRC2:TRAP_HANDLER: 0
; COMPUTE_PGM_RSRC2:TGID_X_EN: 1
; COMPUTE_PGM_RSRC2:TGID_Y_EN: 0
; COMPUTE_PGM_RSRC2:TGID_Z_EN: 0
; COMPUTE_PGM_RSRC2:TIDIG_COMP_CNT: 0
	.section	.text._ZN9rocsparseL20bsrxmvn_17_32_kernelILj24EdiidddEEvT2_20rocsparse_direction_NS_24const_host_device_scalarIT0_EES1_PKS1_PKT1_SA_S7_PKT3_PKT4_S5_PT5_21rocsparse_index_base_b,"axG",@progbits,_ZN9rocsparseL20bsrxmvn_17_32_kernelILj24EdiidddEEvT2_20rocsparse_direction_NS_24const_host_device_scalarIT0_EES1_PKS1_PKT1_SA_S7_PKT3_PKT4_S5_PT5_21rocsparse_index_base_b,comdat
	.globl	_ZN9rocsparseL20bsrxmvn_17_32_kernelILj24EdiidddEEvT2_20rocsparse_direction_NS_24const_host_device_scalarIT0_EES1_PKS1_PKT1_SA_S7_PKT3_PKT4_S5_PT5_21rocsparse_index_base_b ; -- Begin function _ZN9rocsparseL20bsrxmvn_17_32_kernelILj24EdiidddEEvT2_20rocsparse_direction_NS_24const_host_device_scalarIT0_EES1_PKS1_PKT1_SA_S7_PKT3_PKT4_S5_PT5_21rocsparse_index_base_b
	.p2align	8
	.type	_ZN9rocsparseL20bsrxmvn_17_32_kernelILj24EdiidddEEvT2_20rocsparse_direction_NS_24const_host_device_scalarIT0_EES1_PKS1_PKT1_SA_S7_PKT3_PKT4_S5_PT5_21rocsparse_index_base_b,@function
_ZN9rocsparseL20bsrxmvn_17_32_kernelILj24EdiidddEEvT2_20rocsparse_direction_NS_24const_host_device_scalarIT0_EES1_PKS1_PKT1_SA_S7_PKT3_PKT4_S5_PT5_21rocsparse_index_base_b: ; @_ZN9rocsparseL20bsrxmvn_17_32_kernelILj24EdiidddEEvT2_20rocsparse_direction_NS_24const_host_device_scalarIT0_EES1_PKS1_PKT1_SA_S7_PKT3_PKT4_S5_PT5_21rocsparse_index_base_b
; %bb.0:
	s_clause 0x2
	s_load_b64 s[10:11], s[0:1], 0x58
	s_load_b64 s[4:5], s[0:1], 0x8
	s_load_b64 s[2:3], s[0:1], 0x48
	s_mov_b32 s8, s15
	s_waitcnt lgkmcnt(0)
	s_bitcmp1_b32 s11, 0
	v_dual_mov_b32 v3, s4 :: v_dual_mov_b32 v4, s5
	s_cselect_b32 s6, -1, 0
	s_delay_alu instid0(SALU_CYCLE_1)
	s_and_b32 vcc_lo, exec_lo, s6
	s_xor_b32 s6, s6, -1
	s_cbranch_vccnz .LBB23_2
; %bb.1:
	v_dual_mov_b32 v1, s4 :: v_dual_mov_b32 v2, s5
	flat_load_b64 v[3:4], v[1:2]
.LBB23_2:
	v_dual_mov_b32 v1, s2 :: v_dual_mov_b32 v2, s3
	s_and_not1_b32 vcc_lo, exec_lo, s6
	s_cbranch_vccnz .LBB23_4
; %bb.3:
	v_dual_mov_b32 v1, s2 :: v_dual_mov_b32 v2, s3
	flat_load_b64 v[1:2], v[1:2]
.LBB23_4:
	s_waitcnt vmcnt(0) lgkmcnt(0)
	v_cmp_neq_f64_e32 vcc_lo, 0, v[3:4]
	v_cmp_neq_f64_e64 s2, 1.0, v[1:2]
	s_delay_alu instid0(VALU_DEP_1) | instskip(NEXT) | instid1(SALU_CYCLE_1)
	s_or_b32 s2, vcc_lo, s2
	s_and_saveexec_b32 s3, s2
	s_cbranch_execz .LBB23_38
; %bb.5:
	s_clause 0x1
	s_load_b128 s[4:7], s[0:1], 0x18
	s_load_b64 s[2:3], s[0:1], 0x28
	s_waitcnt lgkmcnt(0)
	s_cmp_eq_u64 s[4:5], 0
	s_cbranch_scc1 .LBB23_7
; %bb.6:
	s_ashr_i32 s9, s8, 31
	s_delay_alu instid0(SALU_CYCLE_1) | instskip(NEXT) | instid1(SALU_CYCLE_1)
	s_lshl_b64 s[8:9], s[8:9], 2
	s_add_u32 s4, s4, s8
	s_addc_u32 s5, s5, s9
	s_load_b32 s4, s[4:5], 0x0
	s_waitcnt lgkmcnt(0)
	s_sub_i32 s8, s4, s10
.LBB23_7:
	s_load_b32 s4, s[0:1], 0x4
	v_mul_u32_u24_e32 v5, 0xaab, v0
	v_lshlrev_b32_e32 v12, 3, v0
	s_delay_alu instid0(VALU_DEP_2) | instskip(NEXT) | instid1(VALU_DEP_1)
	v_lshrrev_b32_e32 v7, 16, v5
	v_mul_lo_u16 v5, v7, 24
	s_delay_alu instid0(VALU_DEP_1)
	v_sub_nc_u16 v13, v0, v5
	v_mov_b32_e32 v5, 0
	v_mov_b32_e32 v6, 0
	s_waitcnt lgkmcnt(0)
	s_cmp_eq_u32 s4, 1
	s_cselect_b32 vcc_lo, -1, 0
	s_cmp_lg_u32 s4, 1
	s_cselect_b32 s11, -1, 0
	s_ashr_i32 s9, s8, 31
	s_delay_alu instid0(SALU_CYCLE_1) | instskip(NEXT) | instid1(SALU_CYCLE_1)
	s_lshl_b64 s[4:5], s[8:9], 2
	s_add_u32 s6, s6, s4
	s_addc_u32 s7, s7, s5
	s_add_u32 s9, s6, 4
	s_addc_u32 s12, s7, 0
	;; [unrolled: 2-line block ×3, first 2 shown]
	s_cmp_eq_u64 s[2:3], 0
	s_cselect_b32 s3, s12, s5
	s_cselect_b32 s2, s9, s4
	s_load_b32 s9, s[6:7], 0x0
	s_load_b32 s14, s[2:3], 0x0
	s_load_b64 s[2:3], s[0:1], 0x50
	s_waitcnt lgkmcnt(0)
	s_cmp_ge_i32 s9, s14
	s_cbranch_scc1 .LBB23_12
; %bb.8:
	s_clause 0x1
	s_load_b128 s[4:7], s[0:1], 0x30
	s_load_b64 s[12:13], s[0:1], 0x40
	v_and_b32_e32 v5, 0xffff, v7
	v_cmp_gt_u32_e64 s0, 0x240, v0
	v_and_b32_e32 v7, 0xffff, v13
	s_sub_i32 s9, s9, s10
	v_lshlrev_b32_e32 v9, 3, v0
	v_subrev_nc_u32_e32 v6, 24, v5
	s_sub_i32 s1, s14, s10
	s_mul_i32 s14, s9, 0x1200
	s_delay_alu instid0(VALU_DEP_1) | instskip(SKIP_3) | instid1(VALU_DEP_3)
	v_cndmask_b32_e64 v8, v6, v5, s0
	v_mov_b32_e32 v5, 0
	v_mov_b32_e32 v6, 0
	s_mul_hi_i32 s0, s9, 0x1200
	v_cndmask_b32_e32 v7, v7, v8, vcc_lo
	v_cmp_lt_u32_e32 vcc_lo, 0x23f, v0
	s_waitcnt lgkmcnt(0)
	s_add_u32 s6, s6, s14
	s_addc_u32 s0, s7, s0
	v_add_co_u32 v8, s6, s6, v9
	s_delay_alu instid0(VALU_DEP_1)
	v_add_co_ci_u32_e64 v9, null, s0, 0, s6
	v_cndmask_b32_e64 v14, 0, 1, vcc_lo
	s_set_inst_prefetch_distance 0x1
	s_branch .LBB23_10
	.p2align	6
.LBB23_9:                               ;   in Loop: Header=BB23_10 Depth=1
	s_or_b32 exec_lo, exec_lo, s0
	s_add_i32 s9, s9, 1
	s_delay_alu instid0(SALU_CYCLE_1)
	s_cmp_lt_i32 s9, s1
	s_cbranch_scc0 .LBB23_12
.LBB23_10:                              ; =>This Inner Loop Header: Depth=1
	s_delay_alu instid0(VALU_DEP_1) | instskip(SKIP_1) | instid1(VALU_DEP_1)
	v_add_nc_u32_e32 v10, s9, v14
	s_mov_b32 s0, exec_lo
	v_cmpx_gt_i32_e64 s1, v10
	s_cbranch_execz .LBB23_9
; %bb.11:                               ;   in Loop: Header=BB23_10 Depth=1
	v_ashrrev_i32_e32 v11, 31, v10
	s_delay_alu instid0(VALU_DEP_1) | instskip(NEXT) | instid1(VALU_DEP_1)
	v_lshlrev_b64 v[10:11], 2, v[10:11]
	v_add_co_u32 v10, vcc_lo, s4, v10
	s_delay_alu instid0(VALU_DEP_2) | instskip(SKIP_3) | instid1(VALU_DEP_1)
	v_add_co_ci_u32_e32 v11, vcc_lo, s5, v11, vcc_lo
	global_load_b32 v10, v[10:11], off
	s_waitcnt vmcnt(0)
	v_subrev_nc_u32_e32 v15, s10, v10
	v_mad_u64_u32 v[10:11], null, v15, 24, v[7:8]
	s_delay_alu instid0(VALU_DEP_1) | instskip(NEXT) | instid1(VALU_DEP_1)
	v_ashrrev_i32_e32 v11, 31, v10
	v_lshlrev_b64 v[10:11], 3, v[10:11]
	s_delay_alu instid0(VALU_DEP_1) | instskip(NEXT) | instid1(VALU_DEP_2)
	v_add_co_u32 v10, vcc_lo, s12, v10
	v_add_co_ci_u32_e32 v11, vcc_lo, s13, v11, vcc_lo
	global_load_b64 v[15:16], v[8:9], off
	global_load_b64 v[10:11], v[10:11], off
	v_add_co_u32 v8, vcc_lo, 0x1200, v8
	v_add_co_ci_u32_e32 v9, vcc_lo, 0, v9, vcc_lo
	s_waitcnt vmcnt(0)
	v_fma_f64 v[5:6], v[15:16], v[10:11], v[5:6]
	s_branch .LBB23_9
.LBB23_12:
	s_set_inst_prefetch_distance 0x2
	s_and_b32 vcc_lo, exec_lo, s11
	ds_store_b64 v12, v[5:6]
	s_waitcnt lgkmcnt(0)
	s_barrier
	buffer_gl0_inv
	s_cbranch_vccz .LBB23_24
; %bb.13:
	v_cmp_gt_u16_e32 vcc_lo, 8, v13
	s_and_saveexec_b32 s0, vcc_lo
	s_cbranch_execz .LBB23_15
; %bb.14:
	ds_load_2addr_b64 v[7:10], v12 offset1:16
	s_waitcnt lgkmcnt(0)
	v_add_f64 v[7:8], v[9:10], v[7:8]
	ds_store_b64 v12, v[7:8]
.LBB23_15:
	s_or_b32 exec_lo, exec_lo, s0
	s_waitcnt lgkmcnt(0)
	s_barrier
	buffer_gl0_inv
	s_and_saveexec_b32 s0, vcc_lo
	s_cbranch_execz .LBB23_17
; %bb.16:
	ds_load_2addr_b64 v[7:10], v12 offset1:8
	s_waitcnt lgkmcnt(0)
	v_add_f64 v[7:8], v[9:10], v[7:8]
	ds_store_b64 v12, v[7:8]
.LBB23_17:
	s_or_b32 exec_lo, exec_lo, s0
	s_delay_alu instid0(SALU_CYCLE_1)
	s_mov_b32 s0, exec_lo
	s_waitcnt lgkmcnt(0)
	s_barrier
	buffer_gl0_inv
	v_cmpx_gt_u16_e32 4, v13
	s_cbranch_execz .LBB23_19
; %bb.18:
	ds_load_2addr_b64 v[7:10], v12 offset1:4
	s_waitcnt lgkmcnt(0)
	v_add_f64 v[7:8], v[9:10], v[7:8]
	ds_store_b64 v12, v[7:8]
.LBB23_19:
	s_or_b32 exec_lo, exec_lo, s0
	s_delay_alu instid0(SALU_CYCLE_1)
	s_mov_b32 s0, exec_lo
	s_waitcnt lgkmcnt(0)
	s_barrier
	buffer_gl0_inv
	v_cmpx_gt_u16_e32 2, v13
	s_cbranch_execz .LBB23_21
; %bb.20:
	ds_load_2addr_b64 v[7:10], v12 offset1:2
	s_waitcnt lgkmcnt(0)
	v_add_f64 v[7:8], v[9:10], v[7:8]
	ds_store_b64 v12, v[7:8]
.LBB23_21:
	s_or_b32 exec_lo, exec_lo, s0
	s_mov_b32 s1, 0
	s_mov_b32 s0, 0
	s_mov_b32 s4, exec_lo
	s_waitcnt lgkmcnt(0)
	s_barrier
	buffer_gl0_inv
                                        ; implicit-def: $vgpr7
                                        ; implicit-def: $vgpr8
	v_cmpx_gt_u32_e32 24, v0
	s_xor_b32 s4, exec_lo, s4
; %bb.22:
	v_mul_u32_u24_e32 v7, 24, v0
	v_mad_u32_u24 v8, 0xb8, v0, v12
	s_mov_b32 s0, exec_lo
	s_delay_alu instid0(VALU_DEP_2)
	v_or_b32_e32 v7, 1, v7
; %bb.23:
	s_or_b32 exec_lo, exec_lo, s4
	s_delay_alu instid0(SALU_CYCLE_1)
	s_and_b32 vcc_lo, exec_lo, s1
	s_cbranch_vccnz .LBB23_25
	s_branch .LBB23_36
.LBB23_24:
	s_mov_b32 s0, 0
                                        ; implicit-def: $vgpr7
                                        ; implicit-def: $vgpr8
	s_cbranch_execz .LBB23_36
.LBB23_25:
	v_cmp_gt_u32_e32 vcc_lo, 0xc0, v0
	s_and_saveexec_b32 s1, vcc_lo
	s_cbranch_execz .LBB23_27
; %bb.26:
	ds_load_2addr_stride64_b64 v[7:10], v12 offset1:6
	s_waitcnt lgkmcnt(0)
	v_add_f64 v[7:8], v[9:10], v[7:8]
	ds_store_b64 v12, v[7:8]
.LBB23_27:
	s_or_b32 exec_lo, exec_lo, s1
	s_waitcnt lgkmcnt(0)
	s_barrier
	buffer_gl0_inv
	s_and_saveexec_b32 s1, vcc_lo
	s_cbranch_execz .LBB23_29
; %bb.28:
	ds_load_2addr_stride64_b64 v[7:10], v12 offset1:3
	s_waitcnt lgkmcnt(0)
	v_add_f64 v[7:8], v[9:10], v[7:8]
	ds_store_b64 v12, v[7:8]
.LBB23_29:
	s_or_b32 exec_lo, exec_lo, s1
	s_delay_alu instid0(SALU_CYCLE_1)
	s_mov_b32 s1, exec_lo
	s_waitcnt lgkmcnt(0)
	s_barrier
	buffer_gl0_inv
	v_cmpx_gt_u32_e32 0x60, v0
	s_cbranch_execz .LBB23_31
; %bb.30:
	ds_load_2addr_b64 v[7:10], v12 offset1:96
	s_waitcnt lgkmcnt(0)
	v_add_f64 v[7:8], v[9:10], v[7:8]
	ds_store_b64 v12, v[7:8]
.LBB23_31:
	s_or_b32 exec_lo, exec_lo, s1
	s_delay_alu instid0(SALU_CYCLE_1)
	s_mov_b32 s1, exec_lo
	s_waitcnt lgkmcnt(0)
	s_barrier
	buffer_gl0_inv
	v_cmpx_gt_u32_e32 48, v0
	s_cbranch_execz .LBB23_33
; %bb.32:
	ds_load_2addr_b64 v[7:10], v12 offset1:48
	s_waitcnt lgkmcnt(0)
	v_add_f64 v[7:8], v[9:10], v[7:8]
	ds_store_b64 v12, v[7:8]
.LBB23_33:
	s_or_b32 exec_lo, exec_lo, s1
	s_delay_alu instid0(SALU_CYCLE_1)
	s_mov_b32 s1, exec_lo
	s_waitcnt lgkmcnt(0)
	buffer_gl0_inv
                                        ; implicit-def: $vgpr7
	v_cmpx_gt_u32_e32 24, v0
; %bb.34:
	v_add_nc_u32_e32 v7, 24, v0
	s_or_b32 s0, s0, exec_lo
                                        ; implicit-def: $vgpr5_vgpr6
; %bb.35:
	s_or_b32 exec_lo, exec_lo, s1
	v_mov_b32_e32 v8, v12
.LBB23_36:
	s_and_saveexec_b32 s1, s0
	s_cbranch_execnz .LBB23_39
; %bb.37:
	s_or_b32 exec_lo, exec_lo, s1
	v_cmp_gt_u32_e32 vcc_lo, 24, v0
	s_and_b32 exec_lo, exec_lo, vcc_lo
	s_cbranch_execnz .LBB23_40
.LBB23_38:
	s_nop 0
	s_sendmsg sendmsg(MSG_DEALLOC_VGPRS)
	s_endpgm
.LBB23_39:
	v_lshlrev_b32_e32 v7, 3, v7
	ds_load_b64 v[5:6], v8
	ds_load_b64 v[7:8], v7
	s_waitcnt lgkmcnt(0)
	v_add_f64 v[5:6], v[5:6], v[7:8]
	s_or_b32 exec_lo, exec_lo, s1
	v_cmp_gt_u32_e32 vcc_lo, 24, v0
	s_and_b32 exec_lo, exec_lo, vcc_lo
	s_cbranch_execz .LBB23_38
.LBB23_40:
	s_delay_alu instid0(VALU_DEP_2)
	v_mul_f64 v[3:4], v[3:4], v[5:6]
	s_mov_b32 s0, exec_lo
	v_cmpx_eq_f64_e32 0, v[1:2]
	s_xor_b32 s0, exec_lo, s0
	s_cbranch_execz .LBB23_42
; %bb.41:
	v_mad_u64_u32 v[1:2], null, s8, 24, v[0:1]
	v_mov_b32_e32 v2, 0
	s_delay_alu instid0(VALU_DEP_1) | instskip(NEXT) | instid1(VALU_DEP_1)
	v_lshlrev_b64 v[0:1], 3, v[1:2]
	v_add_co_u32 v0, vcc_lo, s2, v0
	s_delay_alu instid0(VALU_DEP_2)
	v_add_co_ci_u32_e32 v1, vcc_lo, s3, v1, vcc_lo
	global_store_b64 v[0:1], v[3:4], off
                                        ; implicit-def: $vgpr0
                                        ; implicit-def: $vgpr1_vgpr2
                                        ; implicit-def: $vgpr3_vgpr4
.LBB23_42:
	s_and_not1_saveexec_b32 s0, s0
	s_cbranch_execz .LBB23_38
; %bb.43:
	v_mad_u64_u32 v[5:6], null, s8, 24, v[0:1]
	v_mov_b32_e32 v6, 0
	s_delay_alu instid0(VALU_DEP_1) | instskip(NEXT) | instid1(VALU_DEP_1)
	v_lshlrev_b64 v[5:6], 3, v[5:6]
	v_add_co_u32 v5, vcc_lo, s2, v5
	s_delay_alu instid0(VALU_DEP_2)
	v_add_co_ci_u32_e32 v6, vcc_lo, s3, v6, vcc_lo
	global_load_b64 v[7:8], v[5:6], off
	s_waitcnt vmcnt(0)
	v_fma_f64 v[0:1], v[1:2], v[7:8], v[3:4]
	global_store_b64 v[5:6], v[0:1], off
	s_nop 0
	s_sendmsg sendmsg(MSG_DEALLOC_VGPRS)
	s_endpgm
	.section	.rodata,"a",@progbits
	.p2align	6, 0x0
	.amdhsa_kernel _ZN9rocsparseL20bsrxmvn_17_32_kernelILj24EdiidddEEvT2_20rocsparse_direction_NS_24const_host_device_scalarIT0_EES1_PKS1_PKT1_SA_S7_PKT3_PKT4_S5_PT5_21rocsparse_index_base_b
		.amdhsa_group_segment_fixed_size 4608
		.amdhsa_private_segment_fixed_size 0
		.amdhsa_kernarg_size 96
		.amdhsa_user_sgpr_count 15
		.amdhsa_user_sgpr_dispatch_ptr 0
		.amdhsa_user_sgpr_queue_ptr 0
		.amdhsa_user_sgpr_kernarg_segment_ptr 1
		.amdhsa_user_sgpr_dispatch_id 0
		.amdhsa_user_sgpr_private_segment_size 0
		.amdhsa_wavefront_size32 1
		.amdhsa_uses_dynamic_stack 0
		.amdhsa_enable_private_segment 0
		.amdhsa_system_sgpr_workgroup_id_x 1
		.amdhsa_system_sgpr_workgroup_id_y 0
		.amdhsa_system_sgpr_workgroup_id_z 0
		.amdhsa_system_sgpr_workgroup_info 0
		.amdhsa_system_vgpr_workitem_id 0
		.amdhsa_next_free_vgpr 17
		.amdhsa_next_free_sgpr 16
		.amdhsa_reserve_vcc 1
		.amdhsa_float_round_mode_32 0
		.amdhsa_float_round_mode_16_64 0
		.amdhsa_float_denorm_mode_32 3
		.amdhsa_float_denorm_mode_16_64 3
		.amdhsa_dx10_clamp 1
		.amdhsa_ieee_mode 1
		.amdhsa_fp16_overflow 0
		.amdhsa_workgroup_processor_mode 1
		.amdhsa_memory_ordered 1
		.amdhsa_forward_progress 0
		.amdhsa_shared_vgpr_count 0
		.amdhsa_exception_fp_ieee_invalid_op 0
		.amdhsa_exception_fp_denorm_src 0
		.amdhsa_exception_fp_ieee_div_zero 0
		.amdhsa_exception_fp_ieee_overflow 0
		.amdhsa_exception_fp_ieee_underflow 0
		.amdhsa_exception_fp_ieee_inexact 0
		.amdhsa_exception_int_div_zero 0
	.end_amdhsa_kernel
	.section	.text._ZN9rocsparseL20bsrxmvn_17_32_kernelILj24EdiidddEEvT2_20rocsparse_direction_NS_24const_host_device_scalarIT0_EES1_PKS1_PKT1_SA_S7_PKT3_PKT4_S5_PT5_21rocsparse_index_base_b,"axG",@progbits,_ZN9rocsparseL20bsrxmvn_17_32_kernelILj24EdiidddEEvT2_20rocsparse_direction_NS_24const_host_device_scalarIT0_EES1_PKS1_PKT1_SA_S7_PKT3_PKT4_S5_PT5_21rocsparse_index_base_b,comdat
.Lfunc_end23:
	.size	_ZN9rocsparseL20bsrxmvn_17_32_kernelILj24EdiidddEEvT2_20rocsparse_direction_NS_24const_host_device_scalarIT0_EES1_PKS1_PKT1_SA_S7_PKT3_PKT4_S5_PT5_21rocsparse_index_base_b, .Lfunc_end23-_ZN9rocsparseL20bsrxmvn_17_32_kernelILj24EdiidddEEvT2_20rocsparse_direction_NS_24const_host_device_scalarIT0_EES1_PKS1_PKT1_SA_S7_PKT3_PKT4_S5_PT5_21rocsparse_index_base_b
                                        ; -- End function
	.section	.AMDGPU.csdata,"",@progbits
; Kernel info:
; codeLenInByte = 1596
; NumSgprs: 18
; NumVgprs: 17
; ScratchSize: 0
; MemoryBound: 0
; FloatMode: 240
; IeeeMode: 1
; LDSByteSize: 4608 bytes/workgroup (compile time only)
; SGPRBlocks: 2
; VGPRBlocks: 2
; NumSGPRsForWavesPerEU: 18
; NumVGPRsForWavesPerEU: 17
; Occupancy: 14
; WaveLimiterHint : 1
; COMPUTE_PGM_RSRC2:SCRATCH_EN: 0
; COMPUTE_PGM_RSRC2:USER_SGPR: 15
; COMPUTE_PGM_RSRC2:TRAP_HANDLER: 0
; COMPUTE_PGM_RSRC2:TGID_X_EN: 1
; COMPUTE_PGM_RSRC2:TGID_Y_EN: 0
; COMPUTE_PGM_RSRC2:TGID_Z_EN: 0
; COMPUTE_PGM_RSRC2:TIDIG_COMP_CNT: 0
	.section	.text._ZN9rocsparseL20bsrxmvn_17_32_kernelILj25EdiidddEEvT2_20rocsparse_direction_NS_24const_host_device_scalarIT0_EES1_PKS1_PKT1_SA_S7_PKT3_PKT4_S5_PT5_21rocsparse_index_base_b,"axG",@progbits,_ZN9rocsparseL20bsrxmvn_17_32_kernelILj25EdiidddEEvT2_20rocsparse_direction_NS_24const_host_device_scalarIT0_EES1_PKS1_PKT1_SA_S7_PKT3_PKT4_S5_PT5_21rocsparse_index_base_b,comdat
	.globl	_ZN9rocsparseL20bsrxmvn_17_32_kernelILj25EdiidddEEvT2_20rocsparse_direction_NS_24const_host_device_scalarIT0_EES1_PKS1_PKT1_SA_S7_PKT3_PKT4_S5_PT5_21rocsparse_index_base_b ; -- Begin function _ZN9rocsparseL20bsrxmvn_17_32_kernelILj25EdiidddEEvT2_20rocsparse_direction_NS_24const_host_device_scalarIT0_EES1_PKS1_PKT1_SA_S7_PKT3_PKT4_S5_PT5_21rocsparse_index_base_b
	.p2align	8
	.type	_ZN9rocsparseL20bsrxmvn_17_32_kernelILj25EdiidddEEvT2_20rocsparse_direction_NS_24const_host_device_scalarIT0_EES1_PKS1_PKT1_SA_S7_PKT3_PKT4_S5_PT5_21rocsparse_index_base_b,@function
_ZN9rocsparseL20bsrxmvn_17_32_kernelILj25EdiidddEEvT2_20rocsparse_direction_NS_24const_host_device_scalarIT0_EES1_PKS1_PKT1_SA_S7_PKT3_PKT4_S5_PT5_21rocsparse_index_base_b: ; @_ZN9rocsparseL20bsrxmvn_17_32_kernelILj25EdiidddEEvT2_20rocsparse_direction_NS_24const_host_device_scalarIT0_EES1_PKS1_PKT1_SA_S7_PKT3_PKT4_S5_PT5_21rocsparse_index_base_b
; %bb.0:
	s_clause 0x2
	s_load_b64 s[10:11], s[0:1], 0x58
	s_load_b64 s[4:5], s[0:1], 0x8
	;; [unrolled: 1-line block ×3, first 2 shown]
	s_mov_b32 s8, s15
	s_waitcnt lgkmcnt(0)
	s_bitcmp1_b32 s11, 0
	v_dual_mov_b32 v3, s4 :: v_dual_mov_b32 v4, s5
	s_cselect_b32 s6, -1, 0
	s_delay_alu instid0(SALU_CYCLE_1)
	s_and_b32 vcc_lo, exec_lo, s6
	s_xor_b32 s6, s6, -1
	s_cbranch_vccnz .LBB24_2
; %bb.1:
	v_dual_mov_b32 v1, s4 :: v_dual_mov_b32 v2, s5
	flat_load_b64 v[3:4], v[1:2]
.LBB24_2:
	v_dual_mov_b32 v1, s2 :: v_dual_mov_b32 v2, s3
	s_and_not1_b32 vcc_lo, exec_lo, s6
	s_cbranch_vccnz .LBB24_4
; %bb.3:
	v_dual_mov_b32 v1, s2 :: v_dual_mov_b32 v2, s3
	flat_load_b64 v[1:2], v[1:2]
.LBB24_4:
	s_waitcnt vmcnt(0) lgkmcnt(0)
	v_cmp_neq_f64_e32 vcc_lo, 0, v[3:4]
	v_cmp_neq_f64_e64 s2, 1.0, v[1:2]
	s_delay_alu instid0(VALU_DEP_1) | instskip(NEXT) | instid1(SALU_CYCLE_1)
	s_or_b32 s2, vcc_lo, s2
	s_and_saveexec_b32 s3, s2
	s_cbranch_execz .LBB24_38
; %bb.5:
	s_clause 0x1
	s_load_b128 s[4:7], s[0:1], 0x18
	s_load_b64 s[2:3], s[0:1], 0x28
	s_waitcnt lgkmcnt(0)
	s_cmp_eq_u64 s[4:5], 0
	s_cbranch_scc1 .LBB24_7
; %bb.6:
	s_ashr_i32 s9, s8, 31
	s_delay_alu instid0(SALU_CYCLE_1) | instskip(NEXT) | instid1(SALU_CYCLE_1)
	s_lshl_b64 s[8:9], s[8:9], 2
	s_add_u32 s4, s4, s8
	s_addc_u32 s5, s5, s9
	s_load_b32 s4, s[4:5], 0x0
	s_waitcnt lgkmcnt(0)
	s_sub_i32 s8, s4, s10
.LBB24_7:
	s_load_b32 s4, s[0:1], 0x4
	v_mul_u32_u24_e32 v5, 0xa3e, v0
	v_lshlrev_b32_e32 v12, 3, v0
	s_delay_alu instid0(VALU_DEP_2) | instskip(NEXT) | instid1(VALU_DEP_1)
	v_lshrrev_b32_e32 v7, 16, v5
	v_mul_lo_u16 v5, v7, 25
	s_delay_alu instid0(VALU_DEP_1)
	v_sub_nc_u16 v13, v0, v5
	v_mov_b32_e32 v5, 0
	v_mov_b32_e32 v6, 0
	s_waitcnt lgkmcnt(0)
	s_cmp_eq_u32 s4, 1
	s_cselect_b32 vcc_lo, -1, 0
	s_cmp_lg_u32 s4, 1
	s_cselect_b32 s11, -1, 0
	s_ashr_i32 s9, s8, 31
	s_delay_alu instid0(SALU_CYCLE_1) | instskip(NEXT) | instid1(SALU_CYCLE_1)
	s_lshl_b64 s[4:5], s[8:9], 2
	s_add_u32 s6, s6, s4
	s_addc_u32 s7, s7, s5
	s_add_u32 s9, s6, 4
	s_addc_u32 s12, s7, 0
	;; [unrolled: 2-line block ×3, first 2 shown]
	s_cmp_eq_u64 s[2:3], 0
	s_cselect_b32 s3, s12, s5
	s_cselect_b32 s2, s9, s4
	s_load_b32 s9, s[6:7], 0x0
	s_load_b32 s14, s[2:3], 0x0
	s_load_b64 s[2:3], s[0:1], 0x50
	s_waitcnt lgkmcnt(0)
	s_cmp_ge_i32 s9, s14
	s_cbranch_scc1 .LBB24_12
; %bb.8:
	s_clause 0x1
	s_load_b128 s[4:7], s[0:1], 0x30
	s_load_b64 s[12:13], s[0:1], 0x40
	v_and_b32_e32 v5, 0xffff, v7
	v_cmp_gt_u32_e64 s0, 0x271, v0
	v_and_b32_e32 v7, 0xffff, v13
	s_sub_i32 s9, s9, s10
	v_lshlrev_b32_e32 v9, 3, v0
	v_subrev_nc_u32_e32 v6, 25, v5
	s_sub_i32 s1, s14, s10
	s_mul_i32 s14, s9, 0x1388
	s_delay_alu instid0(VALU_DEP_1) | instskip(SKIP_3) | instid1(VALU_DEP_3)
	v_cndmask_b32_e64 v8, v6, v5, s0
	v_mov_b32_e32 v5, 0
	v_mov_b32_e32 v6, 0
	s_mul_hi_i32 s0, s9, 0x1388
	v_cndmask_b32_e32 v7, v7, v8, vcc_lo
	v_cmp_lt_u32_e32 vcc_lo, 0x270, v0
	s_waitcnt lgkmcnt(0)
	s_add_u32 s6, s6, s14
	s_addc_u32 s0, s7, s0
	v_add_co_u32 v8, s6, s6, v9
	s_delay_alu instid0(VALU_DEP_1)
	v_add_co_ci_u32_e64 v9, null, s0, 0, s6
	v_cndmask_b32_e64 v14, 0, 1, vcc_lo
	s_set_inst_prefetch_distance 0x1
	s_branch .LBB24_10
	.p2align	6
.LBB24_9:                               ;   in Loop: Header=BB24_10 Depth=1
	s_or_b32 exec_lo, exec_lo, s0
	s_add_i32 s9, s9, 1
	s_delay_alu instid0(SALU_CYCLE_1)
	s_cmp_lt_i32 s9, s1
	s_cbranch_scc0 .LBB24_12
.LBB24_10:                              ; =>This Inner Loop Header: Depth=1
	s_delay_alu instid0(VALU_DEP_1) | instskip(SKIP_1) | instid1(VALU_DEP_1)
	v_add_nc_u32_e32 v10, s9, v14
	s_mov_b32 s0, exec_lo
	v_cmpx_gt_i32_e64 s1, v10
	s_cbranch_execz .LBB24_9
; %bb.11:                               ;   in Loop: Header=BB24_10 Depth=1
	v_ashrrev_i32_e32 v11, 31, v10
	s_delay_alu instid0(VALU_DEP_1) | instskip(NEXT) | instid1(VALU_DEP_1)
	v_lshlrev_b64 v[10:11], 2, v[10:11]
	v_add_co_u32 v10, vcc_lo, s4, v10
	s_delay_alu instid0(VALU_DEP_2) | instskip(SKIP_3) | instid1(VALU_DEP_1)
	v_add_co_ci_u32_e32 v11, vcc_lo, s5, v11, vcc_lo
	global_load_b32 v10, v[10:11], off
	s_waitcnt vmcnt(0)
	v_subrev_nc_u32_e32 v15, s10, v10
	v_mad_u64_u32 v[10:11], null, v15, 25, v[7:8]
	s_delay_alu instid0(VALU_DEP_1) | instskip(NEXT) | instid1(VALU_DEP_1)
	v_ashrrev_i32_e32 v11, 31, v10
	v_lshlrev_b64 v[10:11], 3, v[10:11]
	s_delay_alu instid0(VALU_DEP_1) | instskip(NEXT) | instid1(VALU_DEP_2)
	v_add_co_u32 v10, vcc_lo, s12, v10
	v_add_co_ci_u32_e32 v11, vcc_lo, s13, v11, vcc_lo
	global_load_b64 v[15:16], v[8:9], off
	global_load_b64 v[10:11], v[10:11], off
	v_add_co_u32 v8, vcc_lo, 0x1388, v8
	v_add_co_ci_u32_e32 v9, vcc_lo, 0, v9, vcc_lo
	s_waitcnt vmcnt(0)
	v_fma_f64 v[5:6], v[15:16], v[10:11], v[5:6]
	s_branch .LBB24_9
.LBB24_12:
	s_set_inst_prefetch_distance 0x2
	s_and_b32 vcc_lo, exec_lo, s11
	ds_store_b64 v12, v[5:6]
	s_waitcnt lgkmcnt(0)
	s_barrier
	buffer_gl0_inv
	s_cbranch_vccz .LBB24_24
; %bb.13:
	s_mov_b32 s0, exec_lo
	v_cmpx_gt_u16_e32 9, v13
	s_cbranch_execz .LBB24_15
; %bb.14:
	ds_load_2addr_b64 v[7:10], v12 offset1:16
	s_waitcnt lgkmcnt(0)
	v_add_f64 v[7:8], v[9:10], v[7:8]
	ds_store_b64 v12, v[7:8]
.LBB24_15:
	s_or_b32 exec_lo, exec_lo, s0
	s_delay_alu instid0(SALU_CYCLE_1)
	s_mov_b32 s0, exec_lo
	s_waitcnt lgkmcnt(0)
	s_barrier
	buffer_gl0_inv
	v_cmpx_gt_u16_e32 8, v13
	s_cbranch_execz .LBB24_17
; %bb.16:
	ds_load_2addr_b64 v[7:10], v12 offset1:8
	s_waitcnt lgkmcnt(0)
	v_add_f64 v[7:8], v[9:10], v[7:8]
	ds_store_b64 v12, v[7:8]
.LBB24_17:
	s_or_b32 exec_lo, exec_lo, s0
	s_delay_alu instid0(SALU_CYCLE_1)
	s_mov_b32 s0, exec_lo
	s_waitcnt lgkmcnt(0)
	s_barrier
	buffer_gl0_inv
	;; [unrolled: 14-line block ×3, first 2 shown]
	v_cmpx_gt_u16_e32 2, v13
	s_cbranch_execz .LBB24_21
; %bb.20:
	ds_load_2addr_b64 v[7:10], v12 offset1:2
	s_waitcnt lgkmcnt(0)
	v_add_f64 v[7:8], v[9:10], v[7:8]
	ds_store_b64 v12, v[7:8]
.LBB24_21:
	s_or_b32 exec_lo, exec_lo, s0
	s_mov_b32 s1, 0
	s_mov_b32 s0, 0
	s_mov_b32 s4, exec_lo
	s_waitcnt lgkmcnt(0)
	s_barrier
	buffer_gl0_inv
                                        ; implicit-def: $vgpr7
                                        ; implicit-def: $vgpr8
	v_cmpx_gt_u32_e32 25, v0
	s_xor_b32 s4, exec_lo, s4
; %bb.22:
	v_mad_u32_u24 v7, v0, 25, 1
	v_mad_u32_u24 v8, 0xc0, v0, v12
	s_mov_b32 s0, exec_lo
; %bb.23:
	s_or_b32 exec_lo, exec_lo, s4
	s_delay_alu instid0(SALU_CYCLE_1)
	s_and_b32 vcc_lo, exec_lo, s1
	s_cbranch_vccnz .LBB24_25
	s_branch .LBB24_36
.LBB24_24:
	s_mov_b32 s0, 0
                                        ; implicit-def: $vgpr7
                                        ; implicit-def: $vgpr8
	s_cbranch_execz .LBB24_36
.LBB24_25:
	s_mov_b32 s1, exec_lo
	v_cmpx_gt_u32_e32 0xe1, v0
	s_cbranch_execz .LBB24_27
; %bb.26:
	ds_load_b64 v[7:8], v12 offset:3200
	ds_load_b64 v[9:10], v12
	s_waitcnt lgkmcnt(0)
	v_add_f64 v[7:8], v[7:8], v[9:10]
	ds_store_b64 v12, v[7:8]
.LBB24_27:
	s_or_b32 exec_lo, exec_lo, s1
	s_delay_alu instid0(SALU_CYCLE_1)
	s_mov_b32 s1, exec_lo
	s_waitcnt lgkmcnt(0)
	s_barrier
	buffer_gl0_inv
	v_cmpx_gt_u32_e32 0xc8, v0
	s_cbranch_execz .LBB24_29
; %bb.28:
	ds_load_2addr_b64 v[7:10], v12 offset1:200
	s_waitcnt lgkmcnt(0)
	v_add_f64 v[7:8], v[9:10], v[7:8]
	ds_store_b64 v12, v[7:8]
.LBB24_29:
	s_or_b32 exec_lo, exec_lo, s1
	s_delay_alu instid0(SALU_CYCLE_1)
	s_mov_b32 s1, exec_lo
	s_waitcnt lgkmcnt(0)
	s_barrier
	buffer_gl0_inv
	v_cmpx_gt_u32_e32 0x64, v0
	s_cbranch_execz .LBB24_31
; %bb.30:
	ds_load_2addr_b64 v[7:10], v12 offset1:100
	s_waitcnt lgkmcnt(0)
	v_add_f64 v[7:8], v[9:10], v[7:8]
	ds_store_b64 v12, v[7:8]
.LBB24_31:
	;; [unrolled: 14-line block ×3, first 2 shown]
	s_or_b32 exec_lo, exec_lo, s1
	s_delay_alu instid0(SALU_CYCLE_1)
	s_mov_b32 s1, exec_lo
	s_waitcnt lgkmcnt(0)
	buffer_gl0_inv
                                        ; implicit-def: $vgpr7
	v_cmpx_gt_u32_e32 25, v0
; %bb.34:
	v_add_nc_u32_e32 v7, 25, v0
	s_or_b32 s0, s0, exec_lo
                                        ; implicit-def: $vgpr5_vgpr6
; %bb.35:
	s_or_b32 exec_lo, exec_lo, s1
	v_mov_b32_e32 v8, v12
.LBB24_36:
	s_and_saveexec_b32 s1, s0
	s_cbranch_execnz .LBB24_39
; %bb.37:
	s_or_b32 exec_lo, exec_lo, s1
	v_cmp_gt_u32_e32 vcc_lo, 25, v0
	s_and_b32 exec_lo, exec_lo, vcc_lo
	s_cbranch_execnz .LBB24_40
.LBB24_38:
	s_nop 0
	s_sendmsg sendmsg(MSG_DEALLOC_VGPRS)
	s_endpgm
.LBB24_39:
	v_lshlrev_b32_e32 v7, 3, v7
	ds_load_b64 v[5:6], v8
	ds_load_b64 v[7:8], v7
	s_waitcnt lgkmcnt(0)
	v_add_f64 v[5:6], v[5:6], v[7:8]
	s_or_b32 exec_lo, exec_lo, s1
	v_cmp_gt_u32_e32 vcc_lo, 25, v0
	s_and_b32 exec_lo, exec_lo, vcc_lo
	s_cbranch_execz .LBB24_38
.LBB24_40:
	s_delay_alu instid0(VALU_DEP_2)
	v_mul_f64 v[3:4], v[3:4], v[5:6]
	s_mov_b32 s0, exec_lo
	v_cmpx_eq_f64_e32 0, v[1:2]
	s_xor_b32 s0, exec_lo, s0
	s_cbranch_execz .LBB24_42
; %bb.41:
	v_mad_u64_u32 v[1:2], null, s8, 25, v[0:1]
	v_mov_b32_e32 v2, 0
	s_delay_alu instid0(VALU_DEP_1) | instskip(NEXT) | instid1(VALU_DEP_1)
	v_lshlrev_b64 v[0:1], 3, v[1:2]
	v_add_co_u32 v0, vcc_lo, s2, v0
	s_delay_alu instid0(VALU_DEP_2)
	v_add_co_ci_u32_e32 v1, vcc_lo, s3, v1, vcc_lo
	global_store_b64 v[0:1], v[3:4], off
                                        ; implicit-def: $vgpr0
                                        ; implicit-def: $vgpr1_vgpr2
                                        ; implicit-def: $vgpr3_vgpr4
.LBB24_42:
	s_and_not1_saveexec_b32 s0, s0
	s_cbranch_execz .LBB24_38
; %bb.43:
	v_mad_u64_u32 v[5:6], null, s8, 25, v[0:1]
	v_mov_b32_e32 v6, 0
	s_delay_alu instid0(VALU_DEP_1) | instskip(NEXT) | instid1(VALU_DEP_1)
	v_lshlrev_b64 v[5:6], 3, v[5:6]
	v_add_co_u32 v5, vcc_lo, s2, v5
	s_delay_alu instid0(VALU_DEP_2)
	v_add_co_ci_u32_e32 v6, vcc_lo, s3, v6, vcc_lo
	global_load_b64 v[7:8], v[5:6], off
	s_waitcnt vmcnt(0)
	v_fma_f64 v[0:1], v[1:2], v[7:8], v[3:4]
	global_store_b64 v[5:6], v[0:1], off
	s_nop 0
	s_sendmsg sendmsg(MSG_DEALLOC_VGPRS)
	s_endpgm
	.section	.rodata,"a",@progbits
	.p2align	6, 0x0
	.amdhsa_kernel _ZN9rocsparseL20bsrxmvn_17_32_kernelILj25EdiidddEEvT2_20rocsparse_direction_NS_24const_host_device_scalarIT0_EES1_PKS1_PKT1_SA_S7_PKT3_PKT4_S5_PT5_21rocsparse_index_base_b
		.amdhsa_group_segment_fixed_size 5000
		.amdhsa_private_segment_fixed_size 0
		.amdhsa_kernarg_size 96
		.amdhsa_user_sgpr_count 15
		.amdhsa_user_sgpr_dispatch_ptr 0
		.amdhsa_user_sgpr_queue_ptr 0
		.amdhsa_user_sgpr_kernarg_segment_ptr 1
		.amdhsa_user_sgpr_dispatch_id 0
		.amdhsa_user_sgpr_private_segment_size 0
		.amdhsa_wavefront_size32 1
		.amdhsa_uses_dynamic_stack 0
		.amdhsa_enable_private_segment 0
		.amdhsa_system_sgpr_workgroup_id_x 1
		.amdhsa_system_sgpr_workgroup_id_y 0
		.amdhsa_system_sgpr_workgroup_id_z 0
		.amdhsa_system_sgpr_workgroup_info 0
		.amdhsa_system_vgpr_workitem_id 0
		.amdhsa_next_free_vgpr 17
		.amdhsa_next_free_sgpr 16
		.amdhsa_reserve_vcc 1
		.amdhsa_float_round_mode_32 0
		.amdhsa_float_round_mode_16_64 0
		.amdhsa_float_denorm_mode_32 3
		.amdhsa_float_denorm_mode_16_64 3
		.amdhsa_dx10_clamp 1
		.amdhsa_ieee_mode 1
		.amdhsa_fp16_overflow 0
		.amdhsa_workgroup_processor_mode 1
		.amdhsa_memory_ordered 1
		.amdhsa_forward_progress 0
		.amdhsa_shared_vgpr_count 0
		.amdhsa_exception_fp_ieee_invalid_op 0
		.amdhsa_exception_fp_denorm_src 0
		.amdhsa_exception_fp_ieee_div_zero 0
		.amdhsa_exception_fp_ieee_overflow 0
		.amdhsa_exception_fp_ieee_underflow 0
		.amdhsa_exception_fp_ieee_inexact 0
		.amdhsa_exception_int_div_zero 0
	.end_amdhsa_kernel
	.section	.text._ZN9rocsparseL20bsrxmvn_17_32_kernelILj25EdiidddEEvT2_20rocsparse_direction_NS_24const_host_device_scalarIT0_EES1_PKS1_PKT1_SA_S7_PKT3_PKT4_S5_PT5_21rocsparse_index_base_b,"axG",@progbits,_ZN9rocsparseL20bsrxmvn_17_32_kernelILj25EdiidddEEvT2_20rocsparse_direction_NS_24const_host_device_scalarIT0_EES1_PKS1_PKT1_SA_S7_PKT3_PKT4_S5_PT5_21rocsparse_index_base_b,comdat
.Lfunc_end24:
	.size	_ZN9rocsparseL20bsrxmvn_17_32_kernelILj25EdiidddEEvT2_20rocsparse_direction_NS_24const_host_device_scalarIT0_EES1_PKS1_PKT1_SA_S7_PKT3_PKT4_S5_PT5_21rocsparse_index_base_b, .Lfunc_end24-_ZN9rocsparseL20bsrxmvn_17_32_kernelILj25EdiidddEEvT2_20rocsparse_direction_NS_24const_host_device_scalarIT0_EES1_PKS1_PKT1_SA_S7_PKT3_PKT4_S5_PT5_21rocsparse_index_base_b
                                        ; -- End function
	.section	.AMDGPU.csdata,"",@progbits
; Kernel info:
; codeLenInByte = 1620
; NumSgprs: 18
; NumVgprs: 17
; ScratchSize: 0
; MemoryBound: 0
; FloatMode: 240
; IeeeMode: 1
; LDSByteSize: 5000 bytes/workgroup (compile time only)
; SGPRBlocks: 2
; VGPRBlocks: 2
; NumSGPRsForWavesPerEU: 18
; NumVGPRsForWavesPerEU: 17
; Occupancy: 15
; WaveLimiterHint : 1
; COMPUTE_PGM_RSRC2:SCRATCH_EN: 0
; COMPUTE_PGM_RSRC2:USER_SGPR: 15
; COMPUTE_PGM_RSRC2:TRAP_HANDLER: 0
; COMPUTE_PGM_RSRC2:TGID_X_EN: 1
; COMPUTE_PGM_RSRC2:TGID_Y_EN: 0
; COMPUTE_PGM_RSRC2:TGID_Z_EN: 0
; COMPUTE_PGM_RSRC2:TIDIG_COMP_CNT: 0
	.section	.text._ZN9rocsparseL20bsrxmvn_17_32_kernelILj26EdiidddEEvT2_20rocsparse_direction_NS_24const_host_device_scalarIT0_EES1_PKS1_PKT1_SA_S7_PKT3_PKT4_S5_PT5_21rocsparse_index_base_b,"axG",@progbits,_ZN9rocsparseL20bsrxmvn_17_32_kernelILj26EdiidddEEvT2_20rocsparse_direction_NS_24const_host_device_scalarIT0_EES1_PKS1_PKT1_SA_S7_PKT3_PKT4_S5_PT5_21rocsparse_index_base_b,comdat
	.globl	_ZN9rocsparseL20bsrxmvn_17_32_kernelILj26EdiidddEEvT2_20rocsparse_direction_NS_24const_host_device_scalarIT0_EES1_PKS1_PKT1_SA_S7_PKT3_PKT4_S5_PT5_21rocsparse_index_base_b ; -- Begin function _ZN9rocsparseL20bsrxmvn_17_32_kernelILj26EdiidddEEvT2_20rocsparse_direction_NS_24const_host_device_scalarIT0_EES1_PKS1_PKT1_SA_S7_PKT3_PKT4_S5_PT5_21rocsparse_index_base_b
	.p2align	8
	.type	_ZN9rocsparseL20bsrxmvn_17_32_kernelILj26EdiidddEEvT2_20rocsparse_direction_NS_24const_host_device_scalarIT0_EES1_PKS1_PKT1_SA_S7_PKT3_PKT4_S5_PT5_21rocsparse_index_base_b,@function
_ZN9rocsparseL20bsrxmvn_17_32_kernelILj26EdiidddEEvT2_20rocsparse_direction_NS_24const_host_device_scalarIT0_EES1_PKS1_PKT1_SA_S7_PKT3_PKT4_S5_PT5_21rocsparse_index_base_b: ; @_ZN9rocsparseL20bsrxmvn_17_32_kernelILj26EdiidddEEvT2_20rocsparse_direction_NS_24const_host_device_scalarIT0_EES1_PKS1_PKT1_SA_S7_PKT3_PKT4_S5_PT5_21rocsparse_index_base_b
; %bb.0:
	s_clause 0x2
	s_load_b64 s[10:11], s[0:1], 0x58
	s_load_b64 s[4:5], s[0:1], 0x8
	s_load_b64 s[2:3], s[0:1], 0x48
	s_mov_b32 s8, s15
	s_waitcnt lgkmcnt(0)
	s_bitcmp1_b32 s11, 0
	v_dual_mov_b32 v3, s4 :: v_dual_mov_b32 v4, s5
	s_cselect_b32 s6, -1, 0
	s_delay_alu instid0(SALU_CYCLE_1)
	s_and_b32 vcc_lo, exec_lo, s6
	s_xor_b32 s6, s6, -1
	s_cbranch_vccnz .LBB25_2
; %bb.1:
	v_dual_mov_b32 v1, s4 :: v_dual_mov_b32 v2, s5
	flat_load_b64 v[3:4], v[1:2]
.LBB25_2:
	v_dual_mov_b32 v1, s2 :: v_dual_mov_b32 v2, s3
	s_and_not1_b32 vcc_lo, exec_lo, s6
	s_cbranch_vccnz .LBB25_4
; %bb.3:
	v_dual_mov_b32 v1, s2 :: v_dual_mov_b32 v2, s3
	flat_load_b64 v[1:2], v[1:2]
.LBB25_4:
	s_waitcnt vmcnt(0) lgkmcnt(0)
	v_cmp_neq_f64_e32 vcc_lo, 0, v[3:4]
	v_cmp_neq_f64_e64 s2, 1.0, v[1:2]
	s_delay_alu instid0(VALU_DEP_1) | instskip(NEXT) | instid1(SALU_CYCLE_1)
	s_or_b32 s2, vcc_lo, s2
	s_and_saveexec_b32 s3, s2
	s_cbranch_execz .LBB25_38
; %bb.5:
	s_clause 0x1
	s_load_b128 s[4:7], s[0:1], 0x18
	s_load_b64 s[2:3], s[0:1], 0x28
	s_waitcnt lgkmcnt(0)
	s_cmp_eq_u64 s[4:5], 0
	s_cbranch_scc1 .LBB25_7
; %bb.6:
	s_ashr_i32 s9, s8, 31
	s_delay_alu instid0(SALU_CYCLE_1) | instskip(NEXT) | instid1(SALU_CYCLE_1)
	s_lshl_b64 s[8:9], s[8:9], 2
	s_add_u32 s4, s4, s8
	s_addc_u32 s5, s5, s9
	s_load_b32 s4, s[4:5], 0x0
	s_waitcnt lgkmcnt(0)
	s_sub_i32 s8, s4, s10
.LBB25_7:
	s_load_b32 s4, s[0:1], 0x4
	v_mul_u32_u24_e32 v5, 0x9d9, v0
	v_lshlrev_b32_e32 v12, 3, v0
	s_delay_alu instid0(VALU_DEP_2) | instskip(NEXT) | instid1(VALU_DEP_1)
	v_lshrrev_b32_e32 v7, 16, v5
	v_mul_lo_u16 v5, v7, 26
	s_delay_alu instid0(VALU_DEP_1)
	v_sub_nc_u16 v13, v0, v5
	v_mov_b32_e32 v5, 0
	v_mov_b32_e32 v6, 0
	s_waitcnt lgkmcnt(0)
	s_cmp_eq_u32 s4, 1
	s_cselect_b32 vcc_lo, -1, 0
	s_cmp_lg_u32 s4, 1
	s_cselect_b32 s11, -1, 0
	s_ashr_i32 s9, s8, 31
	s_delay_alu instid0(SALU_CYCLE_1) | instskip(NEXT) | instid1(SALU_CYCLE_1)
	s_lshl_b64 s[4:5], s[8:9], 2
	s_add_u32 s6, s6, s4
	s_addc_u32 s7, s7, s5
	s_add_u32 s9, s6, 4
	s_addc_u32 s12, s7, 0
	;; [unrolled: 2-line block ×3, first 2 shown]
	s_cmp_eq_u64 s[2:3], 0
	s_cselect_b32 s3, s12, s5
	s_cselect_b32 s2, s9, s4
	s_load_b32 s9, s[6:7], 0x0
	s_load_b32 s14, s[2:3], 0x0
	s_load_b64 s[2:3], s[0:1], 0x50
	s_waitcnt lgkmcnt(0)
	s_cmp_ge_i32 s9, s14
	s_cbranch_scc1 .LBB25_12
; %bb.8:
	s_clause 0x1
	s_load_b128 s[4:7], s[0:1], 0x30
	s_load_b64 s[12:13], s[0:1], 0x40
	v_and_b32_e32 v5, 0xffff, v7
	v_cmp_gt_u32_e64 s0, 0x2a4, v0
	v_and_b32_e32 v7, 0xffff, v13
	s_sub_i32 s9, s9, s10
	v_lshlrev_b32_e32 v9, 3, v0
	v_subrev_nc_u32_e32 v6, 26, v5
	s_sub_i32 s1, s14, s10
	s_mul_i32 s14, s9, 0x1520
	s_delay_alu instid0(VALU_DEP_1) | instskip(SKIP_3) | instid1(VALU_DEP_3)
	v_cndmask_b32_e64 v8, v6, v5, s0
	v_mov_b32_e32 v5, 0
	v_mov_b32_e32 v6, 0
	s_mul_hi_i32 s0, s9, 0x1520
	v_cndmask_b32_e32 v7, v7, v8, vcc_lo
	v_cmp_lt_u32_e32 vcc_lo, 0x2a3, v0
	s_waitcnt lgkmcnt(0)
	s_add_u32 s6, s6, s14
	s_addc_u32 s0, s7, s0
	v_add_co_u32 v8, s6, s6, v9
	s_delay_alu instid0(VALU_DEP_1)
	v_add_co_ci_u32_e64 v9, null, s0, 0, s6
	v_cndmask_b32_e64 v14, 0, 1, vcc_lo
	s_set_inst_prefetch_distance 0x1
	s_branch .LBB25_10
	.p2align	6
.LBB25_9:                               ;   in Loop: Header=BB25_10 Depth=1
	s_or_b32 exec_lo, exec_lo, s0
	s_add_i32 s9, s9, 1
	s_delay_alu instid0(SALU_CYCLE_1)
	s_cmp_lt_i32 s9, s1
	s_cbranch_scc0 .LBB25_12
.LBB25_10:                              ; =>This Inner Loop Header: Depth=1
	s_delay_alu instid0(VALU_DEP_1) | instskip(SKIP_1) | instid1(VALU_DEP_1)
	v_add_nc_u32_e32 v10, s9, v14
	s_mov_b32 s0, exec_lo
	v_cmpx_gt_i32_e64 s1, v10
	s_cbranch_execz .LBB25_9
; %bb.11:                               ;   in Loop: Header=BB25_10 Depth=1
	v_ashrrev_i32_e32 v11, 31, v10
	s_delay_alu instid0(VALU_DEP_1) | instskip(NEXT) | instid1(VALU_DEP_1)
	v_lshlrev_b64 v[10:11], 2, v[10:11]
	v_add_co_u32 v10, vcc_lo, s4, v10
	s_delay_alu instid0(VALU_DEP_2) | instskip(SKIP_3) | instid1(VALU_DEP_1)
	v_add_co_ci_u32_e32 v11, vcc_lo, s5, v11, vcc_lo
	global_load_b32 v10, v[10:11], off
	s_waitcnt vmcnt(0)
	v_subrev_nc_u32_e32 v15, s10, v10
	v_mad_u64_u32 v[10:11], null, v15, 26, v[7:8]
	s_delay_alu instid0(VALU_DEP_1) | instskip(NEXT) | instid1(VALU_DEP_1)
	v_ashrrev_i32_e32 v11, 31, v10
	v_lshlrev_b64 v[10:11], 3, v[10:11]
	s_delay_alu instid0(VALU_DEP_1) | instskip(NEXT) | instid1(VALU_DEP_2)
	v_add_co_u32 v10, vcc_lo, s12, v10
	v_add_co_ci_u32_e32 v11, vcc_lo, s13, v11, vcc_lo
	global_load_b64 v[15:16], v[8:9], off
	global_load_b64 v[10:11], v[10:11], off
	v_add_co_u32 v8, vcc_lo, 0x1520, v8
	v_add_co_ci_u32_e32 v9, vcc_lo, 0, v9, vcc_lo
	s_waitcnt vmcnt(0)
	v_fma_f64 v[5:6], v[15:16], v[10:11], v[5:6]
	s_branch .LBB25_9
.LBB25_12:
	s_set_inst_prefetch_distance 0x2
	s_and_b32 vcc_lo, exec_lo, s11
	ds_store_b64 v12, v[5:6]
	s_waitcnt lgkmcnt(0)
	s_barrier
	buffer_gl0_inv
	s_cbranch_vccz .LBB25_24
; %bb.13:
	s_mov_b32 s0, exec_lo
	v_cmpx_gt_u16_e32 10, v13
	s_cbranch_execz .LBB25_15
; %bb.14:
	ds_load_2addr_b64 v[7:10], v12 offset1:16
	s_waitcnt lgkmcnt(0)
	v_add_f64 v[7:8], v[9:10], v[7:8]
	ds_store_b64 v12, v[7:8]
.LBB25_15:
	s_or_b32 exec_lo, exec_lo, s0
	s_delay_alu instid0(SALU_CYCLE_1)
	s_mov_b32 s0, exec_lo
	s_waitcnt lgkmcnt(0)
	s_barrier
	buffer_gl0_inv
	v_cmpx_gt_u16_e32 8, v13
	s_cbranch_execz .LBB25_17
; %bb.16:
	ds_load_2addr_b64 v[7:10], v12 offset1:8
	s_waitcnt lgkmcnt(0)
	v_add_f64 v[7:8], v[9:10], v[7:8]
	ds_store_b64 v12, v[7:8]
.LBB25_17:
	s_or_b32 exec_lo, exec_lo, s0
	s_delay_alu instid0(SALU_CYCLE_1)
	s_mov_b32 s0, exec_lo
	s_waitcnt lgkmcnt(0)
	s_barrier
	buffer_gl0_inv
	v_cmpx_gt_u16_e32 4, v13
	s_cbranch_execz .LBB25_19
; %bb.18:
	ds_load_2addr_b64 v[7:10], v12 offset1:4
	s_waitcnt lgkmcnt(0)
	v_add_f64 v[7:8], v[9:10], v[7:8]
	ds_store_b64 v12, v[7:8]
.LBB25_19:
	s_or_b32 exec_lo, exec_lo, s0
	s_delay_alu instid0(SALU_CYCLE_1)
	s_mov_b32 s0, exec_lo
	s_waitcnt lgkmcnt(0)
	s_barrier
	buffer_gl0_inv
	v_cmpx_gt_u16_e32 2, v13
	s_cbranch_execz .LBB25_21
; %bb.20:
	ds_load_2addr_b64 v[7:10], v12 offset1:2
	s_waitcnt lgkmcnt(0)
	v_add_f64 v[7:8], v[9:10], v[7:8]
	ds_store_b64 v12, v[7:8]
.LBB25_21:
	s_or_b32 exec_lo, exec_lo, s0
	s_mov_b32 s1, 0
	s_mov_b32 s0, 0
	s_mov_b32 s4, exec_lo
	s_waitcnt lgkmcnt(0)
	s_barrier
	buffer_gl0_inv
                                        ; implicit-def: $vgpr7
                                        ; implicit-def: $vgpr8
	v_cmpx_gt_u32_e32 26, v0
	s_xor_b32 s4, exec_lo, s4
; %bb.22:
	v_mul_u32_u24_e32 v7, 26, v0
	v_mad_u32_u24 v8, 0xc8, v0, v12
	s_mov_b32 s0, exec_lo
	s_delay_alu instid0(VALU_DEP_2)
	v_or_b32_e32 v7, 1, v7
; %bb.23:
	s_or_b32 exec_lo, exec_lo, s4
	s_delay_alu instid0(SALU_CYCLE_1)
	s_and_b32 vcc_lo, exec_lo, s1
	s_cbranch_vccnz .LBB25_25
	s_branch .LBB25_36
.LBB25_24:
	s_mov_b32 s0, 0
                                        ; implicit-def: $vgpr7
                                        ; implicit-def: $vgpr8
	s_cbranch_execz .LBB25_36
.LBB25_25:
	s_mov_b32 s1, exec_lo
	v_cmpx_gt_u32_e32 0x104, v0
	s_cbranch_execz .LBB25_27
; %bb.26:
	ds_load_b64 v[7:8], v12 offset:3328
	ds_load_b64 v[9:10], v12
	s_waitcnt lgkmcnt(0)
	v_add_f64 v[7:8], v[7:8], v[9:10]
	ds_store_b64 v12, v[7:8]
.LBB25_27:
	s_or_b32 exec_lo, exec_lo, s1
	s_delay_alu instid0(SALU_CYCLE_1)
	s_mov_b32 s1, exec_lo
	s_waitcnt lgkmcnt(0)
	s_barrier
	buffer_gl0_inv
	v_cmpx_gt_u32_e32 0xd0, v0
	s_cbranch_execz .LBB25_29
; %bb.28:
	ds_load_2addr_b64 v[7:10], v12 offset1:208
	s_waitcnt lgkmcnt(0)
	v_add_f64 v[7:8], v[9:10], v[7:8]
	ds_store_b64 v12, v[7:8]
.LBB25_29:
	s_or_b32 exec_lo, exec_lo, s1
	s_delay_alu instid0(SALU_CYCLE_1)
	s_mov_b32 s1, exec_lo
	s_waitcnt lgkmcnt(0)
	s_barrier
	buffer_gl0_inv
	v_cmpx_gt_u32_e32 0x68, v0
	s_cbranch_execz .LBB25_31
; %bb.30:
	ds_load_2addr_b64 v[7:10], v12 offset1:104
	s_waitcnt lgkmcnt(0)
	v_add_f64 v[7:8], v[9:10], v[7:8]
	ds_store_b64 v12, v[7:8]
.LBB25_31:
	;; [unrolled: 14-line block ×3, first 2 shown]
	s_or_b32 exec_lo, exec_lo, s1
	s_delay_alu instid0(SALU_CYCLE_1)
	s_mov_b32 s1, exec_lo
	s_waitcnt lgkmcnt(0)
	buffer_gl0_inv
                                        ; implicit-def: $vgpr7
	v_cmpx_gt_u32_e32 26, v0
; %bb.34:
	v_add_nc_u32_e32 v7, 26, v0
	s_or_b32 s0, s0, exec_lo
                                        ; implicit-def: $vgpr5_vgpr6
; %bb.35:
	s_or_b32 exec_lo, exec_lo, s1
	v_mov_b32_e32 v8, v12
.LBB25_36:
	s_and_saveexec_b32 s1, s0
	s_cbranch_execnz .LBB25_39
; %bb.37:
	s_or_b32 exec_lo, exec_lo, s1
	v_cmp_gt_u32_e32 vcc_lo, 26, v0
	s_and_b32 exec_lo, exec_lo, vcc_lo
	s_cbranch_execnz .LBB25_40
.LBB25_38:
	s_nop 0
	s_sendmsg sendmsg(MSG_DEALLOC_VGPRS)
	s_endpgm
.LBB25_39:
	v_lshlrev_b32_e32 v7, 3, v7
	ds_load_b64 v[5:6], v8
	ds_load_b64 v[7:8], v7
	s_waitcnt lgkmcnt(0)
	v_add_f64 v[5:6], v[5:6], v[7:8]
	s_or_b32 exec_lo, exec_lo, s1
	v_cmp_gt_u32_e32 vcc_lo, 26, v0
	s_and_b32 exec_lo, exec_lo, vcc_lo
	s_cbranch_execz .LBB25_38
.LBB25_40:
	s_delay_alu instid0(VALU_DEP_2)
	v_mul_f64 v[3:4], v[3:4], v[5:6]
	s_mov_b32 s0, exec_lo
	v_cmpx_eq_f64_e32 0, v[1:2]
	s_xor_b32 s0, exec_lo, s0
	s_cbranch_execz .LBB25_42
; %bb.41:
	v_mad_u64_u32 v[1:2], null, s8, 26, v[0:1]
	v_mov_b32_e32 v2, 0
	s_delay_alu instid0(VALU_DEP_1) | instskip(NEXT) | instid1(VALU_DEP_1)
	v_lshlrev_b64 v[0:1], 3, v[1:2]
	v_add_co_u32 v0, vcc_lo, s2, v0
	s_delay_alu instid0(VALU_DEP_2)
	v_add_co_ci_u32_e32 v1, vcc_lo, s3, v1, vcc_lo
	global_store_b64 v[0:1], v[3:4], off
                                        ; implicit-def: $vgpr0
                                        ; implicit-def: $vgpr1_vgpr2
                                        ; implicit-def: $vgpr3_vgpr4
.LBB25_42:
	s_and_not1_saveexec_b32 s0, s0
	s_cbranch_execz .LBB25_38
; %bb.43:
	v_mad_u64_u32 v[5:6], null, s8, 26, v[0:1]
	v_mov_b32_e32 v6, 0
	s_delay_alu instid0(VALU_DEP_1) | instskip(NEXT) | instid1(VALU_DEP_1)
	v_lshlrev_b64 v[5:6], 3, v[5:6]
	v_add_co_u32 v5, vcc_lo, s2, v5
	s_delay_alu instid0(VALU_DEP_2)
	v_add_co_ci_u32_e32 v6, vcc_lo, s3, v6, vcc_lo
	global_load_b64 v[7:8], v[5:6], off
	s_waitcnt vmcnt(0)
	v_fma_f64 v[0:1], v[1:2], v[7:8], v[3:4]
	global_store_b64 v[5:6], v[0:1], off
	s_nop 0
	s_sendmsg sendmsg(MSG_DEALLOC_VGPRS)
	s_endpgm
	.section	.rodata,"a",@progbits
	.p2align	6, 0x0
	.amdhsa_kernel _ZN9rocsparseL20bsrxmvn_17_32_kernelILj26EdiidddEEvT2_20rocsparse_direction_NS_24const_host_device_scalarIT0_EES1_PKS1_PKT1_SA_S7_PKT3_PKT4_S5_PT5_21rocsparse_index_base_b
		.amdhsa_group_segment_fixed_size 5408
		.amdhsa_private_segment_fixed_size 0
		.amdhsa_kernarg_size 96
		.amdhsa_user_sgpr_count 15
		.amdhsa_user_sgpr_dispatch_ptr 0
		.amdhsa_user_sgpr_queue_ptr 0
		.amdhsa_user_sgpr_kernarg_segment_ptr 1
		.amdhsa_user_sgpr_dispatch_id 0
		.amdhsa_user_sgpr_private_segment_size 0
		.amdhsa_wavefront_size32 1
		.amdhsa_uses_dynamic_stack 0
		.amdhsa_enable_private_segment 0
		.amdhsa_system_sgpr_workgroup_id_x 1
		.amdhsa_system_sgpr_workgroup_id_y 0
		.amdhsa_system_sgpr_workgroup_id_z 0
		.amdhsa_system_sgpr_workgroup_info 0
		.amdhsa_system_vgpr_workitem_id 0
		.amdhsa_next_free_vgpr 17
		.amdhsa_next_free_sgpr 16
		.amdhsa_reserve_vcc 1
		.amdhsa_float_round_mode_32 0
		.amdhsa_float_round_mode_16_64 0
		.amdhsa_float_denorm_mode_32 3
		.amdhsa_float_denorm_mode_16_64 3
		.amdhsa_dx10_clamp 1
		.amdhsa_ieee_mode 1
		.amdhsa_fp16_overflow 0
		.amdhsa_workgroup_processor_mode 1
		.amdhsa_memory_ordered 1
		.amdhsa_forward_progress 0
		.amdhsa_shared_vgpr_count 0
		.amdhsa_exception_fp_ieee_invalid_op 0
		.amdhsa_exception_fp_denorm_src 0
		.amdhsa_exception_fp_ieee_div_zero 0
		.amdhsa_exception_fp_ieee_overflow 0
		.amdhsa_exception_fp_ieee_underflow 0
		.amdhsa_exception_fp_ieee_inexact 0
		.amdhsa_exception_int_div_zero 0
	.end_amdhsa_kernel
	.section	.text._ZN9rocsparseL20bsrxmvn_17_32_kernelILj26EdiidddEEvT2_20rocsparse_direction_NS_24const_host_device_scalarIT0_EES1_PKS1_PKT1_SA_S7_PKT3_PKT4_S5_PT5_21rocsparse_index_base_b,"axG",@progbits,_ZN9rocsparseL20bsrxmvn_17_32_kernelILj26EdiidddEEvT2_20rocsparse_direction_NS_24const_host_device_scalarIT0_EES1_PKS1_PKT1_SA_S7_PKT3_PKT4_S5_PT5_21rocsparse_index_base_b,comdat
.Lfunc_end25:
	.size	_ZN9rocsparseL20bsrxmvn_17_32_kernelILj26EdiidddEEvT2_20rocsparse_direction_NS_24const_host_device_scalarIT0_EES1_PKS1_PKT1_SA_S7_PKT3_PKT4_S5_PT5_21rocsparse_index_base_b, .Lfunc_end25-_ZN9rocsparseL20bsrxmvn_17_32_kernelILj26EdiidddEEvT2_20rocsparse_direction_NS_24const_host_device_scalarIT0_EES1_PKS1_PKT1_SA_S7_PKT3_PKT4_S5_PT5_21rocsparse_index_base_b
                                        ; -- End function
	.section	.AMDGPU.csdata,"",@progbits
; Kernel info:
; codeLenInByte = 1624
; NumSgprs: 18
; NumVgprs: 17
; ScratchSize: 0
; MemoryBound: 0
; FloatMode: 240
; IeeeMode: 1
; LDSByteSize: 5408 bytes/workgroup (compile time only)
; SGPRBlocks: 2
; VGPRBlocks: 2
; NumSGPRsForWavesPerEU: 18
; NumVGPRsForWavesPerEU: 17
; Occupancy: 11
; WaveLimiterHint : 1
; COMPUTE_PGM_RSRC2:SCRATCH_EN: 0
; COMPUTE_PGM_RSRC2:USER_SGPR: 15
; COMPUTE_PGM_RSRC2:TRAP_HANDLER: 0
; COMPUTE_PGM_RSRC2:TGID_X_EN: 1
; COMPUTE_PGM_RSRC2:TGID_Y_EN: 0
; COMPUTE_PGM_RSRC2:TGID_Z_EN: 0
; COMPUTE_PGM_RSRC2:TIDIG_COMP_CNT: 0
	.section	.text._ZN9rocsparseL20bsrxmvn_17_32_kernelILj27EdiidddEEvT2_20rocsparse_direction_NS_24const_host_device_scalarIT0_EES1_PKS1_PKT1_SA_S7_PKT3_PKT4_S5_PT5_21rocsparse_index_base_b,"axG",@progbits,_ZN9rocsparseL20bsrxmvn_17_32_kernelILj27EdiidddEEvT2_20rocsparse_direction_NS_24const_host_device_scalarIT0_EES1_PKS1_PKT1_SA_S7_PKT3_PKT4_S5_PT5_21rocsparse_index_base_b,comdat
	.globl	_ZN9rocsparseL20bsrxmvn_17_32_kernelILj27EdiidddEEvT2_20rocsparse_direction_NS_24const_host_device_scalarIT0_EES1_PKS1_PKT1_SA_S7_PKT3_PKT4_S5_PT5_21rocsparse_index_base_b ; -- Begin function _ZN9rocsparseL20bsrxmvn_17_32_kernelILj27EdiidddEEvT2_20rocsparse_direction_NS_24const_host_device_scalarIT0_EES1_PKS1_PKT1_SA_S7_PKT3_PKT4_S5_PT5_21rocsparse_index_base_b
	.p2align	8
	.type	_ZN9rocsparseL20bsrxmvn_17_32_kernelILj27EdiidddEEvT2_20rocsparse_direction_NS_24const_host_device_scalarIT0_EES1_PKS1_PKT1_SA_S7_PKT3_PKT4_S5_PT5_21rocsparse_index_base_b,@function
_ZN9rocsparseL20bsrxmvn_17_32_kernelILj27EdiidddEEvT2_20rocsparse_direction_NS_24const_host_device_scalarIT0_EES1_PKS1_PKT1_SA_S7_PKT3_PKT4_S5_PT5_21rocsparse_index_base_b: ; @_ZN9rocsparseL20bsrxmvn_17_32_kernelILj27EdiidddEEvT2_20rocsparse_direction_NS_24const_host_device_scalarIT0_EES1_PKS1_PKT1_SA_S7_PKT3_PKT4_S5_PT5_21rocsparse_index_base_b
; %bb.0:
	s_clause 0x2
	s_load_b64 s[10:11], s[0:1], 0x58
	s_load_b64 s[4:5], s[0:1], 0x8
	;; [unrolled: 1-line block ×3, first 2 shown]
	s_mov_b32 s8, s15
	s_waitcnt lgkmcnt(0)
	s_bitcmp1_b32 s11, 0
	v_dual_mov_b32 v3, s4 :: v_dual_mov_b32 v4, s5
	s_cselect_b32 s6, -1, 0
	s_delay_alu instid0(SALU_CYCLE_1)
	s_and_b32 vcc_lo, exec_lo, s6
	s_xor_b32 s6, s6, -1
	s_cbranch_vccnz .LBB26_2
; %bb.1:
	v_dual_mov_b32 v1, s4 :: v_dual_mov_b32 v2, s5
	flat_load_b64 v[3:4], v[1:2]
.LBB26_2:
	v_dual_mov_b32 v1, s2 :: v_dual_mov_b32 v2, s3
	s_and_not1_b32 vcc_lo, exec_lo, s6
	s_cbranch_vccnz .LBB26_4
; %bb.3:
	v_dual_mov_b32 v1, s2 :: v_dual_mov_b32 v2, s3
	flat_load_b64 v[1:2], v[1:2]
.LBB26_4:
	s_waitcnt vmcnt(0) lgkmcnt(0)
	v_cmp_neq_f64_e32 vcc_lo, 0, v[3:4]
	v_cmp_neq_f64_e64 s2, 1.0, v[1:2]
	s_delay_alu instid0(VALU_DEP_1) | instskip(NEXT) | instid1(SALU_CYCLE_1)
	s_or_b32 s2, vcc_lo, s2
	s_and_saveexec_b32 s3, s2
	s_cbranch_execz .LBB26_38
; %bb.5:
	s_clause 0x1
	s_load_b128 s[4:7], s[0:1], 0x18
	s_load_b64 s[2:3], s[0:1], 0x28
	s_waitcnt lgkmcnt(0)
	s_cmp_eq_u64 s[4:5], 0
	s_cbranch_scc1 .LBB26_7
; %bb.6:
	s_ashr_i32 s9, s8, 31
	s_delay_alu instid0(SALU_CYCLE_1) | instskip(NEXT) | instid1(SALU_CYCLE_1)
	s_lshl_b64 s[8:9], s[8:9], 2
	s_add_u32 s4, s4, s8
	s_addc_u32 s5, s5, s9
	s_load_b32 s4, s[4:5], 0x0
	s_waitcnt lgkmcnt(0)
	s_sub_i32 s8, s4, s10
.LBB26_7:
	s_load_b32 s4, s[0:1], 0x4
	v_mul_u32_u24_e32 v5, 0x97c, v0
	v_lshlrev_b32_e32 v12, 3, v0
	s_delay_alu instid0(VALU_DEP_2) | instskip(NEXT) | instid1(VALU_DEP_1)
	v_lshrrev_b32_e32 v7, 16, v5
	v_mul_lo_u16 v5, v7, 27
	s_delay_alu instid0(VALU_DEP_1)
	v_sub_nc_u16 v13, v0, v5
	v_mov_b32_e32 v5, 0
	v_mov_b32_e32 v6, 0
	s_waitcnt lgkmcnt(0)
	s_cmp_eq_u32 s4, 1
	s_cselect_b32 vcc_lo, -1, 0
	s_cmp_lg_u32 s4, 1
	s_cselect_b32 s11, -1, 0
	s_ashr_i32 s9, s8, 31
	s_delay_alu instid0(SALU_CYCLE_1) | instskip(NEXT) | instid1(SALU_CYCLE_1)
	s_lshl_b64 s[4:5], s[8:9], 2
	s_add_u32 s6, s6, s4
	s_addc_u32 s7, s7, s5
	s_add_u32 s9, s6, 4
	s_addc_u32 s12, s7, 0
	;; [unrolled: 2-line block ×3, first 2 shown]
	s_cmp_eq_u64 s[2:3], 0
	s_cselect_b32 s3, s12, s5
	s_cselect_b32 s2, s9, s4
	s_load_b32 s9, s[6:7], 0x0
	s_load_b32 s14, s[2:3], 0x0
	s_load_b64 s[2:3], s[0:1], 0x50
	s_waitcnt lgkmcnt(0)
	s_cmp_ge_i32 s9, s14
	s_cbranch_scc1 .LBB26_12
; %bb.8:
	s_clause 0x1
	s_load_b128 s[4:7], s[0:1], 0x30
	s_load_b64 s[12:13], s[0:1], 0x40
	v_and_b32_e32 v5, 0xffff, v7
	v_cmp_gt_u32_e64 s0, 0x2d9, v0
	v_and_b32_e32 v7, 0xffff, v13
	s_sub_i32 s9, s9, s10
	v_lshlrev_b32_e32 v9, 3, v0
	v_subrev_nc_u32_e32 v6, 27, v5
	s_sub_i32 s1, s14, s10
	s_mul_i32 s14, s9, 0x16c8
	s_delay_alu instid0(VALU_DEP_1) | instskip(SKIP_3) | instid1(VALU_DEP_3)
	v_cndmask_b32_e64 v8, v6, v5, s0
	v_mov_b32_e32 v5, 0
	v_mov_b32_e32 v6, 0
	s_mul_hi_i32 s0, s9, 0x16c8
	v_cndmask_b32_e32 v7, v7, v8, vcc_lo
	v_cmp_lt_u32_e32 vcc_lo, 0x2d8, v0
	s_waitcnt lgkmcnt(0)
	s_add_u32 s6, s6, s14
	s_addc_u32 s0, s7, s0
	v_add_co_u32 v8, s6, s6, v9
	s_delay_alu instid0(VALU_DEP_1)
	v_add_co_ci_u32_e64 v9, null, s0, 0, s6
	v_cndmask_b32_e64 v14, 0, 1, vcc_lo
	s_set_inst_prefetch_distance 0x1
	s_branch .LBB26_10
	.p2align	6
.LBB26_9:                               ;   in Loop: Header=BB26_10 Depth=1
	s_or_b32 exec_lo, exec_lo, s0
	s_add_i32 s9, s9, 1
	s_delay_alu instid0(SALU_CYCLE_1)
	s_cmp_lt_i32 s9, s1
	s_cbranch_scc0 .LBB26_12
.LBB26_10:                              ; =>This Inner Loop Header: Depth=1
	s_delay_alu instid0(VALU_DEP_1) | instskip(SKIP_1) | instid1(VALU_DEP_1)
	v_add_nc_u32_e32 v10, s9, v14
	s_mov_b32 s0, exec_lo
	v_cmpx_gt_i32_e64 s1, v10
	s_cbranch_execz .LBB26_9
; %bb.11:                               ;   in Loop: Header=BB26_10 Depth=1
	v_ashrrev_i32_e32 v11, 31, v10
	s_delay_alu instid0(VALU_DEP_1) | instskip(NEXT) | instid1(VALU_DEP_1)
	v_lshlrev_b64 v[10:11], 2, v[10:11]
	v_add_co_u32 v10, vcc_lo, s4, v10
	s_delay_alu instid0(VALU_DEP_2) | instskip(SKIP_3) | instid1(VALU_DEP_1)
	v_add_co_ci_u32_e32 v11, vcc_lo, s5, v11, vcc_lo
	global_load_b32 v10, v[10:11], off
	s_waitcnt vmcnt(0)
	v_subrev_nc_u32_e32 v15, s10, v10
	v_mad_u64_u32 v[10:11], null, v15, 27, v[7:8]
	s_delay_alu instid0(VALU_DEP_1) | instskip(NEXT) | instid1(VALU_DEP_1)
	v_ashrrev_i32_e32 v11, 31, v10
	v_lshlrev_b64 v[10:11], 3, v[10:11]
	s_delay_alu instid0(VALU_DEP_1) | instskip(NEXT) | instid1(VALU_DEP_2)
	v_add_co_u32 v10, vcc_lo, s12, v10
	v_add_co_ci_u32_e32 v11, vcc_lo, s13, v11, vcc_lo
	global_load_b64 v[15:16], v[8:9], off
	global_load_b64 v[10:11], v[10:11], off
	v_add_co_u32 v8, vcc_lo, 0x16c8, v8
	v_add_co_ci_u32_e32 v9, vcc_lo, 0, v9, vcc_lo
	s_waitcnt vmcnt(0)
	v_fma_f64 v[5:6], v[15:16], v[10:11], v[5:6]
	s_branch .LBB26_9
.LBB26_12:
	s_set_inst_prefetch_distance 0x2
	s_and_b32 vcc_lo, exec_lo, s11
	ds_store_b64 v12, v[5:6]
	s_waitcnt lgkmcnt(0)
	s_barrier
	buffer_gl0_inv
	s_cbranch_vccz .LBB26_24
; %bb.13:
	s_mov_b32 s0, exec_lo
	v_cmpx_gt_u16_e32 11, v13
	s_cbranch_execz .LBB26_15
; %bb.14:
	ds_load_2addr_b64 v[7:10], v12 offset1:16
	s_waitcnt lgkmcnt(0)
	v_add_f64 v[7:8], v[9:10], v[7:8]
	ds_store_b64 v12, v[7:8]
.LBB26_15:
	s_or_b32 exec_lo, exec_lo, s0
	s_delay_alu instid0(SALU_CYCLE_1)
	s_mov_b32 s0, exec_lo
	s_waitcnt lgkmcnt(0)
	s_barrier
	buffer_gl0_inv
	v_cmpx_gt_u16_e32 8, v13
	s_cbranch_execz .LBB26_17
; %bb.16:
	ds_load_2addr_b64 v[7:10], v12 offset1:8
	s_waitcnt lgkmcnt(0)
	v_add_f64 v[7:8], v[9:10], v[7:8]
	ds_store_b64 v12, v[7:8]
.LBB26_17:
	s_or_b32 exec_lo, exec_lo, s0
	s_delay_alu instid0(SALU_CYCLE_1)
	s_mov_b32 s0, exec_lo
	s_waitcnt lgkmcnt(0)
	s_barrier
	buffer_gl0_inv
	;; [unrolled: 14-line block ×3, first 2 shown]
	v_cmpx_gt_u16_e32 2, v13
	s_cbranch_execz .LBB26_21
; %bb.20:
	ds_load_2addr_b64 v[7:10], v12 offset1:2
	s_waitcnt lgkmcnt(0)
	v_add_f64 v[7:8], v[9:10], v[7:8]
	ds_store_b64 v12, v[7:8]
.LBB26_21:
	s_or_b32 exec_lo, exec_lo, s0
	s_mov_b32 s1, 0
	s_mov_b32 s0, 0
	s_mov_b32 s4, exec_lo
	s_waitcnt lgkmcnt(0)
	s_barrier
	buffer_gl0_inv
                                        ; implicit-def: $vgpr7
                                        ; implicit-def: $vgpr8
	v_cmpx_gt_u32_e32 27, v0
	s_xor_b32 s4, exec_lo, s4
; %bb.22:
	v_mad_u32_u24 v7, v0, 27, 1
	v_mad_u32_u24 v8, 0xd0, v0, v12
	s_mov_b32 s0, exec_lo
; %bb.23:
	s_or_b32 exec_lo, exec_lo, s4
	s_delay_alu instid0(SALU_CYCLE_1)
	s_and_b32 vcc_lo, exec_lo, s1
	s_cbranch_vccnz .LBB26_25
	s_branch .LBB26_36
.LBB26_24:
	s_mov_b32 s0, 0
                                        ; implicit-def: $vgpr7
                                        ; implicit-def: $vgpr8
	s_cbranch_execz .LBB26_36
.LBB26_25:
	s_mov_b32 s1, exec_lo
	v_cmpx_gt_u32_e32 0x129, v0
	s_cbranch_execz .LBB26_27
; %bb.26:
	ds_load_b64 v[7:8], v12 offset:3456
	ds_load_b64 v[9:10], v12
	s_waitcnt lgkmcnt(0)
	v_add_f64 v[7:8], v[7:8], v[9:10]
	ds_store_b64 v12, v[7:8]
.LBB26_27:
	s_or_b32 exec_lo, exec_lo, s1
	s_delay_alu instid0(SALU_CYCLE_1)
	s_mov_b32 s1, exec_lo
	s_waitcnt lgkmcnt(0)
	s_barrier
	buffer_gl0_inv
	v_cmpx_gt_u32_e32 0xd8, v0
	s_cbranch_execz .LBB26_29
; %bb.28:
	ds_load_2addr_b64 v[7:10], v12 offset1:216
	s_waitcnt lgkmcnt(0)
	v_add_f64 v[7:8], v[9:10], v[7:8]
	ds_store_b64 v12, v[7:8]
.LBB26_29:
	s_or_b32 exec_lo, exec_lo, s1
	s_delay_alu instid0(SALU_CYCLE_1)
	s_mov_b32 s1, exec_lo
	s_waitcnt lgkmcnt(0)
	s_barrier
	buffer_gl0_inv
	v_cmpx_gt_u32_e32 0x6c, v0
	s_cbranch_execz .LBB26_31
; %bb.30:
	ds_load_2addr_b64 v[7:10], v12 offset1:108
	s_waitcnt lgkmcnt(0)
	v_add_f64 v[7:8], v[9:10], v[7:8]
	ds_store_b64 v12, v[7:8]
.LBB26_31:
	;; [unrolled: 14-line block ×3, first 2 shown]
	s_or_b32 exec_lo, exec_lo, s1
	s_delay_alu instid0(SALU_CYCLE_1)
	s_mov_b32 s1, exec_lo
	s_waitcnt lgkmcnt(0)
	buffer_gl0_inv
                                        ; implicit-def: $vgpr7
	v_cmpx_gt_u32_e32 27, v0
; %bb.34:
	v_add_nc_u32_e32 v7, 27, v0
	s_or_b32 s0, s0, exec_lo
                                        ; implicit-def: $vgpr5_vgpr6
; %bb.35:
	s_or_b32 exec_lo, exec_lo, s1
	v_mov_b32_e32 v8, v12
.LBB26_36:
	s_and_saveexec_b32 s1, s0
	s_cbranch_execnz .LBB26_39
; %bb.37:
	s_or_b32 exec_lo, exec_lo, s1
	v_cmp_gt_u32_e32 vcc_lo, 27, v0
	s_and_b32 exec_lo, exec_lo, vcc_lo
	s_cbranch_execnz .LBB26_40
.LBB26_38:
	s_nop 0
	s_sendmsg sendmsg(MSG_DEALLOC_VGPRS)
	s_endpgm
.LBB26_39:
	v_lshlrev_b32_e32 v7, 3, v7
	ds_load_b64 v[5:6], v8
	ds_load_b64 v[7:8], v7
	s_waitcnt lgkmcnt(0)
	v_add_f64 v[5:6], v[5:6], v[7:8]
	s_or_b32 exec_lo, exec_lo, s1
	v_cmp_gt_u32_e32 vcc_lo, 27, v0
	s_and_b32 exec_lo, exec_lo, vcc_lo
	s_cbranch_execz .LBB26_38
.LBB26_40:
	s_delay_alu instid0(VALU_DEP_2)
	v_mul_f64 v[3:4], v[3:4], v[5:6]
	s_mov_b32 s0, exec_lo
	v_cmpx_eq_f64_e32 0, v[1:2]
	s_xor_b32 s0, exec_lo, s0
	s_cbranch_execz .LBB26_42
; %bb.41:
	v_mad_u64_u32 v[1:2], null, s8, 27, v[0:1]
	v_mov_b32_e32 v2, 0
	s_delay_alu instid0(VALU_DEP_1) | instskip(NEXT) | instid1(VALU_DEP_1)
	v_lshlrev_b64 v[0:1], 3, v[1:2]
	v_add_co_u32 v0, vcc_lo, s2, v0
	s_delay_alu instid0(VALU_DEP_2)
	v_add_co_ci_u32_e32 v1, vcc_lo, s3, v1, vcc_lo
	global_store_b64 v[0:1], v[3:4], off
                                        ; implicit-def: $vgpr0
                                        ; implicit-def: $vgpr1_vgpr2
                                        ; implicit-def: $vgpr3_vgpr4
.LBB26_42:
	s_and_not1_saveexec_b32 s0, s0
	s_cbranch_execz .LBB26_38
; %bb.43:
	v_mad_u64_u32 v[5:6], null, s8, 27, v[0:1]
	v_mov_b32_e32 v6, 0
	s_delay_alu instid0(VALU_DEP_1) | instskip(NEXT) | instid1(VALU_DEP_1)
	v_lshlrev_b64 v[5:6], 3, v[5:6]
	v_add_co_u32 v5, vcc_lo, s2, v5
	s_delay_alu instid0(VALU_DEP_2)
	v_add_co_ci_u32_e32 v6, vcc_lo, s3, v6, vcc_lo
	global_load_b64 v[7:8], v[5:6], off
	s_waitcnt vmcnt(0)
	v_fma_f64 v[0:1], v[1:2], v[7:8], v[3:4]
	global_store_b64 v[5:6], v[0:1], off
	s_nop 0
	s_sendmsg sendmsg(MSG_DEALLOC_VGPRS)
	s_endpgm
	.section	.rodata,"a",@progbits
	.p2align	6, 0x0
	.amdhsa_kernel _ZN9rocsparseL20bsrxmvn_17_32_kernelILj27EdiidddEEvT2_20rocsparse_direction_NS_24const_host_device_scalarIT0_EES1_PKS1_PKT1_SA_S7_PKT3_PKT4_S5_PT5_21rocsparse_index_base_b
		.amdhsa_group_segment_fixed_size 5832
		.amdhsa_private_segment_fixed_size 0
		.amdhsa_kernarg_size 96
		.amdhsa_user_sgpr_count 15
		.amdhsa_user_sgpr_dispatch_ptr 0
		.amdhsa_user_sgpr_queue_ptr 0
		.amdhsa_user_sgpr_kernarg_segment_ptr 1
		.amdhsa_user_sgpr_dispatch_id 0
		.amdhsa_user_sgpr_private_segment_size 0
		.amdhsa_wavefront_size32 1
		.amdhsa_uses_dynamic_stack 0
		.amdhsa_enable_private_segment 0
		.amdhsa_system_sgpr_workgroup_id_x 1
		.amdhsa_system_sgpr_workgroup_id_y 0
		.amdhsa_system_sgpr_workgroup_id_z 0
		.amdhsa_system_sgpr_workgroup_info 0
		.amdhsa_system_vgpr_workitem_id 0
		.amdhsa_next_free_vgpr 17
		.amdhsa_next_free_sgpr 16
		.amdhsa_reserve_vcc 1
		.amdhsa_float_round_mode_32 0
		.amdhsa_float_round_mode_16_64 0
		.amdhsa_float_denorm_mode_32 3
		.amdhsa_float_denorm_mode_16_64 3
		.amdhsa_dx10_clamp 1
		.amdhsa_ieee_mode 1
		.amdhsa_fp16_overflow 0
		.amdhsa_workgroup_processor_mode 1
		.amdhsa_memory_ordered 1
		.amdhsa_forward_progress 0
		.amdhsa_shared_vgpr_count 0
		.amdhsa_exception_fp_ieee_invalid_op 0
		.amdhsa_exception_fp_denorm_src 0
		.amdhsa_exception_fp_ieee_div_zero 0
		.amdhsa_exception_fp_ieee_overflow 0
		.amdhsa_exception_fp_ieee_underflow 0
		.amdhsa_exception_fp_ieee_inexact 0
		.amdhsa_exception_int_div_zero 0
	.end_amdhsa_kernel
	.section	.text._ZN9rocsparseL20bsrxmvn_17_32_kernelILj27EdiidddEEvT2_20rocsparse_direction_NS_24const_host_device_scalarIT0_EES1_PKS1_PKT1_SA_S7_PKT3_PKT4_S5_PT5_21rocsparse_index_base_b,"axG",@progbits,_ZN9rocsparseL20bsrxmvn_17_32_kernelILj27EdiidddEEvT2_20rocsparse_direction_NS_24const_host_device_scalarIT0_EES1_PKS1_PKT1_SA_S7_PKT3_PKT4_S5_PT5_21rocsparse_index_base_b,comdat
.Lfunc_end26:
	.size	_ZN9rocsparseL20bsrxmvn_17_32_kernelILj27EdiidddEEvT2_20rocsparse_direction_NS_24const_host_device_scalarIT0_EES1_PKS1_PKT1_SA_S7_PKT3_PKT4_S5_PT5_21rocsparse_index_base_b, .Lfunc_end26-_ZN9rocsparseL20bsrxmvn_17_32_kernelILj27EdiidddEEvT2_20rocsparse_direction_NS_24const_host_device_scalarIT0_EES1_PKS1_PKT1_SA_S7_PKT3_PKT4_S5_PT5_21rocsparse_index_base_b
                                        ; -- End function
	.section	.AMDGPU.csdata,"",@progbits
; Kernel info:
; codeLenInByte = 1620
; NumSgprs: 18
; NumVgprs: 17
; ScratchSize: 0
; MemoryBound: 0
; FloatMode: 240
; IeeeMode: 1
; LDSByteSize: 5832 bytes/workgroup (compile time only)
; SGPRBlocks: 2
; VGPRBlocks: 2
; NumSGPRsForWavesPerEU: 18
; NumVGPRsForWavesPerEU: 17
; Occupancy: 12
; WaveLimiterHint : 1
; COMPUTE_PGM_RSRC2:SCRATCH_EN: 0
; COMPUTE_PGM_RSRC2:USER_SGPR: 15
; COMPUTE_PGM_RSRC2:TRAP_HANDLER: 0
; COMPUTE_PGM_RSRC2:TGID_X_EN: 1
; COMPUTE_PGM_RSRC2:TGID_Y_EN: 0
; COMPUTE_PGM_RSRC2:TGID_Z_EN: 0
; COMPUTE_PGM_RSRC2:TIDIG_COMP_CNT: 0
	.section	.text._ZN9rocsparseL20bsrxmvn_17_32_kernelILj28EdiidddEEvT2_20rocsparse_direction_NS_24const_host_device_scalarIT0_EES1_PKS1_PKT1_SA_S7_PKT3_PKT4_S5_PT5_21rocsparse_index_base_b,"axG",@progbits,_ZN9rocsparseL20bsrxmvn_17_32_kernelILj28EdiidddEEvT2_20rocsparse_direction_NS_24const_host_device_scalarIT0_EES1_PKS1_PKT1_SA_S7_PKT3_PKT4_S5_PT5_21rocsparse_index_base_b,comdat
	.globl	_ZN9rocsparseL20bsrxmvn_17_32_kernelILj28EdiidddEEvT2_20rocsparse_direction_NS_24const_host_device_scalarIT0_EES1_PKS1_PKT1_SA_S7_PKT3_PKT4_S5_PT5_21rocsparse_index_base_b ; -- Begin function _ZN9rocsparseL20bsrxmvn_17_32_kernelILj28EdiidddEEvT2_20rocsparse_direction_NS_24const_host_device_scalarIT0_EES1_PKS1_PKT1_SA_S7_PKT3_PKT4_S5_PT5_21rocsparse_index_base_b
	.p2align	8
	.type	_ZN9rocsparseL20bsrxmvn_17_32_kernelILj28EdiidddEEvT2_20rocsparse_direction_NS_24const_host_device_scalarIT0_EES1_PKS1_PKT1_SA_S7_PKT3_PKT4_S5_PT5_21rocsparse_index_base_b,@function
_ZN9rocsparseL20bsrxmvn_17_32_kernelILj28EdiidddEEvT2_20rocsparse_direction_NS_24const_host_device_scalarIT0_EES1_PKS1_PKT1_SA_S7_PKT3_PKT4_S5_PT5_21rocsparse_index_base_b: ; @_ZN9rocsparseL20bsrxmvn_17_32_kernelILj28EdiidddEEvT2_20rocsparse_direction_NS_24const_host_device_scalarIT0_EES1_PKS1_PKT1_SA_S7_PKT3_PKT4_S5_PT5_21rocsparse_index_base_b
; %bb.0:
	s_clause 0x2
	s_load_b64 s[10:11], s[0:1], 0x58
	s_load_b64 s[4:5], s[0:1], 0x8
	;; [unrolled: 1-line block ×3, first 2 shown]
	s_mov_b32 s8, s15
	s_waitcnt lgkmcnt(0)
	s_bitcmp1_b32 s11, 0
	v_dual_mov_b32 v3, s4 :: v_dual_mov_b32 v4, s5
	s_cselect_b32 s6, -1, 0
	s_delay_alu instid0(SALU_CYCLE_1)
	s_and_b32 vcc_lo, exec_lo, s6
	s_xor_b32 s6, s6, -1
	s_cbranch_vccnz .LBB27_2
; %bb.1:
	v_dual_mov_b32 v1, s4 :: v_dual_mov_b32 v2, s5
	flat_load_b64 v[3:4], v[1:2]
.LBB27_2:
	v_dual_mov_b32 v1, s2 :: v_dual_mov_b32 v2, s3
	s_and_not1_b32 vcc_lo, exec_lo, s6
	s_cbranch_vccnz .LBB27_4
; %bb.3:
	v_dual_mov_b32 v1, s2 :: v_dual_mov_b32 v2, s3
	flat_load_b64 v[1:2], v[1:2]
.LBB27_4:
	s_waitcnt vmcnt(0) lgkmcnt(0)
	v_cmp_neq_f64_e32 vcc_lo, 0, v[3:4]
	v_cmp_neq_f64_e64 s2, 1.0, v[1:2]
	s_delay_alu instid0(VALU_DEP_1) | instskip(NEXT) | instid1(SALU_CYCLE_1)
	s_or_b32 s2, vcc_lo, s2
	s_and_saveexec_b32 s3, s2
	s_cbranch_execz .LBB27_38
; %bb.5:
	s_clause 0x1
	s_load_b128 s[4:7], s[0:1], 0x18
	s_load_b64 s[2:3], s[0:1], 0x28
	s_waitcnt lgkmcnt(0)
	s_cmp_eq_u64 s[4:5], 0
	s_cbranch_scc1 .LBB27_7
; %bb.6:
	s_ashr_i32 s9, s8, 31
	s_delay_alu instid0(SALU_CYCLE_1) | instskip(NEXT) | instid1(SALU_CYCLE_1)
	s_lshl_b64 s[8:9], s[8:9], 2
	s_add_u32 s4, s4, s8
	s_addc_u32 s5, s5, s9
	s_load_b32 s4, s[4:5], 0x0
	s_waitcnt lgkmcnt(0)
	s_sub_i32 s8, s4, s10
.LBB27_7:
	s_load_b32 s4, s[0:1], 0x4
	v_mul_u32_u24_e32 v5, 0x925, v0
	v_lshlrev_b32_e32 v12, 3, v0
	s_delay_alu instid0(VALU_DEP_2) | instskip(NEXT) | instid1(VALU_DEP_1)
	v_lshrrev_b32_e32 v7, 16, v5
	v_mul_lo_u16 v5, v7, 28
	s_delay_alu instid0(VALU_DEP_1)
	v_sub_nc_u16 v13, v0, v5
	v_mov_b32_e32 v5, 0
	v_mov_b32_e32 v6, 0
	s_waitcnt lgkmcnt(0)
	s_cmp_eq_u32 s4, 1
	s_cselect_b32 vcc_lo, -1, 0
	s_cmp_lg_u32 s4, 1
	s_cselect_b32 s11, -1, 0
	s_ashr_i32 s9, s8, 31
	s_delay_alu instid0(SALU_CYCLE_1) | instskip(NEXT) | instid1(SALU_CYCLE_1)
	s_lshl_b64 s[4:5], s[8:9], 2
	s_add_u32 s6, s6, s4
	s_addc_u32 s7, s7, s5
	s_add_u32 s9, s6, 4
	s_addc_u32 s12, s7, 0
	;; [unrolled: 2-line block ×3, first 2 shown]
	s_cmp_eq_u64 s[2:3], 0
	s_cselect_b32 s3, s12, s5
	s_cselect_b32 s2, s9, s4
	s_load_b32 s9, s[6:7], 0x0
	s_load_b32 s14, s[2:3], 0x0
	s_load_b64 s[2:3], s[0:1], 0x50
	s_waitcnt lgkmcnt(0)
	s_cmp_ge_i32 s9, s14
	s_cbranch_scc1 .LBB27_12
; %bb.8:
	s_clause 0x1
	s_load_b128 s[4:7], s[0:1], 0x30
	s_load_b64 s[12:13], s[0:1], 0x40
	v_and_b32_e32 v5, 0xffff, v7
	v_cmp_gt_u32_e64 s0, 0x310, v0
	v_and_b32_e32 v7, 0xffff, v13
	s_sub_i32 s9, s9, s10
	v_lshlrev_b32_e32 v9, 3, v0
	v_subrev_nc_u32_e32 v6, 28, v5
	s_sub_i32 s1, s14, s10
	s_mul_i32 s14, s9, 0x1880
	s_delay_alu instid0(VALU_DEP_1) | instskip(SKIP_3) | instid1(VALU_DEP_3)
	v_cndmask_b32_e64 v8, v6, v5, s0
	v_mov_b32_e32 v5, 0
	v_mov_b32_e32 v6, 0
	s_mul_hi_i32 s0, s9, 0x1880
	v_cndmask_b32_e32 v7, v7, v8, vcc_lo
	v_cmp_lt_u32_e32 vcc_lo, 0x30f, v0
	s_waitcnt lgkmcnt(0)
	s_add_u32 s6, s6, s14
	s_addc_u32 s0, s7, s0
	v_add_co_u32 v8, s6, s6, v9
	s_delay_alu instid0(VALU_DEP_1)
	v_add_co_ci_u32_e64 v9, null, s0, 0, s6
	v_cndmask_b32_e64 v14, 0, 1, vcc_lo
	s_set_inst_prefetch_distance 0x1
	s_branch .LBB27_10
	.p2align	6
.LBB27_9:                               ;   in Loop: Header=BB27_10 Depth=1
	s_or_b32 exec_lo, exec_lo, s0
	s_add_i32 s9, s9, 1
	s_delay_alu instid0(SALU_CYCLE_1)
	s_cmp_lt_i32 s9, s1
	s_cbranch_scc0 .LBB27_12
.LBB27_10:                              ; =>This Inner Loop Header: Depth=1
	s_delay_alu instid0(VALU_DEP_1) | instskip(SKIP_1) | instid1(VALU_DEP_1)
	v_add_nc_u32_e32 v10, s9, v14
	s_mov_b32 s0, exec_lo
	v_cmpx_gt_i32_e64 s1, v10
	s_cbranch_execz .LBB27_9
; %bb.11:                               ;   in Loop: Header=BB27_10 Depth=1
	v_ashrrev_i32_e32 v11, 31, v10
	s_delay_alu instid0(VALU_DEP_1) | instskip(NEXT) | instid1(VALU_DEP_1)
	v_lshlrev_b64 v[10:11], 2, v[10:11]
	v_add_co_u32 v10, vcc_lo, s4, v10
	s_delay_alu instid0(VALU_DEP_2) | instskip(SKIP_3) | instid1(VALU_DEP_1)
	v_add_co_ci_u32_e32 v11, vcc_lo, s5, v11, vcc_lo
	global_load_b32 v10, v[10:11], off
	s_waitcnt vmcnt(0)
	v_subrev_nc_u32_e32 v15, s10, v10
	v_mad_u64_u32 v[10:11], null, v15, 28, v[7:8]
	s_delay_alu instid0(VALU_DEP_1) | instskip(NEXT) | instid1(VALU_DEP_1)
	v_ashrrev_i32_e32 v11, 31, v10
	v_lshlrev_b64 v[10:11], 3, v[10:11]
	s_delay_alu instid0(VALU_DEP_1) | instskip(NEXT) | instid1(VALU_DEP_2)
	v_add_co_u32 v10, vcc_lo, s12, v10
	v_add_co_ci_u32_e32 v11, vcc_lo, s13, v11, vcc_lo
	global_load_b64 v[15:16], v[8:9], off
	global_load_b64 v[10:11], v[10:11], off
	v_add_co_u32 v8, vcc_lo, 0x1880, v8
	v_add_co_ci_u32_e32 v9, vcc_lo, 0, v9, vcc_lo
	s_waitcnt vmcnt(0)
	v_fma_f64 v[5:6], v[15:16], v[10:11], v[5:6]
	s_branch .LBB27_9
.LBB27_12:
	s_set_inst_prefetch_distance 0x2
	s_and_b32 vcc_lo, exec_lo, s11
	ds_store_b64 v12, v[5:6]
	s_waitcnt lgkmcnt(0)
	s_barrier
	buffer_gl0_inv
	s_cbranch_vccz .LBB27_24
; %bb.13:
	s_mov_b32 s0, exec_lo
	v_cmpx_gt_u16_e32 12, v13
	s_cbranch_execz .LBB27_15
; %bb.14:
	ds_load_2addr_b64 v[7:10], v12 offset1:16
	s_waitcnt lgkmcnt(0)
	v_add_f64 v[7:8], v[9:10], v[7:8]
	ds_store_b64 v12, v[7:8]
.LBB27_15:
	s_or_b32 exec_lo, exec_lo, s0
	s_delay_alu instid0(SALU_CYCLE_1)
	s_mov_b32 s0, exec_lo
	s_waitcnt lgkmcnt(0)
	s_barrier
	buffer_gl0_inv
	v_cmpx_gt_u16_e32 8, v13
	s_cbranch_execz .LBB27_17
; %bb.16:
	ds_load_2addr_b64 v[7:10], v12 offset1:8
	s_waitcnt lgkmcnt(0)
	v_add_f64 v[7:8], v[9:10], v[7:8]
	ds_store_b64 v12, v[7:8]
.LBB27_17:
	s_or_b32 exec_lo, exec_lo, s0
	s_delay_alu instid0(SALU_CYCLE_1)
	s_mov_b32 s0, exec_lo
	s_waitcnt lgkmcnt(0)
	s_barrier
	buffer_gl0_inv
	;; [unrolled: 14-line block ×3, first 2 shown]
	v_cmpx_gt_u16_e32 2, v13
	s_cbranch_execz .LBB27_21
; %bb.20:
	ds_load_2addr_b64 v[7:10], v12 offset1:2
	s_waitcnt lgkmcnt(0)
	v_add_f64 v[7:8], v[9:10], v[7:8]
	ds_store_b64 v12, v[7:8]
.LBB27_21:
	s_or_b32 exec_lo, exec_lo, s0
	s_mov_b32 s1, 0
	s_mov_b32 s0, 0
	s_mov_b32 s4, exec_lo
	s_waitcnt lgkmcnt(0)
	s_barrier
	buffer_gl0_inv
                                        ; implicit-def: $vgpr7
                                        ; implicit-def: $vgpr8
	v_cmpx_gt_u32_e32 28, v0
	s_xor_b32 s4, exec_lo, s4
; %bb.22:
	v_mul_u32_u24_e32 v7, 28, v0
	v_mad_u32_u24 v8, 0xd8, v0, v12
	s_mov_b32 s0, exec_lo
	s_delay_alu instid0(VALU_DEP_2)
	v_or_b32_e32 v7, 1, v7
; %bb.23:
	s_or_b32 exec_lo, exec_lo, s4
	s_delay_alu instid0(SALU_CYCLE_1)
	s_and_b32 vcc_lo, exec_lo, s1
	s_cbranch_vccnz .LBB27_25
	s_branch .LBB27_36
.LBB27_24:
	s_mov_b32 s0, 0
                                        ; implicit-def: $vgpr7
                                        ; implicit-def: $vgpr8
	s_cbranch_execz .LBB27_36
.LBB27_25:
	s_mov_b32 s1, exec_lo
	v_cmpx_gt_u32_e32 0x150, v0
	s_cbranch_execz .LBB27_27
; %bb.26:
	ds_load_2addr_stride64_b64 v[7:10], v12 offset1:7
	s_waitcnt lgkmcnt(0)
	v_add_f64 v[7:8], v[9:10], v[7:8]
	ds_store_b64 v12, v[7:8]
.LBB27_27:
	s_or_b32 exec_lo, exec_lo, s1
	s_delay_alu instid0(SALU_CYCLE_1)
	s_mov_b32 s1, exec_lo
	s_waitcnt lgkmcnt(0)
	s_barrier
	buffer_gl0_inv
	v_cmpx_gt_u32_e32 0xe0, v0
	s_cbranch_execz .LBB27_29
; %bb.28:
	ds_load_2addr_b64 v[7:10], v12 offset1:224
	s_waitcnt lgkmcnt(0)
	v_add_f64 v[7:8], v[9:10], v[7:8]
	ds_store_b64 v12, v[7:8]
.LBB27_29:
	s_or_b32 exec_lo, exec_lo, s1
	s_delay_alu instid0(SALU_CYCLE_1)
	s_mov_b32 s1, exec_lo
	s_waitcnt lgkmcnt(0)
	s_barrier
	buffer_gl0_inv
	v_cmpx_gt_u32_e32 0x70, v0
	s_cbranch_execz .LBB27_31
; %bb.30:
	ds_load_2addr_b64 v[7:10], v12 offset1:112
	s_waitcnt lgkmcnt(0)
	v_add_f64 v[7:8], v[9:10], v[7:8]
	ds_store_b64 v12, v[7:8]
.LBB27_31:
	s_or_b32 exec_lo, exec_lo, s1
	s_delay_alu instid0(SALU_CYCLE_1)
	s_mov_b32 s1, exec_lo
	s_waitcnt lgkmcnt(0)
	s_barrier
	buffer_gl0_inv
	v_cmpx_gt_u32_e32 56, v0
	s_cbranch_execz .LBB27_33
; %bb.32:
	ds_load_2addr_b64 v[7:10], v12 offset1:56
	s_waitcnt lgkmcnt(0)
	v_add_f64 v[7:8], v[9:10], v[7:8]
	ds_store_b64 v12, v[7:8]
.LBB27_33:
	s_or_b32 exec_lo, exec_lo, s1
	s_delay_alu instid0(SALU_CYCLE_1)
	s_mov_b32 s1, exec_lo
	s_waitcnt lgkmcnt(0)
	buffer_gl0_inv
                                        ; implicit-def: $vgpr7
	v_cmpx_gt_u32_e32 28, v0
; %bb.34:
	v_add_nc_u32_e32 v7, 28, v0
	s_or_b32 s0, s0, exec_lo
                                        ; implicit-def: $vgpr5_vgpr6
; %bb.35:
	s_or_b32 exec_lo, exec_lo, s1
	v_mov_b32_e32 v8, v12
.LBB27_36:
	s_and_saveexec_b32 s1, s0
	s_cbranch_execnz .LBB27_39
; %bb.37:
	s_or_b32 exec_lo, exec_lo, s1
	v_cmp_gt_u32_e32 vcc_lo, 28, v0
	s_and_b32 exec_lo, exec_lo, vcc_lo
	s_cbranch_execnz .LBB27_40
.LBB27_38:
	s_nop 0
	s_sendmsg sendmsg(MSG_DEALLOC_VGPRS)
	s_endpgm
.LBB27_39:
	v_lshlrev_b32_e32 v7, 3, v7
	ds_load_b64 v[5:6], v8
	ds_load_b64 v[7:8], v7
	s_waitcnt lgkmcnt(0)
	v_add_f64 v[5:6], v[5:6], v[7:8]
	s_or_b32 exec_lo, exec_lo, s1
	v_cmp_gt_u32_e32 vcc_lo, 28, v0
	s_and_b32 exec_lo, exec_lo, vcc_lo
	s_cbranch_execz .LBB27_38
.LBB27_40:
	s_delay_alu instid0(VALU_DEP_2)
	v_mul_f64 v[3:4], v[3:4], v[5:6]
	s_mov_b32 s0, exec_lo
	v_cmpx_eq_f64_e32 0, v[1:2]
	s_xor_b32 s0, exec_lo, s0
	s_cbranch_execz .LBB27_42
; %bb.41:
	v_mad_u64_u32 v[1:2], null, s8, 28, v[0:1]
	v_mov_b32_e32 v2, 0
	s_delay_alu instid0(VALU_DEP_1) | instskip(NEXT) | instid1(VALU_DEP_1)
	v_lshlrev_b64 v[0:1], 3, v[1:2]
	v_add_co_u32 v0, vcc_lo, s2, v0
	s_delay_alu instid0(VALU_DEP_2)
	v_add_co_ci_u32_e32 v1, vcc_lo, s3, v1, vcc_lo
	global_store_b64 v[0:1], v[3:4], off
                                        ; implicit-def: $vgpr0
                                        ; implicit-def: $vgpr1_vgpr2
                                        ; implicit-def: $vgpr3_vgpr4
.LBB27_42:
	s_and_not1_saveexec_b32 s0, s0
	s_cbranch_execz .LBB27_38
; %bb.43:
	v_mad_u64_u32 v[5:6], null, s8, 28, v[0:1]
	v_mov_b32_e32 v6, 0
	s_delay_alu instid0(VALU_DEP_1) | instskip(NEXT) | instid1(VALU_DEP_1)
	v_lshlrev_b64 v[5:6], 3, v[5:6]
	v_add_co_u32 v5, vcc_lo, s2, v5
	s_delay_alu instid0(VALU_DEP_2)
	v_add_co_ci_u32_e32 v6, vcc_lo, s3, v6, vcc_lo
	global_load_b64 v[7:8], v[5:6], off
	s_waitcnt vmcnt(0)
	v_fma_f64 v[0:1], v[1:2], v[7:8], v[3:4]
	global_store_b64 v[5:6], v[0:1], off
	s_nop 0
	s_sendmsg sendmsg(MSG_DEALLOC_VGPRS)
	s_endpgm
	.section	.rodata,"a",@progbits
	.p2align	6, 0x0
	.amdhsa_kernel _ZN9rocsparseL20bsrxmvn_17_32_kernelILj28EdiidddEEvT2_20rocsparse_direction_NS_24const_host_device_scalarIT0_EES1_PKS1_PKT1_SA_S7_PKT3_PKT4_S5_PT5_21rocsparse_index_base_b
		.amdhsa_group_segment_fixed_size 6272
		.amdhsa_private_segment_fixed_size 0
		.amdhsa_kernarg_size 96
		.amdhsa_user_sgpr_count 15
		.amdhsa_user_sgpr_dispatch_ptr 0
		.amdhsa_user_sgpr_queue_ptr 0
		.amdhsa_user_sgpr_kernarg_segment_ptr 1
		.amdhsa_user_sgpr_dispatch_id 0
		.amdhsa_user_sgpr_private_segment_size 0
		.amdhsa_wavefront_size32 1
		.amdhsa_uses_dynamic_stack 0
		.amdhsa_enable_private_segment 0
		.amdhsa_system_sgpr_workgroup_id_x 1
		.amdhsa_system_sgpr_workgroup_id_y 0
		.amdhsa_system_sgpr_workgroup_id_z 0
		.amdhsa_system_sgpr_workgroup_info 0
		.amdhsa_system_vgpr_workitem_id 0
		.amdhsa_next_free_vgpr 17
		.amdhsa_next_free_sgpr 16
		.amdhsa_reserve_vcc 1
		.amdhsa_float_round_mode_32 0
		.amdhsa_float_round_mode_16_64 0
		.amdhsa_float_denorm_mode_32 3
		.amdhsa_float_denorm_mode_16_64 3
		.amdhsa_dx10_clamp 1
		.amdhsa_ieee_mode 1
		.amdhsa_fp16_overflow 0
		.amdhsa_workgroup_processor_mode 1
		.amdhsa_memory_ordered 1
		.amdhsa_forward_progress 0
		.amdhsa_shared_vgpr_count 0
		.amdhsa_exception_fp_ieee_invalid_op 0
		.amdhsa_exception_fp_denorm_src 0
		.amdhsa_exception_fp_ieee_div_zero 0
		.amdhsa_exception_fp_ieee_overflow 0
		.amdhsa_exception_fp_ieee_underflow 0
		.amdhsa_exception_fp_ieee_inexact 0
		.amdhsa_exception_int_div_zero 0
	.end_amdhsa_kernel
	.section	.text._ZN9rocsparseL20bsrxmvn_17_32_kernelILj28EdiidddEEvT2_20rocsparse_direction_NS_24const_host_device_scalarIT0_EES1_PKS1_PKT1_SA_S7_PKT3_PKT4_S5_PT5_21rocsparse_index_base_b,"axG",@progbits,_ZN9rocsparseL20bsrxmvn_17_32_kernelILj28EdiidddEEvT2_20rocsparse_direction_NS_24const_host_device_scalarIT0_EES1_PKS1_PKT1_SA_S7_PKT3_PKT4_S5_PT5_21rocsparse_index_base_b,comdat
.Lfunc_end27:
	.size	_ZN9rocsparseL20bsrxmvn_17_32_kernelILj28EdiidddEEvT2_20rocsparse_direction_NS_24const_host_device_scalarIT0_EES1_PKS1_PKT1_SA_S7_PKT3_PKT4_S5_PT5_21rocsparse_index_base_b, .Lfunc_end27-_ZN9rocsparseL20bsrxmvn_17_32_kernelILj28EdiidddEEvT2_20rocsparse_direction_NS_24const_host_device_scalarIT0_EES1_PKS1_PKT1_SA_S7_PKT3_PKT4_S5_PT5_21rocsparse_index_base_b
                                        ; -- End function
	.section	.AMDGPU.csdata,"",@progbits
; Kernel info:
; codeLenInByte = 1616
; NumSgprs: 18
; NumVgprs: 17
; ScratchSize: 0
; MemoryBound: 0
; FloatMode: 240
; IeeeMode: 1
; LDSByteSize: 6272 bytes/workgroup (compile time only)
; SGPRBlocks: 2
; VGPRBlocks: 2
; NumSGPRsForWavesPerEU: 18
; NumVGPRsForWavesPerEU: 17
; Occupancy: 13
; WaveLimiterHint : 1
; COMPUTE_PGM_RSRC2:SCRATCH_EN: 0
; COMPUTE_PGM_RSRC2:USER_SGPR: 15
; COMPUTE_PGM_RSRC2:TRAP_HANDLER: 0
; COMPUTE_PGM_RSRC2:TGID_X_EN: 1
; COMPUTE_PGM_RSRC2:TGID_Y_EN: 0
; COMPUTE_PGM_RSRC2:TGID_Z_EN: 0
; COMPUTE_PGM_RSRC2:TIDIG_COMP_CNT: 0
	.section	.text._ZN9rocsparseL20bsrxmvn_17_32_kernelILj29EdiidddEEvT2_20rocsparse_direction_NS_24const_host_device_scalarIT0_EES1_PKS1_PKT1_SA_S7_PKT3_PKT4_S5_PT5_21rocsparse_index_base_b,"axG",@progbits,_ZN9rocsparseL20bsrxmvn_17_32_kernelILj29EdiidddEEvT2_20rocsparse_direction_NS_24const_host_device_scalarIT0_EES1_PKS1_PKT1_SA_S7_PKT3_PKT4_S5_PT5_21rocsparse_index_base_b,comdat
	.globl	_ZN9rocsparseL20bsrxmvn_17_32_kernelILj29EdiidddEEvT2_20rocsparse_direction_NS_24const_host_device_scalarIT0_EES1_PKS1_PKT1_SA_S7_PKT3_PKT4_S5_PT5_21rocsparse_index_base_b ; -- Begin function _ZN9rocsparseL20bsrxmvn_17_32_kernelILj29EdiidddEEvT2_20rocsparse_direction_NS_24const_host_device_scalarIT0_EES1_PKS1_PKT1_SA_S7_PKT3_PKT4_S5_PT5_21rocsparse_index_base_b
	.p2align	8
	.type	_ZN9rocsparseL20bsrxmvn_17_32_kernelILj29EdiidddEEvT2_20rocsparse_direction_NS_24const_host_device_scalarIT0_EES1_PKS1_PKT1_SA_S7_PKT3_PKT4_S5_PT5_21rocsparse_index_base_b,@function
_ZN9rocsparseL20bsrxmvn_17_32_kernelILj29EdiidddEEvT2_20rocsparse_direction_NS_24const_host_device_scalarIT0_EES1_PKS1_PKT1_SA_S7_PKT3_PKT4_S5_PT5_21rocsparse_index_base_b: ; @_ZN9rocsparseL20bsrxmvn_17_32_kernelILj29EdiidddEEvT2_20rocsparse_direction_NS_24const_host_device_scalarIT0_EES1_PKS1_PKT1_SA_S7_PKT3_PKT4_S5_PT5_21rocsparse_index_base_b
; %bb.0:
	s_clause 0x2
	s_load_b64 s[10:11], s[0:1], 0x58
	s_load_b64 s[4:5], s[0:1], 0x8
	;; [unrolled: 1-line block ×3, first 2 shown]
	s_mov_b32 s8, s15
	s_waitcnt lgkmcnt(0)
	s_bitcmp1_b32 s11, 0
	v_dual_mov_b32 v3, s4 :: v_dual_mov_b32 v4, s5
	s_cselect_b32 s6, -1, 0
	s_delay_alu instid0(SALU_CYCLE_1)
	s_and_b32 vcc_lo, exec_lo, s6
	s_xor_b32 s6, s6, -1
	s_cbranch_vccnz .LBB28_2
; %bb.1:
	v_dual_mov_b32 v1, s4 :: v_dual_mov_b32 v2, s5
	flat_load_b64 v[3:4], v[1:2]
.LBB28_2:
	v_dual_mov_b32 v1, s2 :: v_dual_mov_b32 v2, s3
	s_and_not1_b32 vcc_lo, exec_lo, s6
	s_cbranch_vccnz .LBB28_4
; %bb.3:
	v_dual_mov_b32 v1, s2 :: v_dual_mov_b32 v2, s3
	flat_load_b64 v[1:2], v[1:2]
.LBB28_4:
	s_waitcnt vmcnt(0) lgkmcnt(0)
	v_cmp_neq_f64_e32 vcc_lo, 0, v[3:4]
	v_cmp_neq_f64_e64 s2, 1.0, v[1:2]
	s_delay_alu instid0(VALU_DEP_1) | instskip(NEXT) | instid1(SALU_CYCLE_1)
	s_or_b32 s2, vcc_lo, s2
	s_and_saveexec_b32 s3, s2
	s_cbranch_execz .LBB28_38
; %bb.5:
	s_clause 0x1
	s_load_b128 s[4:7], s[0:1], 0x18
	s_load_b64 s[2:3], s[0:1], 0x28
	s_waitcnt lgkmcnt(0)
	s_cmp_eq_u64 s[4:5], 0
	s_cbranch_scc1 .LBB28_7
; %bb.6:
	s_ashr_i32 s9, s8, 31
	s_delay_alu instid0(SALU_CYCLE_1) | instskip(NEXT) | instid1(SALU_CYCLE_1)
	s_lshl_b64 s[8:9], s[8:9], 2
	s_add_u32 s4, s4, s8
	s_addc_u32 s5, s5, s9
	s_load_b32 s4, s[4:5], 0x0
	s_waitcnt lgkmcnt(0)
	s_sub_i32 s8, s4, s10
.LBB28_7:
	s_load_b32 s4, s[0:1], 0x4
	v_mul_u32_u24_e32 v5, 0x8d4, v0
	v_lshlrev_b32_e32 v12, 3, v0
	s_delay_alu instid0(VALU_DEP_2) | instskip(NEXT) | instid1(VALU_DEP_1)
	v_lshrrev_b32_e32 v7, 16, v5
	v_mul_lo_u16 v5, v7, 29
	s_delay_alu instid0(VALU_DEP_1)
	v_sub_nc_u16 v13, v0, v5
	v_mov_b32_e32 v5, 0
	v_mov_b32_e32 v6, 0
	s_waitcnt lgkmcnt(0)
	s_cmp_eq_u32 s4, 1
	s_cselect_b32 vcc_lo, -1, 0
	s_cmp_lg_u32 s4, 1
	s_cselect_b32 s11, -1, 0
	s_ashr_i32 s9, s8, 31
	s_delay_alu instid0(SALU_CYCLE_1) | instskip(NEXT) | instid1(SALU_CYCLE_1)
	s_lshl_b64 s[4:5], s[8:9], 2
	s_add_u32 s6, s6, s4
	s_addc_u32 s7, s7, s5
	s_add_u32 s9, s6, 4
	s_addc_u32 s12, s7, 0
	;; [unrolled: 2-line block ×3, first 2 shown]
	s_cmp_eq_u64 s[2:3], 0
	s_cselect_b32 s3, s12, s5
	s_cselect_b32 s2, s9, s4
	s_load_b32 s9, s[6:7], 0x0
	s_load_b32 s14, s[2:3], 0x0
	s_load_b64 s[2:3], s[0:1], 0x50
	s_waitcnt lgkmcnt(0)
	s_cmp_ge_i32 s9, s14
	s_cbranch_scc1 .LBB28_12
; %bb.8:
	s_clause 0x1
	s_load_b128 s[4:7], s[0:1], 0x30
	s_load_b64 s[12:13], s[0:1], 0x40
	v_and_b32_e32 v5, 0xffff, v7
	v_cmp_gt_u32_e64 s0, 0x349, v0
	v_and_b32_e32 v7, 0xffff, v13
	s_sub_i32 s9, s9, s10
	v_lshlrev_b32_e32 v9, 3, v0
	v_subrev_nc_u32_e32 v6, 29, v5
	s_sub_i32 s1, s14, s10
	s_mul_i32 s14, s9, 0x1a48
	s_delay_alu instid0(VALU_DEP_1) | instskip(SKIP_3) | instid1(VALU_DEP_3)
	v_cndmask_b32_e64 v8, v6, v5, s0
	v_mov_b32_e32 v5, 0
	v_mov_b32_e32 v6, 0
	s_mul_hi_i32 s0, s9, 0x1a48
	v_cndmask_b32_e32 v7, v7, v8, vcc_lo
	v_cmp_lt_u32_e32 vcc_lo, 0x348, v0
	s_waitcnt lgkmcnt(0)
	s_add_u32 s6, s6, s14
	s_addc_u32 s0, s7, s0
	v_add_co_u32 v8, s6, s6, v9
	s_delay_alu instid0(VALU_DEP_1)
	v_add_co_ci_u32_e64 v9, null, s0, 0, s6
	v_cndmask_b32_e64 v14, 0, 1, vcc_lo
	s_set_inst_prefetch_distance 0x1
	s_branch .LBB28_10
	.p2align	6
.LBB28_9:                               ;   in Loop: Header=BB28_10 Depth=1
	s_or_b32 exec_lo, exec_lo, s0
	s_add_i32 s9, s9, 1
	s_delay_alu instid0(SALU_CYCLE_1)
	s_cmp_lt_i32 s9, s1
	s_cbranch_scc0 .LBB28_12
.LBB28_10:                              ; =>This Inner Loop Header: Depth=1
	s_delay_alu instid0(VALU_DEP_1) | instskip(SKIP_1) | instid1(VALU_DEP_1)
	v_add_nc_u32_e32 v10, s9, v14
	s_mov_b32 s0, exec_lo
	v_cmpx_gt_i32_e64 s1, v10
	s_cbranch_execz .LBB28_9
; %bb.11:                               ;   in Loop: Header=BB28_10 Depth=1
	v_ashrrev_i32_e32 v11, 31, v10
	s_delay_alu instid0(VALU_DEP_1) | instskip(NEXT) | instid1(VALU_DEP_1)
	v_lshlrev_b64 v[10:11], 2, v[10:11]
	v_add_co_u32 v10, vcc_lo, s4, v10
	s_delay_alu instid0(VALU_DEP_2) | instskip(SKIP_3) | instid1(VALU_DEP_1)
	v_add_co_ci_u32_e32 v11, vcc_lo, s5, v11, vcc_lo
	global_load_b32 v10, v[10:11], off
	s_waitcnt vmcnt(0)
	v_subrev_nc_u32_e32 v15, s10, v10
	v_mad_u64_u32 v[10:11], null, v15, 29, v[7:8]
	s_delay_alu instid0(VALU_DEP_1) | instskip(NEXT) | instid1(VALU_DEP_1)
	v_ashrrev_i32_e32 v11, 31, v10
	v_lshlrev_b64 v[10:11], 3, v[10:11]
	s_delay_alu instid0(VALU_DEP_1) | instskip(NEXT) | instid1(VALU_DEP_2)
	v_add_co_u32 v10, vcc_lo, s12, v10
	v_add_co_ci_u32_e32 v11, vcc_lo, s13, v11, vcc_lo
	global_load_b64 v[15:16], v[8:9], off
	global_load_b64 v[10:11], v[10:11], off
	v_add_co_u32 v8, vcc_lo, 0x1a48, v8
	v_add_co_ci_u32_e32 v9, vcc_lo, 0, v9, vcc_lo
	s_waitcnt vmcnt(0)
	v_fma_f64 v[5:6], v[15:16], v[10:11], v[5:6]
	s_branch .LBB28_9
.LBB28_12:
	s_set_inst_prefetch_distance 0x2
	s_and_b32 vcc_lo, exec_lo, s11
	ds_store_b64 v12, v[5:6]
	s_waitcnt lgkmcnt(0)
	s_barrier
	buffer_gl0_inv
	s_cbranch_vccz .LBB28_24
; %bb.13:
	s_mov_b32 s0, exec_lo
	v_cmpx_gt_u16_e32 13, v13
	s_cbranch_execz .LBB28_15
; %bb.14:
	ds_load_2addr_b64 v[7:10], v12 offset1:16
	s_waitcnt lgkmcnt(0)
	v_add_f64 v[7:8], v[9:10], v[7:8]
	ds_store_b64 v12, v[7:8]
.LBB28_15:
	s_or_b32 exec_lo, exec_lo, s0
	s_delay_alu instid0(SALU_CYCLE_1)
	s_mov_b32 s0, exec_lo
	s_waitcnt lgkmcnt(0)
	s_barrier
	buffer_gl0_inv
	v_cmpx_gt_u16_e32 8, v13
	s_cbranch_execz .LBB28_17
; %bb.16:
	ds_load_2addr_b64 v[7:10], v12 offset1:8
	s_waitcnt lgkmcnt(0)
	v_add_f64 v[7:8], v[9:10], v[7:8]
	ds_store_b64 v12, v[7:8]
.LBB28_17:
	s_or_b32 exec_lo, exec_lo, s0
	s_delay_alu instid0(SALU_CYCLE_1)
	s_mov_b32 s0, exec_lo
	s_waitcnt lgkmcnt(0)
	s_barrier
	buffer_gl0_inv
	;; [unrolled: 14-line block ×3, first 2 shown]
	v_cmpx_gt_u16_e32 2, v13
	s_cbranch_execz .LBB28_21
; %bb.20:
	ds_load_2addr_b64 v[7:10], v12 offset1:2
	s_waitcnt lgkmcnt(0)
	v_add_f64 v[7:8], v[9:10], v[7:8]
	ds_store_b64 v12, v[7:8]
.LBB28_21:
	s_or_b32 exec_lo, exec_lo, s0
	s_mov_b32 s1, 0
	s_mov_b32 s0, 0
	s_mov_b32 s4, exec_lo
	s_waitcnt lgkmcnt(0)
	s_barrier
	buffer_gl0_inv
                                        ; implicit-def: $vgpr7
                                        ; implicit-def: $vgpr8
	v_cmpx_gt_u32_e32 29, v0
	s_xor_b32 s4, exec_lo, s4
; %bb.22:
	v_mad_u32_u24 v7, v0, 29, 1
	v_mad_u32_u24 v8, 0xe0, v0, v12
	s_mov_b32 s0, exec_lo
; %bb.23:
	s_or_b32 exec_lo, exec_lo, s4
	s_delay_alu instid0(SALU_CYCLE_1)
	s_and_b32 vcc_lo, exec_lo, s1
	s_cbranch_vccnz .LBB28_25
	s_branch .LBB28_36
.LBB28_24:
	s_mov_b32 s0, 0
                                        ; implicit-def: $vgpr7
                                        ; implicit-def: $vgpr8
	s_cbranch_execz .LBB28_36
.LBB28_25:
	s_mov_b32 s1, exec_lo
	v_cmpx_gt_u32_e32 0x179, v0
	s_cbranch_execz .LBB28_27
; %bb.26:
	ds_load_b64 v[7:8], v12 offset:3712
	ds_load_b64 v[9:10], v12
	s_waitcnt lgkmcnt(0)
	v_add_f64 v[7:8], v[7:8], v[9:10]
	ds_store_b64 v12, v[7:8]
.LBB28_27:
	s_or_b32 exec_lo, exec_lo, s1
	s_delay_alu instid0(SALU_CYCLE_1)
	s_mov_b32 s1, exec_lo
	s_waitcnt lgkmcnt(0)
	s_barrier
	buffer_gl0_inv
	v_cmpx_gt_u32_e32 0xe8, v0
	s_cbranch_execz .LBB28_29
; %bb.28:
	ds_load_2addr_b64 v[7:10], v12 offset1:232
	s_waitcnt lgkmcnt(0)
	v_add_f64 v[7:8], v[9:10], v[7:8]
	ds_store_b64 v12, v[7:8]
.LBB28_29:
	s_or_b32 exec_lo, exec_lo, s1
	s_delay_alu instid0(SALU_CYCLE_1)
	s_mov_b32 s1, exec_lo
	s_waitcnt lgkmcnt(0)
	s_barrier
	buffer_gl0_inv
	v_cmpx_gt_u32_e32 0x74, v0
	s_cbranch_execz .LBB28_31
; %bb.30:
	ds_load_2addr_b64 v[7:10], v12 offset1:116
	s_waitcnt lgkmcnt(0)
	v_add_f64 v[7:8], v[9:10], v[7:8]
	ds_store_b64 v12, v[7:8]
.LBB28_31:
	s_or_b32 exec_lo, exec_lo, s1
	s_delay_alu instid0(SALU_CYCLE_1)
	s_mov_b32 s1, exec_lo
	s_waitcnt lgkmcnt(0)
	s_barrier
	buffer_gl0_inv
	v_cmpx_gt_u32_e32 58, v0
	s_cbranch_execz .LBB28_33
; %bb.32:
	ds_load_2addr_b64 v[7:10], v12 offset1:58
	s_waitcnt lgkmcnt(0)
	v_add_f64 v[7:8], v[9:10], v[7:8]
	ds_store_b64 v12, v[7:8]
.LBB28_33:
	s_or_b32 exec_lo, exec_lo, s1
	s_delay_alu instid0(SALU_CYCLE_1)
	s_mov_b32 s1, exec_lo
	s_waitcnt lgkmcnt(0)
	buffer_gl0_inv
                                        ; implicit-def: $vgpr7
	v_cmpx_gt_u32_e32 29, v0
; %bb.34:
	v_add_nc_u32_e32 v7, 29, v0
	s_or_b32 s0, s0, exec_lo
                                        ; implicit-def: $vgpr5_vgpr6
; %bb.35:
	s_or_b32 exec_lo, exec_lo, s1
	v_mov_b32_e32 v8, v12
.LBB28_36:
	s_and_saveexec_b32 s1, s0
	s_cbranch_execnz .LBB28_39
; %bb.37:
	s_or_b32 exec_lo, exec_lo, s1
	v_cmp_gt_u32_e32 vcc_lo, 29, v0
	s_and_b32 exec_lo, exec_lo, vcc_lo
	s_cbranch_execnz .LBB28_40
.LBB28_38:
	s_nop 0
	s_sendmsg sendmsg(MSG_DEALLOC_VGPRS)
	s_endpgm
.LBB28_39:
	v_lshlrev_b32_e32 v7, 3, v7
	ds_load_b64 v[5:6], v8
	ds_load_b64 v[7:8], v7
	s_waitcnt lgkmcnt(0)
	v_add_f64 v[5:6], v[5:6], v[7:8]
	s_or_b32 exec_lo, exec_lo, s1
	v_cmp_gt_u32_e32 vcc_lo, 29, v0
	s_and_b32 exec_lo, exec_lo, vcc_lo
	s_cbranch_execz .LBB28_38
.LBB28_40:
	s_delay_alu instid0(VALU_DEP_2)
	v_mul_f64 v[3:4], v[3:4], v[5:6]
	s_mov_b32 s0, exec_lo
	v_cmpx_eq_f64_e32 0, v[1:2]
	s_xor_b32 s0, exec_lo, s0
	s_cbranch_execz .LBB28_42
; %bb.41:
	v_mad_u64_u32 v[1:2], null, s8, 29, v[0:1]
	v_mov_b32_e32 v2, 0
	s_delay_alu instid0(VALU_DEP_1) | instskip(NEXT) | instid1(VALU_DEP_1)
	v_lshlrev_b64 v[0:1], 3, v[1:2]
	v_add_co_u32 v0, vcc_lo, s2, v0
	s_delay_alu instid0(VALU_DEP_2)
	v_add_co_ci_u32_e32 v1, vcc_lo, s3, v1, vcc_lo
	global_store_b64 v[0:1], v[3:4], off
                                        ; implicit-def: $vgpr0
                                        ; implicit-def: $vgpr1_vgpr2
                                        ; implicit-def: $vgpr3_vgpr4
.LBB28_42:
	s_and_not1_saveexec_b32 s0, s0
	s_cbranch_execz .LBB28_38
; %bb.43:
	v_mad_u64_u32 v[5:6], null, s8, 29, v[0:1]
	v_mov_b32_e32 v6, 0
	s_delay_alu instid0(VALU_DEP_1) | instskip(NEXT) | instid1(VALU_DEP_1)
	v_lshlrev_b64 v[5:6], 3, v[5:6]
	v_add_co_u32 v5, vcc_lo, s2, v5
	s_delay_alu instid0(VALU_DEP_2)
	v_add_co_ci_u32_e32 v6, vcc_lo, s3, v6, vcc_lo
	global_load_b64 v[7:8], v[5:6], off
	s_waitcnt vmcnt(0)
	v_fma_f64 v[0:1], v[1:2], v[7:8], v[3:4]
	global_store_b64 v[5:6], v[0:1], off
	s_nop 0
	s_sendmsg sendmsg(MSG_DEALLOC_VGPRS)
	s_endpgm
	.section	.rodata,"a",@progbits
	.p2align	6, 0x0
	.amdhsa_kernel _ZN9rocsparseL20bsrxmvn_17_32_kernelILj29EdiidddEEvT2_20rocsparse_direction_NS_24const_host_device_scalarIT0_EES1_PKS1_PKT1_SA_S7_PKT3_PKT4_S5_PT5_21rocsparse_index_base_b
		.amdhsa_group_segment_fixed_size 6728
		.amdhsa_private_segment_fixed_size 0
		.amdhsa_kernarg_size 96
		.amdhsa_user_sgpr_count 15
		.amdhsa_user_sgpr_dispatch_ptr 0
		.amdhsa_user_sgpr_queue_ptr 0
		.amdhsa_user_sgpr_kernarg_segment_ptr 1
		.amdhsa_user_sgpr_dispatch_id 0
		.amdhsa_user_sgpr_private_segment_size 0
		.amdhsa_wavefront_size32 1
		.amdhsa_uses_dynamic_stack 0
		.amdhsa_enable_private_segment 0
		.amdhsa_system_sgpr_workgroup_id_x 1
		.amdhsa_system_sgpr_workgroup_id_y 0
		.amdhsa_system_sgpr_workgroup_id_z 0
		.amdhsa_system_sgpr_workgroup_info 0
		.amdhsa_system_vgpr_workitem_id 0
		.amdhsa_next_free_vgpr 17
		.amdhsa_next_free_sgpr 16
		.amdhsa_reserve_vcc 1
		.amdhsa_float_round_mode_32 0
		.amdhsa_float_round_mode_16_64 0
		.amdhsa_float_denorm_mode_32 3
		.amdhsa_float_denorm_mode_16_64 3
		.amdhsa_dx10_clamp 1
		.amdhsa_ieee_mode 1
		.amdhsa_fp16_overflow 0
		.amdhsa_workgroup_processor_mode 1
		.amdhsa_memory_ordered 1
		.amdhsa_forward_progress 0
		.amdhsa_shared_vgpr_count 0
		.amdhsa_exception_fp_ieee_invalid_op 0
		.amdhsa_exception_fp_denorm_src 0
		.amdhsa_exception_fp_ieee_div_zero 0
		.amdhsa_exception_fp_ieee_overflow 0
		.amdhsa_exception_fp_ieee_underflow 0
		.amdhsa_exception_fp_ieee_inexact 0
		.amdhsa_exception_int_div_zero 0
	.end_amdhsa_kernel
	.section	.text._ZN9rocsparseL20bsrxmvn_17_32_kernelILj29EdiidddEEvT2_20rocsparse_direction_NS_24const_host_device_scalarIT0_EES1_PKS1_PKT1_SA_S7_PKT3_PKT4_S5_PT5_21rocsparse_index_base_b,"axG",@progbits,_ZN9rocsparseL20bsrxmvn_17_32_kernelILj29EdiidddEEvT2_20rocsparse_direction_NS_24const_host_device_scalarIT0_EES1_PKS1_PKT1_SA_S7_PKT3_PKT4_S5_PT5_21rocsparse_index_base_b,comdat
.Lfunc_end28:
	.size	_ZN9rocsparseL20bsrxmvn_17_32_kernelILj29EdiidddEEvT2_20rocsparse_direction_NS_24const_host_device_scalarIT0_EES1_PKS1_PKT1_SA_S7_PKT3_PKT4_S5_PT5_21rocsparse_index_base_b, .Lfunc_end28-_ZN9rocsparseL20bsrxmvn_17_32_kernelILj29EdiidddEEvT2_20rocsparse_direction_NS_24const_host_device_scalarIT0_EES1_PKS1_PKT1_SA_S7_PKT3_PKT4_S5_PT5_21rocsparse_index_base_b
                                        ; -- End function
	.section	.AMDGPU.csdata,"",@progbits
; Kernel info:
; codeLenInByte = 1620
; NumSgprs: 18
; NumVgprs: 17
; ScratchSize: 0
; MemoryBound: 0
; FloatMode: 240
; IeeeMode: 1
; LDSByteSize: 6728 bytes/workgroup (compile time only)
; SGPRBlocks: 2
; VGPRBlocks: 2
; NumSGPRsForWavesPerEU: 18
; NumVGPRsForWavesPerEU: 17
; Occupancy: 14
; WaveLimiterHint : 1
; COMPUTE_PGM_RSRC2:SCRATCH_EN: 0
; COMPUTE_PGM_RSRC2:USER_SGPR: 15
; COMPUTE_PGM_RSRC2:TRAP_HANDLER: 0
; COMPUTE_PGM_RSRC2:TGID_X_EN: 1
; COMPUTE_PGM_RSRC2:TGID_Y_EN: 0
; COMPUTE_PGM_RSRC2:TGID_Z_EN: 0
; COMPUTE_PGM_RSRC2:TIDIG_COMP_CNT: 0
	.section	.text._ZN9rocsparseL20bsrxmvn_17_32_kernelILj30EdiidddEEvT2_20rocsparse_direction_NS_24const_host_device_scalarIT0_EES1_PKS1_PKT1_SA_S7_PKT3_PKT4_S5_PT5_21rocsparse_index_base_b,"axG",@progbits,_ZN9rocsparseL20bsrxmvn_17_32_kernelILj30EdiidddEEvT2_20rocsparse_direction_NS_24const_host_device_scalarIT0_EES1_PKS1_PKT1_SA_S7_PKT3_PKT4_S5_PT5_21rocsparse_index_base_b,comdat
	.globl	_ZN9rocsparseL20bsrxmvn_17_32_kernelILj30EdiidddEEvT2_20rocsparse_direction_NS_24const_host_device_scalarIT0_EES1_PKS1_PKT1_SA_S7_PKT3_PKT4_S5_PT5_21rocsparse_index_base_b ; -- Begin function _ZN9rocsparseL20bsrxmvn_17_32_kernelILj30EdiidddEEvT2_20rocsparse_direction_NS_24const_host_device_scalarIT0_EES1_PKS1_PKT1_SA_S7_PKT3_PKT4_S5_PT5_21rocsparse_index_base_b
	.p2align	8
	.type	_ZN9rocsparseL20bsrxmvn_17_32_kernelILj30EdiidddEEvT2_20rocsparse_direction_NS_24const_host_device_scalarIT0_EES1_PKS1_PKT1_SA_S7_PKT3_PKT4_S5_PT5_21rocsparse_index_base_b,@function
_ZN9rocsparseL20bsrxmvn_17_32_kernelILj30EdiidddEEvT2_20rocsparse_direction_NS_24const_host_device_scalarIT0_EES1_PKS1_PKT1_SA_S7_PKT3_PKT4_S5_PT5_21rocsparse_index_base_b: ; @_ZN9rocsparseL20bsrxmvn_17_32_kernelILj30EdiidddEEvT2_20rocsparse_direction_NS_24const_host_device_scalarIT0_EES1_PKS1_PKT1_SA_S7_PKT3_PKT4_S5_PT5_21rocsparse_index_base_b
; %bb.0:
	s_clause 0x2
	s_load_b64 s[10:11], s[0:1], 0x58
	s_load_b64 s[4:5], s[0:1], 0x8
	;; [unrolled: 1-line block ×3, first 2 shown]
	s_mov_b32 s8, s15
	s_waitcnt lgkmcnt(0)
	s_bitcmp1_b32 s11, 0
	v_dual_mov_b32 v3, s4 :: v_dual_mov_b32 v4, s5
	s_cselect_b32 s6, -1, 0
	s_delay_alu instid0(SALU_CYCLE_1)
	s_and_b32 vcc_lo, exec_lo, s6
	s_xor_b32 s6, s6, -1
	s_cbranch_vccnz .LBB29_2
; %bb.1:
	v_dual_mov_b32 v1, s4 :: v_dual_mov_b32 v2, s5
	flat_load_b64 v[3:4], v[1:2]
.LBB29_2:
	v_dual_mov_b32 v1, s2 :: v_dual_mov_b32 v2, s3
	s_and_not1_b32 vcc_lo, exec_lo, s6
	s_cbranch_vccnz .LBB29_4
; %bb.3:
	v_dual_mov_b32 v1, s2 :: v_dual_mov_b32 v2, s3
	flat_load_b64 v[1:2], v[1:2]
.LBB29_4:
	s_waitcnt vmcnt(0) lgkmcnt(0)
	v_cmp_neq_f64_e32 vcc_lo, 0, v[3:4]
	v_cmp_neq_f64_e64 s2, 1.0, v[1:2]
	s_delay_alu instid0(VALU_DEP_1) | instskip(NEXT) | instid1(SALU_CYCLE_1)
	s_or_b32 s2, vcc_lo, s2
	s_and_saveexec_b32 s3, s2
	s_cbranch_execz .LBB29_38
; %bb.5:
	s_clause 0x1
	s_load_b128 s[4:7], s[0:1], 0x18
	s_load_b64 s[2:3], s[0:1], 0x28
	s_waitcnt lgkmcnt(0)
	s_cmp_eq_u64 s[4:5], 0
	s_cbranch_scc1 .LBB29_7
; %bb.6:
	s_ashr_i32 s9, s8, 31
	s_delay_alu instid0(SALU_CYCLE_1) | instskip(NEXT) | instid1(SALU_CYCLE_1)
	s_lshl_b64 s[8:9], s[8:9], 2
	s_add_u32 s4, s4, s8
	s_addc_u32 s5, s5, s9
	s_load_b32 s4, s[4:5], 0x0
	s_waitcnt lgkmcnt(0)
	s_sub_i32 s8, s4, s10
.LBB29_7:
	s_load_b32 s4, s[0:1], 0x4
	v_mul_u32_u24_e32 v5, 0x889, v0
	v_lshlrev_b32_e32 v12, 3, v0
	s_delay_alu instid0(VALU_DEP_2) | instskip(NEXT) | instid1(VALU_DEP_1)
	v_lshrrev_b32_e32 v7, 16, v5
	v_mul_lo_u16 v5, v7, 30
	s_delay_alu instid0(VALU_DEP_1)
	v_sub_nc_u16 v13, v0, v5
	v_mov_b32_e32 v5, 0
	v_mov_b32_e32 v6, 0
	s_waitcnt lgkmcnt(0)
	s_cmp_eq_u32 s4, 1
	s_cselect_b32 vcc_lo, -1, 0
	s_cmp_lg_u32 s4, 1
	s_cselect_b32 s11, -1, 0
	s_ashr_i32 s9, s8, 31
	s_delay_alu instid0(SALU_CYCLE_1) | instskip(NEXT) | instid1(SALU_CYCLE_1)
	s_lshl_b64 s[4:5], s[8:9], 2
	s_add_u32 s6, s6, s4
	s_addc_u32 s7, s7, s5
	s_add_u32 s9, s6, 4
	s_addc_u32 s12, s7, 0
	;; [unrolled: 2-line block ×3, first 2 shown]
	s_cmp_eq_u64 s[2:3], 0
	s_cselect_b32 s3, s12, s5
	s_cselect_b32 s2, s9, s4
	s_load_b32 s9, s[6:7], 0x0
	s_load_b32 s14, s[2:3], 0x0
	s_load_b64 s[2:3], s[0:1], 0x50
	s_waitcnt lgkmcnt(0)
	s_cmp_ge_i32 s9, s14
	s_cbranch_scc1 .LBB29_12
; %bb.8:
	s_clause 0x1
	s_load_b128 s[4:7], s[0:1], 0x30
	s_load_b64 s[12:13], s[0:1], 0x40
	v_and_b32_e32 v5, 0xffff, v7
	v_cmp_gt_u32_e64 s0, 0x384, v0
	v_and_b32_e32 v7, 0xffff, v13
	s_sub_i32 s9, s9, s10
	v_lshlrev_b32_e32 v9, 3, v0
	v_subrev_nc_u32_e32 v6, 30, v5
	s_sub_i32 s1, s14, s10
	s_mul_i32 s14, s9, 0x1c20
	s_delay_alu instid0(VALU_DEP_1) | instskip(SKIP_3) | instid1(VALU_DEP_3)
	v_cndmask_b32_e64 v8, v6, v5, s0
	v_mov_b32_e32 v5, 0
	v_mov_b32_e32 v6, 0
	s_mul_hi_i32 s0, s9, 0x1c20
	v_cndmask_b32_e32 v7, v7, v8, vcc_lo
	v_cmp_lt_u32_e32 vcc_lo, 0x383, v0
	s_waitcnt lgkmcnt(0)
	s_add_u32 s6, s6, s14
	s_addc_u32 s0, s7, s0
	v_add_co_u32 v8, s6, s6, v9
	s_delay_alu instid0(VALU_DEP_1)
	v_add_co_ci_u32_e64 v9, null, s0, 0, s6
	v_cndmask_b32_e64 v14, 0, 1, vcc_lo
	s_set_inst_prefetch_distance 0x1
	s_branch .LBB29_10
	.p2align	6
.LBB29_9:                               ;   in Loop: Header=BB29_10 Depth=1
	s_or_b32 exec_lo, exec_lo, s0
	s_add_i32 s9, s9, 1
	s_delay_alu instid0(SALU_CYCLE_1)
	s_cmp_lt_i32 s9, s1
	s_cbranch_scc0 .LBB29_12
.LBB29_10:                              ; =>This Inner Loop Header: Depth=1
	s_delay_alu instid0(VALU_DEP_1) | instskip(SKIP_1) | instid1(VALU_DEP_1)
	v_add_nc_u32_e32 v10, s9, v14
	s_mov_b32 s0, exec_lo
	v_cmpx_gt_i32_e64 s1, v10
	s_cbranch_execz .LBB29_9
; %bb.11:                               ;   in Loop: Header=BB29_10 Depth=1
	v_ashrrev_i32_e32 v11, 31, v10
	s_delay_alu instid0(VALU_DEP_1) | instskip(NEXT) | instid1(VALU_DEP_1)
	v_lshlrev_b64 v[10:11], 2, v[10:11]
	v_add_co_u32 v10, vcc_lo, s4, v10
	s_delay_alu instid0(VALU_DEP_2) | instskip(SKIP_3) | instid1(VALU_DEP_1)
	v_add_co_ci_u32_e32 v11, vcc_lo, s5, v11, vcc_lo
	global_load_b32 v10, v[10:11], off
	s_waitcnt vmcnt(0)
	v_subrev_nc_u32_e32 v15, s10, v10
	v_mad_u64_u32 v[10:11], null, v15, 30, v[7:8]
	s_delay_alu instid0(VALU_DEP_1) | instskip(NEXT) | instid1(VALU_DEP_1)
	v_ashrrev_i32_e32 v11, 31, v10
	v_lshlrev_b64 v[10:11], 3, v[10:11]
	s_delay_alu instid0(VALU_DEP_1) | instskip(NEXT) | instid1(VALU_DEP_2)
	v_add_co_u32 v10, vcc_lo, s12, v10
	v_add_co_ci_u32_e32 v11, vcc_lo, s13, v11, vcc_lo
	global_load_b64 v[15:16], v[8:9], off
	global_load_b64 v[10:11], v[10:11], off
	v_add_co_u32 v8, vcc_lo, 0x1c20, v8
	v_add_co_ci_u32_e32 v9, vcc_lo, 0, v9, vcc_lo
	s_waitcnt vmcnt(0)
	v_fma_f64 v[5:6], v[15:16], v[10:11], v[5:6]
	s_branch .LBB29_9
.LBB29_12:
	s_set_inst_prefetch_distance 0x2
	s_and_b32 vcc_lo, exec_lo, s11
	ds_store_b64 v12, v[5:6]
	s_waitcnt lgkmcnt(0)
	s_barrier
	buffer_gl0_inv
	s_cbranch_vccz .LBB29_24
; %bb.13:
	s_mov_b32 s0, exec_lo
	v_cmpx_gt_u16_e32 14, v13
	s_cbranch_execz .LBB29_15
; %bb.14:
	ds_load_2addr_b64 v[7:10], v12 offset1:16
	s_waitcnt lgkmcnt(0)
	v_add_f64 v[7:8], v[9:10], v[7:8]
	ds_store_b64 v12, v[7:8]
.LBB29_15:
	s_or_b32 exec_lo, exec_lo, s0
	s_delay_alu instid0(SALU_CYCLE_1)
	s_mov_b32 s0, exec_lo
	s_waitcnt lgkmcnt(0)
	s_barrier
	buffer_gl0_inv
	v_cmpx_gt_u16_e32 8, v13
	s_cbranch_execz .LBB29_17
; %bb.16:
	ds_load_2addr_b64 v[7:10], v12 offset1:8
	s_waitcnt lgkmcnt(0)
	v_add_f64 v[7:8], v[9:10], v[7:8]
	ds_store_b64 v12, v[7:8]
.LBB29_17:
	s_or_b32 exec_lo, exec_lo, s0
	s_delay_alu instid0(SALU_CYCLE_1)
	s_mov_b32 s0, exec_lo
	s_waitcnt lgkmcnt(0)
	s_barrier
	buffer_gl0_inv
	;; [unrolled: 14-line block ×3, first 2 shown]
	v_cmpx_gt_u16_e32 2, v13
	s_cbranch_execz .LBB29_21
; %bb.20:
	ds_load_2addr_b64 v[7:10], v12 offset1:2
	s_waitcnt lgkmcnt(0)
	v_add_f64 v[7:8], v[9:10], v[7:8]
	ds_store_b64 v12, v[7:8]
.LBB29_21:
	s_or_b32 exec_lo, exec_lo, s0
	s_mov_b32 s1, 0
	s_mov_b32 s0, 0
	s_mov_b32 s4, exec_lo
	s_waitcnt lgkmcnt(0)
	s_barrier
	buffer_gl0_inv
                                        ; implicit-def: $vgpr7
                                        ; implicit-def: $vgpr8
	v_cmpx_gt_u32_e32 30, v0
	s_xor_b32 s4, exec_lo, s4
; %bb.22:
	v_mul_u32_u24_e32 v7, 30, v0
	v_mad_u32_u24 v8, 0xe8, v0, v12
	s_mov_b32 s0, exec_lo
	s_delay_alu instid0(VALU_DEP_2)
	v_or_b32_e32 v7, 1, v7
; %bb.23:
	s_or_b32 exec_lo, exec_lo, s4
	s_delay_alu instid0(SALU_CYCLE_1)
	s_and_b32 vcc_lo, exec_lo, s1
	s_cbranch_vccnz .LBB29_25
	s_branch .LBB29_36
.LBB29_24:
	s_mov_b32 s0, 0
                                        ; implicit-def: $vgpr7
                                        ; implicit-def: $vgpr8
	s_cbranch_execz .LBB29_36
.LBB29_25:
	s_mov_b32 s1, exec_lo
	v_cmpx_gt_u32_e32 0x1a4, v0
	s_cbranch_execz .LBB29_27
; %bb.26:
	ds_load_b64 v[7:8], v12 offset:3840
	ds_load_b64 v[9:10], v12
	s_waitcnt lgkmcnt(0)
	v_add_f64 v[7:8], v[7:8], v[9:10]
	ds_store_b64 v12, v[7:8]
.LBB29_27:
	s_or_b32 exec_lo, exec_lo, s1
	s_delay_alu instid0(SALU_CYCLE_1)
	s_mov_b32 s1, exec_lo
	s_waitcnt lgkmcnt(0)
	s_barrier
	buffer_gl0_inv
	v_cmpx_gt_u32_e32 0xf0, v0
	s_cbranch_execz .LBB29_29
; %bb.28:
	ds_load_2addr_b64 v[7:10], v12 offset1:240
	s_waitcnt lgkmcnt(0)
	v_add_f64 v[7:8], v[9:10], v[7:8]
	ds_store_b64 v12, v[7:8]
.LBB29_29:
	s_or_b32 exec_lo, exec_lo, s1
	s_delay_alu instid0(SALU_CYCLE_1)
	s_mov_b32 s1, exec_lo
	s_waitcnt lgkmcnt(0)
	s_barrier
	buffer_gl0_inv
	v_cmpx_gt_u32_e32 0x78, v0
	s_cbranch_execz .LBB29_31
; %bb.30:
	ds_load_2addr_b64 v[7:10], v12 offset1:120
	s_waitcnt lgkmcnt(0)
	v_add_f64 v[7:8], v[9:10], v[7:8]
	ds_store_b64 v12, v[7:8]
.LBB29_31:
	;; [unrolled: 14-line block ×3, first 2 shown]
	s_or_b32 exec_lo, exec_lo, s1
	s_delay_alu instid0(SALU_CYCLE_1)
	s_mov_b32 s1, exec_lo
	s_waitcnt lgkmcnt(0)
	buffer_gl0_inv
                                        ; implicit-def: $vgpr7
	v_cmpx_gt_u32_e32 30, v0
; %bb.34:
	v_add_nc_u32_e32 v7, 30, v0
	s_or_b32 s0, s0, exec_lo
                                        ; implicit-def: $vgpr5_vgpr6
; %bb.35:
	s_or_b32 exec_lo, exec_lo, s1
	v_mov_b32_e32 v8, v12
.LBB29_36:
	s_and_saveexec_b32 s1, s0
	s_cbranch_execnz .LBB29_39
; %bb.37:
	s_or_b32 exec_lo, exec_lo, s1
	v_cmp_gt_u32_e32 vcc_lo, 30, v0
	s_and_b32 exec_lo, exec_lo, vcc_lo
	s_cbranch_execnz .LBB29_40
.LBB29_38:
	s_nop 0
	s_sendmsg sendmsg(MSG_DEALLOC_VGPRS)
	s_endpgm
.LBB29_39:
	v_lshlrev_b32_e32 v7, 3, v7
	ds_load_b64 v[5:6], v8
	ds_load_b64 v[7:8], v7
	s_waitcnt lgkmcnt(0)
	v_add_f64 v[5:6], v[5:6], v[7:8]
	s_or_b32 exec_lo, exec_lo, s1
	v_cmp_gt_u32_e32 vcc_lo, 30, v0
	s_and_b32 exec_lo, exec_lo, vcc_lo
	s_cbranch_execz .LBB29_38
.LBB29_40:
	s_delay_alu instid0(VALU_DEP_2)
	v_mul_f64 v[3:4], v[3:4], v[5:6]
	s_mov_b32 s0, exec_lo
	v_cmpx_eq_f64_e32 0, v[1:2]
	s_xor_b32 s0, exec_lo, s0
	s_cbranch_execz .LBB29_42
; %bb.41:
	v_mad_u64_u32 v[1:2], null, s8, 30, v[0:1]
	v_mov_b32_e32 v2, 0
	s_delay_alu instid0(VALU_DEP_1) | instskip(NEXT) | instid1(VALU_DEP_1)
	v_lshlrev_b64 v[0:1], 3, v[1:2]
	v_add_co_u32 v0, vcc_lo, s2, v0
	s_delay_alu instid0(VALU_DEP_2)
	v_add_co_ci_u32_e32 v1, vcc_lo, s3, v1, vcc_lo
	global_store_b64 v[0:1], v[3:4], off
                                        ; implicit-def: $vgpr0
                                        ; implicit-def: $vgpr1_vgpr2
                                        ; implicit-def: $vgpr3_vgpr4
.LBB29_42:
	s_and_not1_saveexec_b32 s0, s0
	s_cbranch_execz .LBB29_38
; %bb.43:
	v_mad_u64_u32 v[5:6], null, s8, 30, v[0:1]
	v_mov_b32_e32 v6, 0
	s_delay_alu instid0(VALU_DEP_1) | instskip(NEXT) | instid1(VALU_DEP_1)
	v_lshlrev_b64 v[5:6], 3, v[5:6]
	v_add_co_u32 v5, vcc_lo, s2, v5
	s_delay_alu instid0(VALU_DEP_2)
	v_add_co_ci_u32_e32 v6, vcc_lo, s3, v6, vcc_lo
	global_load_b64 v[7:8], v[5:6], off
	s_waitcnt vmcnt(0)
	v_fma_f64 v[0:1], v[1:2], v[7:8], v[3:4]
	global_store_b64 v[5:6], v[0:1], off
	s_nop 0
	s_sendmsg sendmsg(MSG_DEALLOC_VGPRS)
	s_endpgm
	.section	.rodata,"a",@progbits
	.p2align	6, 0x0
	.amdhsa_kernel _ZN9rocsparseL20bsrxmvn_17_32_kernelILj30EdiidddEEvT2_20rocsparse_direction_NS_24const_host_device_scalarIT0_EES1_PKS1_PKT1_SA_S7_PKT3_PKT4_S5_PT5_21rocsparse_index_base_b
		.amdhsa_group_segment_fixed_size 7200
		.amdhsa_private_segment_fixed_size 0
		.amdhsa_kernarg_size 96
		.amdhsa_user_sgpr_count 15
		.amdhsa_user_sgpr_dispatch_ptr 0
		.amdhsa_user_sgpr_queue_ptr 0
		.amdhsa_user_sgpr_kernarg_segment_ptr 1
		.amdhsa_user_sgpr_dispatch_id 0
		.amdhsa_user_sgpr_private_segment_size 0
		.amdhsa_wavefront_size32 1
		.amdhsa_uses_dynamic_stack 0
		.amdhsa_enable_private_segment 0
		.amdhsa_system_sgpr_workgroup_id_x 1
		.amdhsa_system_sgpr_workgroup_id_y 0
		.amdhsa_system_sgpr_workgroup_id_z 0
		.amdhsa_system_sgpr_workgroup_info 0
		.amdhsa_system_vgpr_workitem_id 0
		.amdhsa_next_free_vgpr 17
		.amdhsa_next_free_sgpr 16
		.amdhsa_reserve_vcc 1
		.amdhsa_float_round_mode_32 0
		.amdhsa_float_round_mode_16_64 0
		.amdhsa_float_denorm_mode_32 3
		.amdhsa_float_denorm_mode_16_64 3
		.amdhsa_dx10_clamp 1
		.amdhsa_ieee_mode 1
		.amdhsa_fp16_overflow 0
		.amdhsa_workgroup_processor_mode 1
		.amdhsa_memory_ordered 1
		.amdhsa_forward_progress 0
		.amdhsa_shared_vgpr_count 0
		.amdhsa_exception_fp_ieee_invalid_op 0
		.amdhsa_exception_fp_denorm_src 0
		.amdhsa_exception_fp_ieee_div_zero 0
		.amdhsa_exception_fp_ieee_overflow 0
		.amdhsa_exception_fp_ieee_underflow 0
		.amdhsa_exception_fp_ieee_inexact 0
		.amdhsa_exception_int_div_zero 0
	.end_amdhsa_kernel
	.section	.text._ZN9rocsparseL20bsrxmvn_17_32_kernelILj30EdiidddEEvT2_20rocsparse_direction_NS_24const_host_device_scalarIT0_EES1_PKS1_PKT1_SA_S7_PKT3_PKT4_S5_PT5_21rocsparse_index_base_b,"axG",@progbits,_ZN9rocsparseL20bsrxmvn_17_32_kernelILj30EdiidddEEvT2_20rocsparse_direction_NS_24const_host_device_scalarIT0_EES1_PKS1_PKT1_SA_S7_PKT3_PKT4_S5_PT5_21rocsparse_index_base_b,comdat
.Lfunc_end29:
	.size	_ZN9rocsparseL20bsrxmvn_17_32_kernelILj30EdiidddEEvT2_20rocsparse_direction_NS_24const_host_device_scalarIT0_EES1_PKS1_PKT1_SA_S7_PKT3_PKT4_S5_PT5_21rocsparse_index_base_b, .Lfunc_end29-_ZN9rocsparseL20bsrxmvn_17_32_kernelILj30EdiidddEEvT2_20rocsparse_direction_NS_24const_host_device_scalarIT0_EES1_PKS1_PKT1_SA_S7_PKT3_PKT4_S5_PT5_21rocsparse_index_base_b
                                        ; -- End function
	.section	.AMDGPU.csdata,"",@progbits
; Kernel info:
; codeLenInByte = 1624
; NumSgprs: 18
; NumVgprs: 17
; ScratchSize: 0
; MemoryBound: 0
; FloatMode: 240
; IeeeMode: 1
; LDSByteSize: 7200 bytes/workgroup (compile time only)
; SGPRBlocks: 2
; VGPRBlocks: 2
; NumSGPRsForWavesPerEU: 18
; NumVGPRsForWavesPerEU: 17
; Occupancy: 15
; WaveLimiterHint : 1
; COMPUTE_PGM_RSRC2:SCRATCH_EN: 0
; COMPUTE_PGM_RSRC2:USER_SGPR: 15
; COMPUTE_PGM_RSRC2:TRAP_HANDLER: 0
; COMPUTE_PGM_RSRC2:TGID_X_EN: 1
; COMPUTE_PGM_RSRC2:TGID_Y_EN: 0
; COMPUTE_PGM_RSRC2:TGID_Z_EN: 0
; COMPUTE_PGM_RSRC2:TIDIG_COMP_CNT: 0
	.section	.text._ZN9rocsparseL20bsrxmvn_17_32_kernelILj31EdiidddEEvT2_20rocsparse_direction_NS_24const_host_device_scalarIT0_EES1_PKS1_PKT1_SA_S7_PKT3_PKT4_S5_PT5_21rocsparse_index_base_b,"axG",@progbits,_ZN9rocsparseL20bsrxmvn_17_32_kernelILj31EdiidddEEvT2_20rocsparse_direction_NS_24const_host_device_scalarIT0_EES1_PKS1_PKT1_SA_S7_PKT3_PKT4_S5_PT5_21rocsparse_index_base_b,comdat
	.globl	_ZN9rocsparseL20bsrxmvn_17_32_kernelILj31EdiidddEEvT2_20rocsparse_direction_NS_24const_host_device_scalarIT0_EES1_PKS1_PKT1_SA_S7_PKT3_PKT4_S5_PT5_21rocsparse_index_base_b ; -- Begin function _ZN9rocsparseL20bsrxmvn_17_32_kernelILj31EdiidddEEvT2_20rocsparse_direction_NS_24const_host_device_scalarIT0_EES1_PKS1_PKT1_SA_S7_PKT3_PKT4_S5_PT5_21rocsparse_index_base_b
	.p2align	8
	.type	_ZN9rocsparseL20bsrxmvn_17_32_kernelILj31EdiidddEEvT2_20rocsparse_direction_NS_24const_host_device_scalarIT0_EES1_PKS1_PKT1_SA_S7_PKT3_PKT4_S5_PT5_21rocsparse_index_base_b,@function
_ZN9rocsparseL20bsrxmvn_17_32_kernelILj31EdiidddEEvT2_20rocsparse_direction_NS_24const_host_device_scalarIT0_EES1_PKS1_PKT1_SA_S7_PKT3_PKT4_S5_PT5_21rocsparse_index_base_b: ; @_ZN9rocsparseL20bsrxmvn_17_32_kernelILj31EdiidddEEvT2_20rocsparse_direction_NS_24const_host_device_scalarIT0_EES1_PKS1_PKT1_SA_S7_PKT3_PKT4_S5_PT5_21rocsparse_index_base_b
; %bb.0:
	s_clause 0x2
	s_load_b64 s[10:11], s[0:1], 0x58
	s_load_b64 s[4:5], s[0:1], 0x8
	;; [unrolled: 1-line block ×3, first 2 shown]
	s_mov_b32 s8, s15
	s_waitcnt lgkmcnt(0)
	s_bitcmp1_b32 s11, 0
	v_dual_mov_b32 v3, s4 :: v_dual_mov_b32 v4, s5
	s_cselect_b32 s6, -1, 0
	s_delay_alu instid0(SALU_CYCLE_1)
	s_and_b32 vcc_lo, exec_lo, s6
	s_xor_b32 s6, s6, -1
	s_cbranch_vccnz .LBB30_2
; %bb.1:
	v_dual_mov_b32 v1, s4 :: v_dual_mov_b32 v2, s5
	flat_load_b64 v[3:4], v[1:2]
.LBB30_2:
	v_dual_mov_b32 v1, s2 :: v_dual_mov_b32 v2, s3
	s_and_not1_b32 vcc_lo, exec_lo, s6
	s_cbranch_vccnz .LBB30_4
; %bb.3:
	v_dual_mov_b32 v1, s2 :: v_dual_mov_b32 v2, s3
	flat_load_b64 v[1:2], v[1:2]
.LBB30_4:
	s_waitcnt vmcnt(0) lgkmcnt(0)
	v_cmp_neq_f64_e32 vcc_lo, 0, v[3:4]
	v_cmp_neq_f64_e64 s2, 1.0, v[1:2]
	s_delay_alu instid0(VALU_DEP_1) | instskip(NEXT) | instid1(SALU_CYCLE_1)
	s_or_b32 s2, vcc_lo, s2
	s_and_saveexec_b32 s3, s2
	s_cbranch_execz .LBB30_38
; %bb.5:
	s_clause 0x1
	s_load_b128 s[4:7], s[0:1], 0x18
	s_load_b64 s[2:3], s[0:1], 0x28
	s_waitcnt lgkmcnt(0)
	s_cmp_eq_u64 s[4:5], 0
	s_cbranch_scc1 .LBB30_7
; %bb.6:
	s_ashr_i32 s9, s8, 31
	s_delay_alu instid0(SALU_CYCLE_1) | instskip(NEXT) | instid1(SALU_CYCLE_1)
	s_lshl_b64 s[8:9], s[8:9], 2
	s_add_u32 s4, s4, s8
	s_addc_u32 s5, s5, s9
	s_load_b32 s4, s[4:5], 0x0
	s_waitcnt lgkmcnt(0)
	s_sub_i32 s8, s4, s10
.LBB30_7:
	s_load_b32 s4, s[0:1], 0x4
	v_mul_u32_u24_e32 v5, 0x843, v0
	v_lshlrev_b32_e32 v12, 3, v0
	s_delay_alu instid0(VALU_DEP_2) | instskip(NEXT) | instid1(VALU_DEP_1)
	v_lshrrev_b32_e32 v7, 16, v5
	v_mul_lo_u16 v5, v7, 31
	s_delay_alu instid0(VALU_DEP_1)
	v_sub_nc_u16 v13, v0, v5
	v_mov_b32_e32 v5, 0
	v_mov_b32_e32 v6, 0
	s_waitcnt lgkmcnt(0)
	s_cmp_eq_u32 s4, 1
	s_cselect_b32 vcc_lo, -1, 0
	s_cmp_lg_u32 s4, 1
	s_cselect_b32 s11, -1, 0
	s_ashr_i32 s9, s8, 31
	s_delay_alu instid0(SALU_CYCLE_1) | instskip(NEXT) | instid1(SALU_CYCLE_1)
	s_lshl_b64 s[4:5], s[8:9], 2
	s_add_u32 s6, s6, s4
	s_addc_u32 s7, s7, s5
	s_add_u32 s9, s6, 4
	s_addc_u32 s12, s7, 0
	;; [unrolled: 2-line block ×3, first 2 shown]
	s_cmp_eq_u64 s[2:3], 0
	s_cselect_b32 s3, s12, s5
	s_cselect_b32 s2, s9, s4
	s_load_b32 s9, s[6:7], 0x0
	s_load_b32 s14, s[2:3], 0x0
	s_load_b64 s[2:3], s[0:1], 0x50
	s_waitcnt lgkmcnt(0)
	s_cmp_ge_i32 s9, s14
	s_cbranch_scc1 .LBB30_12
; %bb.8:
	s_clause 0x1
	s_load_b128 s[4:7], s[0:1], 0x30
	s_load_b64 s[12:13], s[0:1], 0x40
	v_and_b32_e32 v5, 0xffff, v7
	v_cmp_gt_u32_e64 s0, 0x3c1, v0
	v_and_b32_e32 v7, 0xffff, v13
	s_sub_i32 s9, s9, s10
	v_lshlrev_b32_e32 v9, 3, v0
	v_subrev_nc_u32_e32 v6, 31, v5
	s_sub_i32 s1, s14, s10
	s_mul_i32 s14, s9, 0x1e08
	s_delay_alu instid0(VALU_DEP_1) | instskip(SKIP_3) | instid1(VALU_DEP_3)
	v_cndmask_b32_e64 v8, v6, v5, s0
	v_mov_b32_e32 v5, 0
	v_mov_b32_e32 v6, 0
	s_mul_hi_i32 s0, s9, 0x1e08
	v_cndmask_b32_e32 v7, v7, v8, vcc_lo
	v_cmp_lt_u32_e32 vcc_lo, 0x3c0, v0
	s_waitcnt lgkmcnt(0)
	s_add_u32 s6, s6, s14
	s_addc_u32 s0, s7, s0
	v_add_co_u32 v8, s6, s6, v9
	s_delay_alu instid0(VALU_DEP_1)
	v_add_co_ci_u32_e64 v9, null, s0, 0, s6
	v_cndmask_b32_e64 v14, 0, 1, vcc_lo
	s_set_inst_prefetch_distance 0x1
	s_branch .LBB30_10
	.p2align	6
.LBB30_9:                               ;   in Loop: Header=BB30_10 Depth=1
	s_or_b32 exec_lo, exec_lo, s0
	s_add_i32 s9, s9, 1
	s_delay_alu instid0(SALU_CYCLE_1)
	s_cmp_lt_i32 s9, s1
	s_cbranch_scc0 .LBB30_12
.LBB30_10:                              ; =>This Inner Loop Header: Depth=1
	s_delay_alu instid0(VALU_DEP_1) | instskip(SKIP_1) | instid1(VALU_DEP_1)
	v_add_nc_u32_e32 v10, s9, v14
	s_mov_b32 s0, exec_lo
	v_cmpx_gt_i32_e64 s1, v10
	s_cbranch_execz .LBB30_9
; %bb.11:                               ;   in Loop: Header=BB30_10 Depth=1
	v_ashrrev_i32_e32 v11, 31, v10
	s_delay_alu instid0(VALU_DEP_1) | instskip(NEXT) | instid1(VALU_DEP_1)
	v_lshlrev_b64 v[10:11], 2, v[10:11]
	v_add_co_u32 v10, vcc_lo, s4, v10
	s_delay_alu instid0(VALU_DEP_2) | instskip(SKIP_3) | instid1(VALU_DEP_1)
	v_add_co_ci_u32_e32 v11, vcc_lo, s5, v11, vcc_lo
	global_load_b32 v10, v[10:11], off
	s_waitcnt vmcnt(0)
	v_subrev_nc_u32_e32 v15, s10, v10
	v_mad_u64_u32 v[10:11], null, v15, 31, v[7:8]
	s_delay_alu instid0(VALU_DEP_1) | instskip(NEXT) | instid1(VALU_DEP_1)
	v_ashrrev_i32_e32 v11, 31, v10
	v_lshlrev_b64 v[10:11], 3, v[10:11]
	s_delay_alu instid0(VALU_DEP_1) | instskip(NEXT) | instid1(VALU_DEP_2)
	v_add_co_u32 v10, vcc_lo, s12, v10
	v_add_co_ci_u32_e32 v11, vcc_lo, s13, v11, vcc_lo
	global_load_b64 v[15:16], v[8:9], off
	global_load_b64 v[10:11], v[10:11], off
	v_add_co_u32 v8, vcc_lo, 0x1e08, v8
	v_add_co_ci_u32_e32 v9, vcc_lo, 0, v9, vcc_lo
	s_waitcnt vmcnt(0)
	v_fma_f64 v[5:6], v[15:16], v[10:11], v[5:6]
	s_branch .LBB30_9
.LBB30_12:
	s_set_inst_prefetch_distance 0x2
	s_and_b32 vcc_lo, exec_lo, s11
	ds_store_b64 v12, v[5:6]
	s_waitcnt lgkmcnt(0)
	s_barrier
	buffer_gl0_inv
	s_cbranch_vccz .LBB30_24
; %bb.13:
	s_mov_b32 s0, exec_lo
	v_cmpx_gt_u16_e32 15, v13
	s_cbranch_execz .LBB30_15
; %bb.14:
	ds_load_2addr_b64 v[7:10], v12 offset1:16
	s_waitcnt lgkmcnt(0)
	v_add_f64 v[7:8], v[9:10], v[7:8]
	ds_store_b64 v12, v[7:8]
.LBB30_15:
	s_or_b32 exec_lo, exec_lo, s0
	s_delay_alu instid0(SALU_CYCLE_1)
	s_mov_b32 s0, exec_lo
	s_waitcnt lgkmcnt(0)
	s_barrier
	buffer_gl0_inv
	v_cmpx_gt_u16_e32 8, v13
	s_cbranch_execz .LBB30_17
; %bb.16:
	ds_load_2addr_b64 v[7:10], v12 offset1:8
	s_waitcnt lgkmcnt(0)
	v_add_f64 v[7:8], v[9:10], v[7:8]
	ds_store_b64 v12, v[7:8]
.LBB30_17:
	s_or_b32 exec_lo, exec_lo, s0
	s_delay_alu instid0(SALU_CYCLE_1)
	s_mov_b32 s0, exec_lo
	s_waitcnt lgkmcnt(0)
	s_barrier
	buffer_gl0_inv
	;; [unrolled: 14-line block ×3, first 2 shown]
	v_cmpx_gt_u16_e32 2, v13
	s_cbranch_execz .LBB30_21
; %bb.20:
	ds_load_2addr_b64 v[7:10], v12 offset1:2
	s_waitcnt lgkmcnt(0)
	v_add_f64 v[7:8], v[9:10], v[7:8]
	ds_store_b64 v12, v[7:8]
.LBB30_21:
	s_or_b32 exec_lo, exec_lo, s0
	s_mov_b32 s1, 0
	s_mov_b32 s0, 0
	s_mov_b32 s4, exec_lo
	s_waitcnt lgkmcnt(0)
	s_barrier
	buffer_gl0_inv
                                        ; implicit-def: $vgpr7
                                        ; implicit-def: $vgpr8
	v_cmpx_gt_u32_e32 31, v0
	s_xor_b32 s4, exec_lo, s4
; %bb.22:
	v_mad_u32_u24 v7, v0, 31, 1
	v_mad_u32_u24 v8, 0xf0, v0, v12
	s_mov_b32 s0, exec_lo
; %bb.23:
	s_or_b32 exec_lo, exec_lo, s4
	s_delay_alu instid0(SALU_CYCLE_1)
	s_and_b32 vcc_lo, exec_lo, s1
	s_cbranch_vccnz .LBB30_25
	s_branch .LBB30_36
.LBB30_24:
	s_mov_b32 s0, 0
                                        ; implicit-def: $vgpr7
                                        ; implicit-def: $vgpr8
	s_cbranch_execz .LBB30_36
.LBB30_25:
	s_mov_b32 s1, exec_lo
	v_cmpx_gt_u32_e32 0x1d1, v0
	s_cbranch_execz .LBB30_27
; %bb.26:
	ds_load_b64 v[7:8], v12 offset:3968
	ds_load_b64 v[9:10], v12
	s_waitcnt lgkmcnt(0)
	v_add_f64 v[7:8], v[7:8], v[9:10]
	ds_store_b64 v12, v[7:8]
.LBB30_27:
	s_or_b32 exec_lo, exec_lo, s1
	s_delay_alu instid0(SALU_CYCLE_1)
	s_mov_b32 s1, exec_lo
	s_waitcnt lgkmcnt(0)
	s_barrier
	buffer_gl0_inv
	v_cmpx_gt_u32_e32 0xf8, v0
	s_cbranch_execz .LBB30_29
; %bb.28:
	ds_load_2addr_b64 v[7:10], v12 offset1:248
	s_waitcnt lgkmcnt(0)
	v_add_f64 v[7:8], v[9:10], v[7:8]
	ds_store_b64 v12, v[7:8]
.LBB30_29:
	s_or_b32 exec_lo, exec_lo, s1
	s_delay_alu instid0(SALU_CYCLE_1)
	s_mov_b32 s1, exec_lo
	s_waitcnt lgkmcnt(0)
	s_barrier
	buffer_gl0_inv
	v_cmpx_gt_u32_e32 0x7c, v0
	s_cbranch_execz .LBB30_31
; %bb.30:
	ds_load_2addr_b64 v[7:10], v12 offset1:124
	s_waitcnt lgkmcnt(0)
	v_add_f64 v[7:8], v[9:10], v[7:8]
	ds_store_b64 v12, v[7:8]
.LBB30_31:
	;; [unrolled: 14-line block ×3, first 2 shown]
	s_or_b32 exec_lo, exec_lo, s1
	s_delay_alu instid0(SALU_CYCLE_1)
	s_mov_b32 s1, exec_lo
	s_waitcnt lgkmcnt(0)
	buffer_gl0_inv
                                        ; implicit-def: $vgpr7
	v_cmpx_gt_u32_e32 31, v0
; %bb.34:
	v_add_nc_u32_e32 v7, 31, v0
	s_or_b32 s0, s0, exec_lo
                                        ; implicit-def: $vgpr5_vgpr6
; %bb.35:
	s_or_b32 exec_lo, exec_lo, s1
	v_mov_b32_e32 v8, v12
.LBB30_36:
	s_and_saveexec_b32 s1, s0
	s_cbranch_execnz .LBB30_39
; %bb.37:
	s_or_b32 exec_lo, exec_lo, s1
	v_cmp_gt_u32_e32 vcc_lo, 31, v0
	s_and_b32 exec_lo, exec_lo, vcc_lo
	s_cbranch_execnz .LBB30_40
.LBB30_38:
	s_nop 0
	s_sendmsg sendmsg(MSG_DEALLOC_VGPRS)
	s_endpgm
.LBB30_39:
	v_lshlrev_b32_e32 v7, 3, v7
	ds_load_b64 v[5:6], v8
	ds_load_b64 v[7:8], v7
	s_waitcnt lgkmcnt(0)
	v_add_f64 v[5:6], v[5:6], v[7:8]
	s_or_b32 exec_lo, exec_lo, s1
	v_cmp_gt_u32_e32 vcc_lo, 31, v0
	s_and_b32 exec_lo, exec_lo, vcc_lo
	s_cbranch_execz .LBB30_38
.LBB30_40:
	s_delay_alu instid0(VALU_DEP_2)
	v_mul_f64 v[3:4], v[3:4], v[5:6]
	s_mov_b32 s0, exec_lo
	v_cmpx_eq_f64_e32 0, v[1:2]
	s_xor_b32 s0, exec_lo, s0
	s_cbranch_execz .LBB30_42
; %bb.41:
	v_mad_u64_u32 v[1:2], null, s8, 31, v[0:1]
	v_mov_b32_e32 v2, 0
	s_delay_alu instid0(VALU_DEP_1) | instskip(NEXT) | instid1(VALU_DEP_1)
	v_lshlrev_b64 v[0:1], 3, v[1:2]
	v_add_co_u32 v0, vcc_lo, s2, v0
	s_delay_alu instid0(VALU_DEP_2)
	v_add_co_ci_u32_e32 v1, vcc_lo, s3, v1, vcc_lo
	global_store_b64 v[0:1], v[3:4], off
                                        ; implicit-def: $vgpr0
                                        ; implicit-def: $vgpr1_vgpr2
                                        ; implicit-def: $vgpr3_vgpr4
.LBB30_42:
	s_and_not1_saveexec_b32 s0, s0
	s_cbranch_execz .LBB30_38
; %bb.43:
	v_mad_u64_u32 v[5:6], null, s8, 31, v[0:1]
	v_mov_b32_e32 v6, 0
	s_delay_alu instid0(VALU_DEP_1) | instskip(NEXT) | instid1(VALU_DEP_1)
	v_lshlrev_b64 v[5:6], 3, v[5:6]
	v_add_co_u32 v5, vcc_lo, s2, v5
	s_delay_alu instid0(VALU_DEP_2)
	v_add_co_ci_u32_e32 v6, vcc_lo, s3, v6, vcc_lo
	global_load_b64 v[7:8], v[5:6], off
	s_waitcnt vmcnt(0)
	v_fma_f64 v[0:1], v[1:2], v[7:8], v[3:4]
	global_store_b64 v[5:6], v[0:1], off
	s_nop 0
	s_sendmsg sendmsg(MSG_DEALLOC_VGPRS)
	s_endpgm
	.section	.rodata,"a",@progbits
	.p2align	6, 0x0
	.amdhsa_kernel _ZN9rocsparseL20bsrxmvn_17_32_kernelILj31EdiidddEEvT2_20rocsparse_direction_NS_24const_host_device_scalarIT0_EES1_PKS1_PKT1_SA_S7_PKT3_PKT4_S5_PT5_21rocsparse_index_base_b
		.amdhsa_group_segment_fixed_size 7688
		.amdhsa_private_segment_fixed_size 0
		.amdhsa_kernarg_size 96
		.amdhsa_user_sgpr_count 15
		.amdhsa_user_sgpr_dispatch_ptr 0
		.amdhsa_user_sgpr_queue_ptr 0
		.amdhsa_user_sgpr_kernarg_segment_ptr 1
		.amdhsa_user_sgpr_dispatch_id 0
		.amdhsa_user_sgpr_private_segment_size 0
		.amdhsa_wavefront_size32 1
		.amdhsa_uses_dynamic_stack 0
		.amdhsa_enable_private_segment 0
		.amdhsa_system_sgpr_workgroup_id_x 1
		.amdhsa_system_sgpr_workgroup_id_y 0
		.amdhsa_system_sgpr_workgroup_id_z 0
		.amdhsa_system_sgpr_workgroup_info 0
		.amdhsa_system_vgpr_workitem_id 0
		.amdhsa_next_free_vgpr 17
		.amdhsa_next_free_sgpr 16
		.amdhsa_reserve_vcc 1
		.amdhsa_float_round_mode_32 0
		.amdhsa_float_round_mode_16_64 0
		.amdhsa_float_denorm_mode_32 3
		.amdhsa_float_denorm_mode_16_64 3
		.amdhsa_dx10_clamp 1
		.amdhsa_ieee_mode 1
		.amdhsa_fp16_overflow 0
		.amdhsa_workgroup_processor_mode 1
		.amdhsa_memory_ordered 1
		.amdhsa_forward_progress 0
		.amdhsa_shared_vgpr_count 0
		.amdhsa_exception_fp_ieee_invalid_op 0
		.amdhsa_exception_fp_denorm_src 0
		.amdhsa_exception_fp_ieee_div_zero 0
		.amdhsa_exception_fp_ieee_overflow 0
		.amdhsa_exception_fp_ieee_underflow 0
		.amdhsa_exception_fp_ieee_inexact 0
		.amdhsa_exception_int_div_zero 0
	.end_amdhsa_kernel
	.section	.text._ZN9rocsparseL20bsrxmvn_17_32_kernelILj31EdiidddEEvT2_20rocsparse_direction_NS_24const_host_device_scalarIT0_EES1_PKS1_PKT1_SA_S7_PKT3_PKT4_S5_PT5_21rocsparse_index_base_b,"axG",@progbits,_ZN9rocsparseL20bsrxmvn_17_32_kernelILj31EdiidddEEvT2_20rocsparse_direction_NS_24const_host_device_scalarIT0_EES1_PKS1_PKT1_SA_S7_PKT3_PKT4_S5_PT5_21rocsparse_index_base_b,comdat
.Lfunc_end30:
	.size	_ZN9rocsparseL20bsrxmvn_17_32_kernelILj31EdiidddEEvT2_20rocsparse_direction_NS_24const_host_device_scalarIT0_EES1_PKS1_PKT1_SA_S7_PKT3_PKT4_S5_PT5_21rocsparse_index_base_b, .Lfunc_end30-_ZN9rocsparseL20bsrxmvn_17_32_kernelILj31EdiidddEEvT2_20rocsparse_direction_NS_24const_host_device_scalarIT0_EES1_PKS1_PKT1_SA_S7_PKT3_PKT4_S5_PT5_21rocsparse_index_base_b
                                        ; -- End function
	.section	.AMDGPU.csdata,"",@progbits
; Kernel info:
; codeLenInByte = 1620
; NumSgprs: 18
; NumVgprs: 17
; ScratchSize: 0
; MemoryBound: 0
; FloatMode: 240
; IeeeMode: 1
; LDSByteSize: 7688 bytes/workgroup (compile time only)
; SGPRBlocks: 2
; VGPRBlocks: 2
; NumSGPRsForWavesPerEU: 18
; NumVGPRsForWavesPerEU: 17
; Occupancy: 16
; WaveLimiterHint : 1
; COMPUTE_PGM_RSRC2:SCRATCH_EN: 0
; COMPUTE_PGM_RSRC2:USER_SGPR: 15
; COMPUTE_PGM_RSRC2:TRAP_HANDLER: 0
; COMPUTE_PGM_RSRC2:TGID_X_EN: 1
; COMPUTE_PGM_RSRC2:TGID_Y_EN: 0
; COMPUTE_PGM_RSRC2:TGID_Z_EN: 0
; COMPUTE_PGM_RSRC2:TIDIG_COMP_CNT: 0
	.section	.text._ZN9rocsparseL20bsrxmvn_17_32_kernelILj32EdiidddEEvT2_20rocsparse_direction_NS_24const_host_device_scalarIT0_EES1_PKS1_PKT1_SA_S7_PKT3_PKT4_S5_PT5_21rocsparse_index_base_b,"axG",@progbits,_ZN9rocsparseL20bsrxmvn_17_32_kernelILj32EdiidddEEvT2_20rocsparse_direction_NS_24const_host_device_scalarIT0_EES1_PKS1_PKT1_SA_S7_PKT3_PKT4_S5_PT5_21rocsparse_index_base_b,comdat
	.globl	_ZN9rocsparseL20bsrxmvn_17_32_kernelILj32EdiidddEEvT2_20rocsparse_direction_NS_24const_host_device_scalarIT0_EES1_PKS1_PKT1_SA_S7_PKT3_PKT4_S5_PT5_21rocsparse_index_base_b ; -- Begin function _ZN9rocsparseL20bsrxmvn_17_32_kernelILj32EdiidddEEvT2_20rocsparse_direction_NS_24const_host_device_scalarIT0_EES1_PKS1_PKT1_SA_S7_PKT3_PKT4_S5_PT5_21rocsparse_index_base_b
	.p2align	8
	.type	_ZN9rocsparseL20bsrxmvn_17_32_kernelILj32EdiidddEEvT2_20rocsparse_direction_NS_24const_host_device_scalarIT0_EES1_PKS1_PKT1_SA_S7_PKT3_PKT4_S5_PT5_21rocsparse_index_base_b,@function
_ZN9rocsparseL20bsrxmvn_17_32_kernelILj32EdiidddEEvT2_20rocsparse_direction_NS_24const_host_device_scalarIT0_EES1_PKS1_PKT1_SA_S7_PKT3_PKT4_S5_PT5_21rocsparse_index_base_b: ; @_ZN9rocsparseL20bsrxmvn_17_32_kernelILj32EdiidddEEvT2_20rocsparse_direction_NS_24const_host_device_scalarIT0_EES1_PKS1_PKT1_SA_S7_PKT3_PKT4_S5_PT5_21rocsparse_index_base_b
; %bb.0:
	s_clause 0x2
	s_load_b64 s[10:11], s[0:1], 0x58
	s_load_b64 s[4:5], s[0:1], 0x8
	;; [unrolled: 1-line block ×3, first 2 shown]
	s_mov_b32 s8, s15
	s_waitcnt lgkmcnt(0)
	s_bitcmp1_b32 s11, 0
	v_dual_mov_b32 v3, s4 :: v_dual_mov_b32 v4, s5
	s_cselect_b32 s6, -1, 0
	s_delay_alu instid0(SALU_CYCLE_1)
	s_and_b32 vcc_lo, exec_lo, s6
	s_xor_b32 s6, s6, -1
	s_cbranch_vccnz .LBB31_2
; %bb.1:
	v_dual_mov_b32 v1, s4 :: v_dual_mov_b32 v2, s5
	flat_load_b64 v[3:4], v[1:2]
.LBB31_2:
	v_dual_mov_b32 v1, s2 :: v_dual_mov_b32 v2, s3
	s_and_not1_b32 vcc_lo, exec_lo, s6
	s_cbranch_vccnz .LBB31_4
; %bb.3:
	v_dual_mov_b32 v1, s2 :: v_dual_mov_b32 v2, s3
	flat_load_b64 v[1:2], v[1:2]
.LBB31_4:
	s_waitcnt vmcnt(0) lgkmcnt(0)
	v_cmp_neq_f64_e32 vcc_lo, 0, v[3:4]
	v_cmp_neq_f64_e64 s2, 1.0, v[1:2]
	s_delay_alu instid0(VALU_DEP_1) | instskip(NEXT) | instid1(SALU_CYCLE_1)
	s_or_b32 s2, vcc_lo, s2
	s_and_saveexec_b32 s3, s2
	s_cbranch_execz .LBB31_36
; %bb.5:
	s_clause 0x1
	s_load_b128 s[4:7], s[0:1], 0x18
	s_load_b64 s[2:3], s[0:1], 0x28
	s_waitcnt lgkmcnt(0)
	s_cmp_eq_u64 s[4:5], 0
	s_cbranch_scc1 .LBB31_7
; %bb.6:
	s_ashr_i32 s9, s8, 31
	s_delay_alu instid0(SALU_CYCLE_1) | instskip(NEXT) | instid1(SALU_CYCLE_1)
	s_lshl_b64 s[8:9], s[8:9], 2
	s_add_u32 s4, s4, s8
	s_addc_u32 s5, s5, s9
	s_load_b32 s4, s[4:5], 0x0
	s_waitcnt lgkmcnt(0)
	s_sub_i32 s8, s4, s10
.LBB31_7:
	s_load_b32 s4, s[0:1], 0x4
	v_mov_b32_e32 v5, 0
	v_dual_mov_b32 v6, 0 :: v_dual_and_b32 v9, 31, v0
	s_waitcnt lgkmcnt(0)
	s_cmp_eq_u32 s4, 1
	s_cselect_b32 vcc_lo, -1, 0
	s_cmp_lg_u32 s4, 1
	s_cselect_b32 s11, -1, 0
	s_ashr_i32 s9, s8, 31
	s_delay_alu instid0(SALU_CYCLE_1) | instskip(NEXT) | instid1(SALU_CYCLE_1)
	s_lshl_b64 s[4:5], s[8:9], 2
	s_add_u32 s6, s6, s4
	s_addc_u32 s7, s7, s5
	s_add_u32 s9, s6, 4
	s_addc_u32 s12, s7, 0
	;; [unrolled: 2-line block ×3, first 2 shown]
	s_cmp_eq_u64 s[2:3], 0
	s_cselect_b32 s3, s12, s5
	s_cselect_b32 s2, s9, s4
	s_load_b32 s4, s[6:7], 0x0
	s_load_b32 s6, s[2:3], 0x0
	s_load_b64 s[2:3], s[0:1], 0x50
	s_waitcnt lgkmcnt(0)
	s_cmp_ge_i32 s4, s6
	s_cbranch_scc1 .LBB31_10
; %bb.8:
	s_clause 0x1
	s_load_b128 s[12:15], s[0:1], 0x30
	s_load_b64 s[0:1], s[0:1], 0x40
	s_sub_i32 s4, s4, s10
	v_lshrrev_b32_e32 v7, 5, v0
	s_ashr_i32 s5, s4, 31
	v_mov_b32_e32 v5, 0
	s_lshl_b64 s[16:17], s[4:5], 13
	s_delay_alu instid0(SALU_CYCLE_1) | instskip(SKIP_3) | instid1(VALU_DEP_2)
	v_dual_mov_b32 v6, 0 :: v_dual_mov_b32 v11, s17
	v_lshl_or_b32 v8, v0, 3, s16
	v_cndmask_b32_e32 v10, v9, v7, vcc_lo
	s_waitcnt lgkmcnt(0)
	v_add_co_u32 v7, vcc_lo, s14, v8
	v_add_co_ci_u32_e32 v8, vcc_lo, s15, v11, vcc_lo
	s_lshl_b64 s[14:15], s[4:5], 2
	s_sub_i32 s5, s6, s10
	s_add_u32 s6, s12, s14
	s_addc_u32 s7, s13, s15
	.p2align	6
.LBB31_9:                               ; =>This Inner Loop Header: Depth=1
	s_load_b32 s9, s[6:7], 0x0
	s_add_i32 s4, s4, 1
	s_waitcnt lgkmcnt(0)
	s_sub_i32 s9, s9, s10
	s_add_u32 s6, s6, 4
	v_lshl_or_b32 v11, s9, 5, v10
	s_addc_u32 s7, s7, 0
	s_cmp_lt_i32 s4, s5
	s_delay_alu instid0(VALU_DEP_1) | instskip(NEXT) | instid1(VALU_DEP_1)
	v_ashrrev_i32_e32 v12, 31, v11
	v_lshlrev_b64 v[11:12], 3, v[11:12]
	s_delay_alu instid0(VALU_DEP_1) | instskip(NEXT) | instid1(VALU_DEP_2)
	v_add_co_u32 v11, vcc_lo, s0, v11
	v_add_co_ci_u32_e32 v12, vcc_lo, s1, v12, vcc_lo
	global_load_b64 v[13:14], v[7:8], off
	global_load_b64 v[11:12], v[11:12], off
	v_add_co_u32 v7, vcc_lo, 0x2000, v7
	v_add_co_ci_u32_e32 v8, vcc_lo, 0, v8, vcc_lo
	s_waitcnt vmcnt(0)
	v_fma_f64 v[5:6], v[13:14], v[11:12], v[5:6]
	s_cbranch_scc1 .LBB31_9
.LBB31_10:
	v_lshlrev_b32_e32 v7, 3, v0
	s_and_b32 vcc_lo, exec_lo, s11
	ds_store_b64 v7, v[5:6]
	s_waitcnt lgkmcnt(0)
	s_barrier
	buffer_gl0_inv
	s_cbranch_vccz .LBB31_22
; %bb.11:
	s_mov_b32 s0, exec_lo
	v_cmpx_gt_u32_e32 16, v9
	s_cbranch_execz .LBB31_13
; %bb.12:
	ds_load_2addr_b64 v[10:13], v7 offset1:16
	s_waitcnt lgkmcnt(0)
	v_add_f64 v[10:11], v[12:13], v[10:11]
	ds_store_b64 v7, v[10:11]
.LBB31_13:
	s_or_b32 exec_lo, exec_lo, s0
	s_delay_alu instid0(SALU_CYCLE_1)
	s_mov_b32 s0, exec_lo
	s_waitcnt lgkmcnt(0)
	s_barrier
	buffer_gl0_inv
	v_cmpx_gt_u32_e32 8, v9
	s_cbranch_execz .LBB31_15
; %bb.14:
	ds_load_2addr_b64 v[10:13], v7 offset1:8
	s_waitcnt lgkmcnt(0)
	v_add_f64 v[10:11], v[12:13], v[10:11]
	ds_store_b64 v7, v[10:11]
.LBB31_15:
	s_or_b32 exec_lo, exec_lo, s0
	s_delay_alu instid0(SALU_CYCLE_1)
	s_mov_b32 s0, exec_lo
	s_waitcnt lgkmcnt(0)
	s_barrier
	buffer_gl0_inv
	;; [unrolled: 14-line block ×3, first 2 shown]
	v_cmpx_gt_u32_e32 2, v9
	s_cbranch_execz .LBB31_19
; %bb.18:
	ds_load_2addr_b64 v[8:11], v7 offset1:2
	s_waitcnt lgkmcnt(0)
	v_add_f64 v[8:9], v[10:11], v[8:9]
	ds_store_b64 v7, v[8:9]
.LBB31_19:
	s_or_b32 exec_lo, exec_lo, s0
	s_mov_b32 s1, 0
	s_mov_b32 s0, 0
	s_mov_b32 s4, exec_lo
	s_waitcnt lgkmcnt(0)
	s_barrier
	buffer_gl0_inv
                                        ; implicit-def: $vgpr8
                                        ; implicit-def: $vgpr9
	v_cmpx_gt_u32_e32 32, v0
	s_xor_b32 s4, exec_lo, s4
; %bb.20:
	v_lshl_or_b32 v8, v0, 5, 1
	v_mad_u32_u24 v9, 0xf8, v0, v7
	s_mov_b32 s0, exec_lo
; %bb.21:
	s_or_b32 exec_lo, exec_lo, s4
	s_delay_alu instid0(SALU_CYCLE_1)
	s_and_b32 vcc_lo, exec_lo, s1
	s_cbranch_vccnz .LBB31_23
	s_branch .LBB31_34
.LBB31_22:
	s_mov_b32 s0, 0
                                        ; implicit-def: $vgpr8
                                        ; implicit-def: $vgpr9
	s_cbranch_execz .LBB31_34
.LBB31_23:
	s_mov_b32 s1, exec_lo
	v_cmpx_gt_u32_e32 0x200, v0
	s_cbranch_execz .LBB31_25
; %bb.24:
	ds_load_2addr_stride64_b64 v[8:11], v7 offset1:8
	s_waitcnt lgkmcnt(0)
	v_add_f64 v[8:9], v[10:11], v[8:9]
	ds_store_b64 v7, v[8:9]
.LBB31_25:
	s_or_b32 exec_lo, exec_lo, s1
	s_delay_alu instid0(SALU_CYCLE_1)
	s_mov_b32 s1, exec_lo
	s_waitcnt lgkmcnt(0)
	s_barrier
	buffer_gl0_inv
	v_cmpx_gt_u32_e32 0x100, v0
	s_cbranch_execz .LBB31_27
; %bb.26:
	ds_load_2addr_stride64_b64 v[8:11], v7 offset1:4
	s_waitcnt lgkmcnt(0)
	v_add_f64 v[8:9], v[10:11], v[8:9]
	ds_store_b64 v7, v[8:9]
.LBB31_27:
	s_or_b32 exec_lo, exec_lo, s1
	s_delay_alu instid0(SALU_CYCLE_1)
	s_mov_b32 s1, exec_lo
	s_waitcnt lgkmcnt(0)
	s_barrier
	buffer_gl0_inv
	v_cmpx_gt_u32_e32 0x80, v0
	s_cbranch_execz .LBB31_29
; %bb.28:
	ds_load_2addr_stride64_b64 v[8:11], v7 offset1:2
	s_waitcnt lgkmcnt(0)
	v_add_f64 v[8:9], v[10:11], v[8:9]
	ds_store_b64 v7, v[8:9]
.LBB31_29:
	s_or_b32 exec_lo, exec_lo, s1
	s_delay_alu instid0(SALU_CYCLE_1)
	s_mov_b32 s1, exec_lo
	s_waitcnt lgkmcnt(0)
	s_barrier
	buffer_gl0_inv
	v_cmpx_gt_u32_e32 64, v0
	s_cbranch_execz .LBB31_31
; %bb.30:
	ds_load_2addr_stride64_b64 v[8:11], v7 offset1:1
	s_waitcnt lgkmcnt(0)
	v_add_f64 v[8:9], v[10:11], v[8:9]
	ds_store_b64 v7, v[8:9]
.LBB31_31:
	s_or_b32 exec_lo, exec_lo, s1
	s_delay_alu instid0(SALU_CYCLE_1)
	s_mov_b32 s1, exec_lo
	s_waitcnt lgkmcnt(0)
	buffer_gl0_inv
                                        ; implicit-def: $vgpr8
	v_cmpx_gt_u32_e32 32, v0
; %bb.32:
	v_or_b32_e32 v8, 32, v0
	s_or_b32 s0, s0, exec_lo
                                        ; implicit-def: $vgpr5_vgpr6
; %bb.33:
	s_or_b32 exec_lo, exec_lo, s1
	v_mov_b32_e32 v9, v7
.LBB31_34:
	s_and_saveexec_b32 s1, s0
	s_cbranch_execnz .LBB31_37
; %bb.35:
	s_or_b32 exec_lo, exec_lo, s1
	v_cmp_gt_u32_e32 vcc_lo, 32, v0
	s_and_b32 exec_lo, exec_lo, vcc_lo
	s_cbranch_execnz .LBB31_38
.LBB31_36:
	s_nop 0
	s_sendmsg sendmsg(MSG_DEALLOC_VGPRS)
	s_endpgm
.LBB31_37:
	v_lshlrev_b32_e32 v7, 3, v8
	ds_load_b64 v[5:6], v9
	ds_load_b64 v[7:8], v7
	s_waitcnt lgkmcnt(0)
	v_add_f64 v[5:6], v[5:6], v[7:8]
	s_or_b32 exec_lo, exec_lo, s1
	v_cmp_gt_u32_e32 vcc_lo, 32, v0
	s_and_b32 exec_lo, exec_lo, vcc_lo
	s_cbranch_execz .LBB31_36
.LBB31_38:
	s_delay_alu instid0(VALU_DEP_2)
	v_mul_f64 v[3:4], v[3:4], v[5:6]
	v_lshl_or_b32 v5, s8, 5, v0
	s_mov_b32 s0, exec_lo
	v_cmpx_eq_f64_e32 0, v[1:2]
	s_xor_b32 s0, exec_lo, s0
	s_cbranch_execz .LBB31_40
; %bb.39:
	v_mov_b32_e32 v6, 0
	s_delay_alu instid0(VALU_DEP_1) | instskip(NEXT) | instid1(VALU_DEP_1)
	v_lshlrev_b64 v[0:1], 3, v[5:6]
                                        ; implicit-def: $vgpr5
	v_add_co_u32 v0, vcc_lo, s2, v0
	s_delay_alu instid0(VALU_DEP_2)
	v_add_co_ci_u32_e32 v1, vcc_lo, s3, v1, vcc_lo
	global_store_b64 v[0:1], v[3:4], off
                                        ; implicit-def: $vgpr1_vgpr2
                                        ; implicit-def: $vgpr3_vgpr4
.LBB31_40:
	s_and_not1_saveexec_b32 s0, s0
	s_cbranch_execz .LBB31_36
; %bb.41:
	v_mov_b32_e32 v6, 0
	s_delay_alu instid0(VALU_DEP_1) | instskip(NEXT) | instid1(VALU_DEP_1)
	v_lshlrev_b64 v[5:6], 3, v[5:6]
	v_add_co_u32 v5, vcc_lo, s2, v5
	s_delay_alu instid0(VALU_DEP_2)
	v_add_co_ci_u32_e32 v6, vcc_lo, s3, v6, vcc_lo
	global_load_b64 v[7:8], v[5:6], off
	s_waitcnt vmcnt(0)
	v_fma_f64 v[0:1], v[1:2], v[7:8], v[3:4]
	global_store_b64 v[5:6], v[0:1], off
	s_nop 0
	s_sendmsg sendmsg(MSG_DEALLOC_VGPRS)
	s_endpgm
	.section	.rodata,"a",@progbits
	.p2align	6, 0x0
	.amdhsa_kernel _ZN9rocsparseL20bsrxmvn_17_32_kernelILj32EdiidddEEvT2_20rocsparse_direction_NS_24const_host_device_scalarIT0_EES1_PKS1_PKT1_SA_S7_PKT3_PKT4_S5_PT5_21rocsparse_index_base_b
		.amdhsa_group_segment_fixed_size 8192
		.amdhsa_private_segment_fixed_size 0
		.amdhsa_kernarg_size 96
		.amdhsa_user_sgpr_count 15
		.amdhsa_user_sgpr_dispatch_ptr 0
		.amdhsa_user_sgpr_queue_ptr 0
		.amdhsa_user_sgpr_kernarg_segment_ptr 1
		.amdhsa_user_sgpr_dispatch_id 0
		.amdhsa_user_sgpr_private_segment_size 0
		.amdhsa_wavefront_size32 1
		.amdhsa_uses_dynamic_stack 0
		.amdhsa_enable_private_segment 0
		.amdhsa_system_sgpr_workgroup_id_x 1
		.amdhsa_system_sgpr_workgroup_id_y 0
		.amdhsa_system_sgpr_workgroup_id_z 0
		.amdhsa_system_sgpr_workgroup_info 0
		.amdhsa_system_vgpr_workitem_id 0
		.amdhsa_next_free_vgpr 15
		.amdhsa_next_free_sgpr 18
		.amdhsa_reserve_vcc 1
		.amdhsa_float_round_mode_32 0
		.amdhsa_float_round_mode_16_64 0
		.amdhsa_float_denorm_mode_32 3
		.amdhsa_float_denorm_mode_16_64 3
		.amdhsa_dx10_clamp 1
		.amdhsa_ieee_mode 1
		.amdhsa_fp16_overflow 0
		.amdhsa_workgroup_processor_mode 1
		.amdhsa_memory_ordered 1
		.amdhsa_forward_progress 0
		.amdhsa_shared_vgpr_count 0
		.amdhsa_exception_fp_ieee_invalid_op 0
		.amdhsa_exception_fp_denorm_src 0
		.amdhsa_exception_fp_ieee_div_zero 0
		.amdhsa_exception_fp_ieee_overflow 0
		.amdhsa_exception_fp_ieee_underflow 0
		.amdhsa_exception_fp_ieee_inexact 0
		.amdhsa_exception_int_div_zero 0
	.end_amdhsa_kernel
	.section	.text._ZN9rocsparseL20bsrxmvn_17_32_kernelILj32EdiidddEEvT2_20rocsparse_direction_NS_24const_host_device_scalarIT0_EES1_PKS1_PKT1_SA_S7_PKT3_PKT4_S5_PT5_21rocsparse_index_base_b,"axG",@progbits,_ZN9rocsparseL20bsrxmvn_17_32_kernelILj32EdiidddEEvT2_20rocsparse_direction_NS_24const_host_device_scalarIT0_EES1_PKS1_PKT1_SA_S7_PKT3_PKT4_S5_PT5_21rocsparse_index_base_b,comdat
.Lfunc_end31:
	.size	_ZN9rocsparseL20bsrxmvn_17_32_kernelILj32EdiidddEEvT2_20rocsparse_direction_NS_24const_host_device_scalarIT0_EES1_PKS1_PKT1_SA_S7_PKT3_PKT4_S5_PT5_21rocsparse_index_base_b, .Lfunc_end31-_ZN9rocsparseL20bsrxmvn_17_32_kernelILj32EdiidddEEvT2_20rocsparse_direction_NS_24const_host_device_scalarIT0_EES1_PKS1_PKT1_SA_S7_PKT3_PKT4_S5_PT5_21rocsparse_index_base_b
                                        ; -- End function
	.section	.AMDGPU.csdata,"",@progbits
; Kernel info:
; codeLenInByte = 1444
; NumSgprs: 20
; NumVgprs: 15
; ScratchSize: 0
; MemoryBound: 0
; FloatMode: 240
; IeeeMode: 1
; LDSByteSize: 8192 bytes/workgroup (compile time only)
; SGPRBlocks: 2
; VGPRBlocks: 1
; NumSGPRsForWavesPerEU: 20
; NumVGPRsForWavesPerEU: 15
; Occupancy: 16
; WaveLimiterHint : 1
; COMPUTE_PGM_RSRC2:SCRATCH_EN: 0
; COMPUTE_PGM_RSRC2:USER_SGPR: 15
; COMPUTE_PGM_RSRC2:TRAP_HANDLER: 0
; COMPUTE_PGM_RSRC2:TGID_X_EN: 1
; COMPUTE_PGM_RSRC2:TGID_Y_EN: 0
; COMPUTE_PGM_RSRC2:TGID_Z_EN: 0
; COMPUTE_PGM_RSRC2:TIDIG_COMP_CNT: 0
	.section	.text._ZN9rocsparseL20bsrxmvn_17_32_kernelILj17E21rocsparse_complex_numIfEiiS2_S2_S2_EEvT2_20rocsparse_direction_NS_24const_host_device_scalarIT0_EES3_PKS3_PKT1_SC_S9_PKT3_PKT4_S7_PT5_21rocsparse_index_base_b,"axG",@progbits,_ZN9rocsparseL20bsrxmvn_17_32_kernelILj17E21rocsparse_complex_numIfEiiS2_S2_S2_EEvT2_20rocsparse_direction_NS_24const_host_device_scalarIT0_EES3_PKS3_PKT1_SC_S9_PKT3_PKT4_S7_PT5_21rocsparse_index_base_b,comdat
	.globl	_ZN9rocsparseL20bsrxmvn_17_32_kernelILj17E21rocsparse_complex_numIfEiiS2_S2_S2_EEvT2_20rocsparse_direction_NS_24const_host_device_scalarIT0_EES3_PKS3_PKT1_SC_S9_PKT3_PKT4_S7_PT5_21rocsparse_index_base_b ; -- Begin function _ZN9rocsparseL20bsrxmvn_17_32_kernelILj17E21rocsparse_complex_numIfEiiS2_S2_S2_EEvT2_20rocsparse_direction_NS_24const_host_device_scalarIT0_EES3_PKS3_PKT1_SC_S9_PKT3_PKT4_S7_PT5_21rocsparse_index_base_b
	.p2align	8
	.type	_ZN9rocsparseL20bsrxmvn_17_32_kernelILj17E21rocsparse_complex_numIfEiiS2_S2_S2_EEvT2_20rocsparse_direction_NS_24const_host_device_scalarIT0_EES3_PKS3_PKT1_SC_S9_PKT3_PKT4_S7_PT5_21rocsparse_index_base_b,@function
_ZN9rocsparseL20bsrxmvn_17_32_kernelILj17E21rocsparse_complex_numIfEiiS2_S2_S2_EEvT2_20rocsparse_direction_NS_24const_host_device_scalarIT0_EES3_PKS3_PKT1_SC_S9_PKT3_PKT4_S7_PT5_21rocsparse_index_base_b: ; @_ZN9rocsparseL20bsrxmvn_17_32_kernelILj17E21rocsparse_complex_numIfEiiS2_S2_S2_EEvT2_20rocsparse_direction_NS_24const_host_device_scalarIT0_EES3_PKS3_PKT1_SC_S9_PKT3_PKT4_S7_PT5_21rocsparse_index_base_b
; %bb.0:
	s_clause 0x2
	s_load_b64 s[10:11], s[0:1], 0x58
	s_load_b64 s[4:5], s[0:1], 0x8
	;; [unrolled: 1-line block ×3, first 2 shown]
	s_mov_b32 s8, s15
	s_waitcnt lgkmcnt(0)
	s_bitcmp1_b32 s11, 0
	v_mov_b32_e32 v10, s4
	s_cselect_b32 s6, -1, 0
	s_delay_alu instid0(SALU_CYCLE_1)
	s_and_b32 vcc_lo, exec_lo, s6
	s_xor_b32 s6, s6, -1
	s_cbranch_vccz .LBB32_15
; %bb.1:
	v_cndmask_b32_e64 v1, 0, 1, s6
	v_mov_b32_e32 v11, s5
	s_and_not1_b32 vcc_lo, exec_lo, s6
	s_cbranch_vccz .LBB32_16
.LBB32_2:
	s_delay_alu instid0(VALU_DEP_2)
	v_cmp_ne_u32_e32 vcc_lo, 1, v1
	v_mov_b32_e32 v8, s2
	s_cbranch_vccz .LBB32_17
.LBB32_3:
	v_cmp_ne_u32_e32 vcc_lo, 1, v1
	v_mov_b32_e32 v9, s3
	s_cbranch_vccnz .LBB32_5
.LBB32_4:
	v_dual_mov_b32 v1, s2 :: v_dual_mov_b32 v2, s3
	flat_load_b32 v9, v[1:2] offset:4
.LBB32_5:
	s_waitcnt vmcnt(0) lgkmcnt(0)
	v_cmp_eq_f32_e32 vcc_lo, 0, v10
	v_cmp_eq_f32_e64 s2, 0, v11
	s_delay_alu instid0(VALU_DEP_1)
	s_and_b32 s4, vcc_lo, s2
	s_mov_b32 s2, -1
	s_and_saveexec_b32 s3, s4
; %bb.6:
	v_cmp_neq_f32_e32 vcc_lo, 1.0, v8
	v_cmp_neq_f32_e64 s2, 0, v9
	s_delay_alu instid0(VALU_DEP_1) | instskip(NEXT) | instid1(SALU_CYCLE_1)
	s_or_b32 s2, vcc_lo, s2
	s_or_not1_b32 s2, s2, exec_lo
; %bb.7:
	s_or_b32 exec_lo, exec_lo, s3
	s_and_saveexec_b32 s3, s2
	s_cbranch_execz .LBB32_44
; %bb.8:
	s_clause 0x1
	s_load_b128 s[4:7], s[0:1], 0x18
	s_load_b64 s[2:3], s[0:1], 0x28
	s_waitcnt lgkmcnt(0)
	s_cmp_eq_u64 s[4:5], 0
	s_cbranch_scc1 .LBB32_10
; %bb.9:
	s_ashr_i32 s9, s8, 31
	s_delay_alu instid0(SALU_CYCLE_1) | instskip(NEXT) | instid1(SALU_CYCLE_1)
	s_lshl_b64 s[8:9], s[8:9], 2
	s_add_u32 s4, s4, s8
	s_addc_u32 s5, s5, s9
	s_load_b32 s4, s[4:5], 0x0
	s_waitcnt lgkmcnt(0)
	s_sub_i32 s8, s4, s10
.LBB32_10:
	s_load_b32 s4, s[0:1], 0x4
	v_mul_u32_u24_e32 v1, 0xf10, v0
	v_mov_b32_e32 v2, 0
	v_lshlrev_b32_e32 v12, 3, v0
	s_delay_alu instid0(VALU_DEP_3) | instskip(NEXT) | instid1(VALU_DEP_1)
	v_lshrrev_b32_e32 v3, 16, v1
	v_mul_lo_u16 v1, v3, 17
	s_delay_alu instid0(VALU_DEP_1)
	v_sub_nc_u16 v13, v0, v1
	v_mov_b32_e32 v1, 0
	s_waitcnt lgkmcnt(0)
	s_cmp_eq_u32 s4, 1
	s_cselect_b32 vcc_lo, -1, 0
	s_cmp_lg_u32 s4, 1
	s_cselect_b32 s11, -1, 0
	s_ashr_i32 s9, s8, 31
	s_delay_alu instid0(SALU_CYCLE_1) | instskip(NEXT) | instid1(SALU_CYCLE_1)
	s_lshl_b64 s[4:5], s[8:9], 2
	s_add_u32 s6, s6, s4
	s_addc_u32 s7, s7, s5
	s_add_u32 s9, s6, 4
	s_addc_u32 s12, s7, 0
	;; [unrolled: 2-line block ×3, first 2 shown]
	s_cmp_eq_u64 s[2:3], 0
	s_cselect_b32 s3, s12, s5
	s_cselect_b32 s2, s9, s4
	s_load_b32 s12, s[6:7], 0x0
	s_load_b32 s9, s[2:3], 0x0
	s_load_b64 s[2:3], s[0:1], 0x50
	s_waitcnt lgkmcnt(0)
	s_cmp_ge_i32 s12, s9
	s_cbranch_scc1 .LBB32_18
; %bb.11:
	v_mul_lo_u16 v1, v3, 31
	s_clause 0x1
	s_load_b128 s[4:7], s[0:1], 0x30
	s_load_b64 s[0:1], s[0:1], 0x40
	v_and_b32_e32 v5, 0xffff, v13
	s_sub_i32 s12, s12, s10
	v_lshrrev_b16 v1, 9, v1
	s_mul_i32 s14, s12, 0x908
	s_sub_i32 s9, s9, s10
	s_mul_hi_i32 s13, s12, 0x908
	s_delay_alu instid0(VALU_DEP_1) | instskip(NEXT) | instid1(VALU_DEP_1)
	v_mul_lo_u16 v1, v1, 17
	v_sub_nc_u16 v1, v3, v1
	s_delay_alu instid0(VALU_DEP_1)
	v_and_b32_e32 v1, 0xff, v1
	v_and_b32_e32 v2, 0xffff, v0
	s_waitcnt lgkmcnt(0)
	s_add_u32 s6, s6, s14
	s_addc_u32 s7, s7, s13
	v_cndmask_b32_e32 v5, v5, v1, vcc_lo
	v_mul_u32_u24_e32 v6, 0xe3, v2
	v_mov_b32_e32 v2, 0
	v_lshlrev_b32_e32 v4, 3, v0
	s_delay_alu instid0(VALU_DEP_3) | instskip(NEXT) | instid1(VALU_DEP_3)
	v_lshrrev_b32_e32 v14, 16, v6
	v_mov_b32_e32 v1, v2
	s_delay_alu instid0(VALU_DEP_3) | instskip(NEXT) | instid1(VALU_DEP_1)
	v_add_co_u32 v3, s6, s6, v4
	v_add_co_ci_u32_e64 v4, null, s7, 0, s6
	s_set_inst_prefetch_distance 0x1
	s_branch .LBB32_13
	.p2align	6
.LBB32_12:                              ;   in Loop: Header=BB32_13 Depth=1
	s_or_b32 exec_lo, exec_lo, s6
	s_add_i32 s12, s12, 1
	s_delay_alu instid0(SALU_CYCLE_1)
	s_cmp_lt_i32 s12, s9
	s_cbranch_scc0 .LBB32_18
.LBB32_13:                              ; =>This Inner Loop Header: Depth=1
	v_add_nc_u32_e32 v6, s12, v14
	s_mov_b32 s6, exec_lo
	s_delay_alu instid0(VALU_DEP_1)
	v_cmpx_gt_i32_e64 s9, v6
	s_cbranch_execz .LBB32_12
; %bb.14:                               ;   in Loop: Header=BB32_13 Depth=1
	v_ashrrev_i32_e32 v7, 31, v6
	s_delay_alu instid0(VALU_DEP_1) | instskip(NEXT) | instid1(VALU_DEP_1)
	v_lshlrev_b64 v[6:7], 2, v[6:7]
	v_add_co_u32 v6, vcc_lo, s4, v6
	s_delay_alu instid0(VALU_DEP_2) | instskip(SKIP_3) | instid1(VALU_DEP_1)
	v_add_co_ci_u32_e32 v7, vcc_lo, s5, v7, vcc_lo
	global_load_b32 v6, v[6:7], off
	s_waitcnt vmcnt(0)
	v_subrev_nc_u32_e32 v15, s10, v6
	v_mad_u64_u32 v[6:7], null, v15, 17, v[5:6]
	s_delay_alu instid0(VALU_DEP_1) | instskip(NEXT) | instid1(VALU_DEP_1)
	v_ashrrev_i32_e32 v7, 31, v6
	v_lshlrev_b64 v[6:7], 3, v[6:7]
	s_delay_alu instid0(VALU_DEP_1) | instskip(NEXT) | instid1(VALU_DEP_2)
	v_add_co_u32 v6, vcc_lo, s0, v6
	v_add_co_ci_u32_e32 v7, vcc_lo, s1, v7, vcc_lo
	global_load_b64 v[15:16], v[3:4], off
	global_load_b64 v[6:7], v[6:7], off
	v_add_co_u32 v3, vcc_lo, 0x908, v3
	v_add_co_ci_u32_e32 v4, vcc_lo, 0, v4, vcc_lo
	s_waitcnt vmcnt(0)
	v_fmac_f32_e32 v1, v15, v6
	v_fmac_f32_e32 v2, v16, v6
	s_delay_alu instid0(VALU_DEP_2) | instskip(NEXT) | instid1(VALU_DEP_2)
	v_fma_f32 v1, -v16, v7, v1
	v_fmac_f32_e32 v2, v15, v7
	s_branch .LBB32_12
.LBB32_15:
	v_dual_mov_b32 v1, s4 :: v_dual_mov_b32 v2, s5
	flat_load_b32 v10, v[1:2]
	v_cndmask_b32_e64 v1, 0, 1, s6
	v_mov_b32_e32 v11, s5
	s_and_not1_b32 vcc_lo, exec_lo, s6
	s_cbranch_vccnz .LBB32_2
.LBB32_16:
	v_dual_mov_b32 v2, s4 :: v_dual_mov_b32 v3, s5
	flat_load_b32 v11, v[2:3] offset:4
	v_cmp_ne_u32_e32 vcc_lo, 1, v1
	v_mov_b32_e32 v8, s2
	s_cbranch_vccnz .LBB32_3
.LBB32_17:
	v_dual_mov_b32 v2, s2 :: v_dual_mov_b32 v3, s3
	flat_load_b32 v8, v[2:3]
	v_cmp_ne_u32_e32 vcc_lo, 1, v1
	v_mov_b32_e32 v9, s3
	s_cbranch_vccz .LBB32_4
	s_branch .LBB32_5
.LBB32_18:
	s_set_inst_prefetch_distance 0x2
	s_and_b32 vcc_lo, exec_lo, s11
	ds_store_b64 v12, v[1:2]
	s_waitcnt lgkmcnt(0)
	s_barrier
	buffer_gl0_inv
	s_cbranch_vccz .LBB32_30
; %bb.19:
	s_mov_b32 s0, exec_lo
	v_cmpx_eq_u16_e32 0, v13
	s_cbranch_execz .LBB32_21
; %bb.20:
	ds_load_2addr_b64 v[3:6], v12 offset1:16
	s_waitcnt lgkmcnt(0)
	v_dual_add_f32 v3, v5, v3 :: v_dual_add_f32 v4, v6, v4
	ds_store_b64 v12, v[3:4]
.LBB32_21:
	s_or_b32 exec_lo, exec_lo, s0
	s_delay_alu instid0(SALU_CYCLE_1)
	s_mov_b32 s0, exec_lo
	s_waitcnt lgkmcnt(0)
	s_barrier
	buffer_gl0_inv
	v_cmpx_gt_u16_e32 8, v13
	s_cbranch_execz .LBB32_23
; %bb.22:
	ds_load_2addr_b64 v[3:6], v12 offset1:8
	s_waitcnt lgkmcnt(0)
	v_dual_add_f32 v3, v5, v3 :: v_dual_add_f32 v4, v6, v4
	ds_store_b64 v12, v[3:4]
.LBB32_23:
	s_or_b32 exec_lo, exec_lo, s0
	s_delay_alu instid0(SALU_CYCLE_1)
	s_mov_b32 s0, exec_lo
	s_waitcnt lgkmcnt(0)
	s_barrier
	buffer_gl0_inv
	v_cmpx_gt_u16_e32 4, v13
	;; [unrolled: 14-line block ×3, first 2 shown]
	s_cbranch_execz .LBB32_27
; %bb.26:
	ds_load_2addr_b64 v[3:6], v12 offset1:2
	s_waitcnt lgkmcnt(0)
	v_dual_add_f32 v3, v5, v3 :: v_dual_add_f32 v4, v6, v4
	ds_store_b64 v12, v[3:4]
.LBB32_27:
	s_or_b32 exec_lo, exec_lo, s0
	s_mov_b32 s0, 0
	s_mov_b32 s1, 0
	s_mov_b32 s4, exec_lo
	s_waitcnt lgkmcnt(0)
	s_barrier
	buffer_gl0_inv
                                        ; implicit-def: $vgpr4
                                        ; implicit-def: $vgpr3
	v_cmpx_gt_u32_e32 17, v0
	s_xor_b32 s4, exec_lo, s4
; %bb.28:
	v_mul_u32_u24_e32 v3, 17, v0
	s_mov_b32 s1, exec_lo
	s_delay_alu instid0(VALU_DEP_1)
	v_lshlrev_b32_e32 v4, 3, v3
	v_mad_u32_u24 v3, v0, 17, 1
; %bb.29:
	s_or_b32 exec_lo, exec_lo, s4
	s_delay_alu instid0(SALU_CYCLE_1)
	s_and_b32 vcc_lo, exec_lo, s0
	v_cmp_gt_u32_e64 s0, 17, v0
	s_cbranch_vccnz .LBB32_31
	s_branch .LBB32_42
.LBB32_30:
	s_mov_b32 s1, 0
                                        ; implicit-def: $vgpr4
                                        ; implicit-def: $vgpr3
	v_cmp_gt_u32_e64 s0, 17, v0
	s_cbranch_execz .LBB32_42
.LBB32_31:
	s_delay_alu instid0(VALU_DEP_1)
	s_and_saveexec_b32 s4, s0
	s_cbranch_execz .LBB32_33
; %bb.32:
	ds_load_b64 v[3:4], v12 offset:2176
	ds_load_b64 v[5:6], v12
	s_waitcnt lgkmcnt(0)
	v_dual_add_f32 v3, v3, v5 :: v_dual_add_f32 v4, v4, v6
	ds_store_b64 v12, v[3:4]
.LBB32_33:
	s_or_b32 exec_lo, exec_lo, s4
	s_delay_alu instid0(SALU_CYCLE_1)
	s_mov_b32 s4, exec_lo
	s_waitcnt lgkmcnt(0)
	s_barrier
	buffer_gl0_inv
	v_cmpx_gt_u32_e32 0x88, v0
	s_cbranch_execz .LBB32_35
; %bb.34:
	ds_load_2addr_b64 v[3:6], v12 offset1:136
	s_waitcnt lgkmcnt(0)
	v_dual_add_f32 v3, v5, v3 :: v_dual_add_f32 v4, v6, v4
	ds_store_b64 v12, v[3:4]
.LBB32_35:
	s_or_b32 exec_lo, exec_lo, s4
	s_delay_alu instid0(SALU_CYCLE_1)
	s_mov_b32 s4, exec_lo
	s_waitcnt lgkmcnt(0)
	s_barrier
	buffer_gl0_inv
	v_cmpx_gt_u32_e32 0x44, v0
	s_cbranch_execz .LBB32_37
; %bb.36:
	ds_load_2addr_b64 v[3:6], v12 offset1:68
	s_waitcnt lgkmcnt(0)
	v_dual_add_f32 v3, v5, v3 :: v_dual_add_f32 v4, v6, v4
	ds_store_b64 v12, v[3:4]
.LBB32_37:
	s_or_b32 exec_lo, exec_lo, s4
	s_delay_alu instid0(SALU_CYCLE_1)
	s_mov_b32 s4, exec_lo
	s_waitcnt lgkmcnt(0)
	s_barrier
	buffer_gl0_inv
	v_cmpx_gt_u32_e32 34, v0
	s_cbranch_execz .LBB32_39
; %bb.38:
	ds_load_2addr_b64 v[3:6], v12 offset1:34
	s_waitcnt lgkmcnt(0)
	v_dual_add_f32 v3, v5, v3 :: v_dual_add_f32 v4, v6, v4
	ds_store_b64 v12, v[3:4]
.LBB32_39:
	s_or_b32 exec_lo, exec_lo, s4
	s_waitcnt lgkmcnt(0)
	buffer_gl0_inv
                                        ; implicit-def: $vgpr3
	s_and_saveexec_b32 s4, s0
; %bb.40:
	v_add_nc_u32_e32 v3, 17, v0
	s_or_b32 s1, s1, exec_lo
                                        ; implicit-def: $vgpr2
; %bb.41:
	s_or_b32 exec_lo, exec_lo, s4
	v_mov_b32_e32 v4, v12
.LBB32_42:
	s_and_saveexec_b32 s0, s1
	s_cbranch_execnz .LBB32_45
; %bb.43:
	s_or_b32 exec_lo, exec_lo, s0
	v_cmp_gt_u32_e32 vcc_lo, 17, v0
	s_and_b32 exec_lo, exec_lo, vcc_lo
	s_cbranch_execnz .LBB32_46
.LBB32_44:
	s_nop 0
	s_sendmsg sendmsg(MSG_DEALLOC_VGPRS)
	s_endpgm
.LBB32_45:
	v_lshlrev_b32_e32 v3, 3, v3
	ds_load_2addr_b32 v[1:2], v4 offset1:1
	ds_load_b64 v[3:4], v3
	s_waitcnt lgkmcnt(0)
	v_dual_add_f32 v2, v4, v2 :: v_dual_add_f32 v1, v3, v1
	s_or_b32 exec_lo, exec_lo, s0
	v_cmp_gt_u32_e32 vcc_lo, 17, v0
	s_and_b32 exec_lo, exec_lo, vcc_lo
	s_cbranch_execz .LBB32_44
.LBB32_46:
	v_mul_f32_e64 v3, v2, -v11
	v_mul_f32_e32 v4, v2, v10
	v_cmp_eq_f32_e32 vcc_lo, 0, v8
	v_cmp_eq_f32_e64 s0, 0, v9
	s_delay_alu instid0(VALU_DEP_4) | instskip(NEXT) | instid1(VALU_DEP_4)
	v_fmac_f32_e32 v3, v10, v1
	v_fmac_f32_e32 v4, v11, v1
	s_delay_alu instid0(VALU_DEP_3) | instskip(NEXT) | instid1(SALU_CYCLE_1)
	s_and_b32 s0, vcc_lo, s0
	s_and_saveexec_b32 s1, s0
	s_delay_alu instid0(SALU_CYCLE_1)
	s_xor_b32 s0, exec_lo, s1
	s_cbranch_execz .LBB32_48
; %bb.47:
	v_mad_u64_u32 v[1:2], null, s8, 17, v[0:1]
	v_mov_b32_e32 v2, 0
                                        ; implicit-def: $vgpr8
                                        ; implicit-def: $vgpr9
	s_delay_alu instid0(VALU_DEP_1) | instskip(NEXT) | instid1(VALU_DEP_1)
	v_lshlrev_b64 v[0:1], 3, v[1:2]
	v_add_co_u32 v0, vcc_lo, s2, v0
	s_delay_alu instid0(VALU_DEP_2)
	v_add_co_ci_u32_e32 v1, vcc_lo, s3, v1, vcc_lo
	global_store_b64 v[0:1], v[3:4], off
                                        ; implicit-def: $vgpr0
                                        ; implicit-def: $vgpr3
.LBB32_48:
	s_and_not1_saveexec_b32 s0, s0
	s_cbranch_execz .LBB32_44
; %bb.49:
	v_mad_u64_u32 v[1:2], null, s8, 17, v[0:1]
	v_mov_b32_e32 v2, 0
	s_delay_alu instid0(VALU_DEP_1) | instskip(NEXT) | instid1(VALU_DEP_1)
	v_lshlrev_b64 v[0:1], 3, v[1:2]
	v_add_co_u32 v0, vcc_lo, s2, v0
	s_delay_alu instid0(VALU_DEP_2) | instskip(SKIP_4) | instid1(VALU_DEP_2)
	v_add_co_ci_u32_e32 v1, vcc_lo, s3, v1, vcc_lo
	global_load_b64 v[5:6], v[0:1], off
	s_waitcnt vmcnt(0)
	v_fmac_f32_e32 v3, v8, v5
	v_fmac_f32_e32 v4, v9, v5
	v_fma_f32 v3, -v9, v6, v3
	s_delay_alu instid0(VALU_DEP_2)
	v_fmac_f32_e32 v4, v8, v6
	global_store_b64 v[0:1], v[3:4], off
	s_nop 0
	s_sendmsg sendmsg(MSG_DEALLOC_VGPRS)
	s_endpgm
	.section	.rodata,"a",@progbits
	.p2align	6, 0x0
	.amdhsa_kernel _ZN9rocsparseL20bsrxmvn_17_32_kernelILj17E21rocsparse_complex_numIfEiiS2_S2_S2_EEvT2_20rocsparse_direction_NS_24const_host_device_scalarIT0_EES3_PKS3_PKT1_SC_S9_PKT3_PKT4_S7_PT5_21rocsparse_index_base_b
		.amdhsa_group_segment_fixed_size 2312
		.amdhsa_private_segment_fixed_size 0
		.amdhsa_kernarg_size 96
		.amdhsa_user_sgpr_count 15
		.amdhsa_user_sgpr_dispatch_ptr 0
		.amdhsa_user_sgpr_queue_ptr 0
		.amdhsa_user_sgpr_kernarg_segment_ptr 1
		.amdhsa_user_sgpr_dispatch_id 0
		.amdhsa_user_sgpr_private_segment_size 0
		.amdhsa_wavefront_size32 1
		.amdhsa_uses_dynamic_stack 0
		.amdhsa_enable_private_segment 0
		.amdhsa_system_sgpr_workgroup_id_x 1
		.amdhsa_system_sgpr_workgroup_id_y 0
		.amdhsa_system_sgpr_workgroup_id_z 0
		.amdhsa_system_sgpr_workgroup_info 0
		.amdhsa_system_vgpr_workitem_id 0
		.amdhsa_next_free_vgpr 17
		.amdhsa_next_free_sgpr 16
		.amdhsa_reserve_vcc 1
		.amdhsa_float_round_mode_32 0
		.amdhsa_float_round_mode_16_64 0
		.amdhsa_float_denorm_mode_32 3
		.amdhsa_float_denorm_mode_16_64 3
		.amdhsa_dx10_clamp 1
		.amdhsa_ieee_mode 1
		.amdhsa_fp16_overflow 0
		.amdhsa_workgroup_processor_mode 1
		.amdhsa_memory_ordered 1
		.amdhsa_forward_progress 0
		.amdhsa_shared_vgpr_count 0
		.amdhsa_exception_fp_ieee_invalid_op 0
		.amdhsa_exception_fp_denorm_src 0
		.amdhsa_exception_fp_ieee_div_zero 0
		.amdhsa_exception_fp_ieee_overflow 0
		.amdhsa_exception_fp_ieee_underflow 0
		.amdhsa_exception_fp_ieee_inexact 0
		.amdhsa_exception_int_div_zero 0
	.end_amdhsa_kernel
	.section	.text._ZN9rocsparseL20bsrxmvn_17_32_kernelILj17E21rocsparse_complex_numIfEiiS2_S2_S2_EEvT2_20rocsparse_direction_NS_24const_host_device_scalarIT0_EES3_PKS3_PKT1_SC_S9_PKT3_PKT4_S7_PT5_21rocsparse_index_base_b,"axG",@progbits,_ZN9rocsparseL20bsrxmvn_17_32_kernelILj17E21rocsparse_complex_numIfEiiS2_S2_S2_EEvT2_20rocsparse_direction_NS_24const_host_device_scalarIT0_EES3_PKS3_PKT1_SC_S9_PKT3_PKT4_S7_PT5_21rocsparse_index_base_b,comdat
.Lfunc_end32:
	.size	_ZN9rocsparseL20bsrxmvn_17_32_kernelILj17E21rocsparse_complex_numIfEiiS2_S2_S2_EEvT2_20rocsparse_direction_NS_24const_host_device_scalarIT0_EES3_PKS3_PKT1_SC_S9_PKT3_PKT4_S7_PT5_21rocsparse_index_base_b, .Lfunc_end32-_ZN9rocsparseL20bsrxmvn_17_32_kernelILj17E21rocsparse_complex_numIfEiiS2_S2_S2_EEvT2_20rocsparse_direction_NS_24const_host_device_scalarIT0_EES3_PKS3_PKT1_SC_S9_PKT3_PKT4_S7_PT5_21rocsparse_index_base_b
                                        ; -- End function
	.section	.AMDGPU.csdata,"",@progbits
; Kernel info:
; codeLenInByte = 1852
; NumSgprs: 18
; NumVgprs: 17
; ScratchSize: 0
; MemoryBound: 0
; FloatMode: 240
; IeeeMode: 1
; LDSByteSize: 2312 bytes/workgroup (compile time only)
; SGPRBlocks: 2
; VGPRBlocks: 2
; NumSGPRsForWavesPerEU: 18
; NumVGPRsForWavesPerEU: 17
; Occupancy: 15
; WaveLimiterHint : 1
; COMPUTE_PGM_RSRC2:SCRATCH_EN: 0
; COMPUTE_PGM_RSRC2:USER_SGPR: 15
; COMPUTE_PGM_RSRC2:TRAP_HANDLER: 0
; COMPUTE_PGM_RSRC2:TGID_X_EN: 1
; COMPUTE_PGM_RSRC2:TGID_Y_EN: 0
; COMPUTE_PGM_RSRC2:TGID_Z_EN: 0
; COMPUTE_PGM_RSRC2:TIDIG_COMP_CNT: 0
	.section	.text._ZN9rocsparseL20bsrxmvn_17_32_kernelILj18E21rocsparse_complex_numIfEiiS2_S2_S2_EEvT2_20rocsparse_direction_NS_24const_host_device_scalarIT0_EES3_PKS3_PKT1_SC_S9_PKT3_PKT4_S7_PT5_21rocsparse_index_base_b,"axG",@progbits,_ZN9rocsparseL20bsrxmvn_17_32_kernelILj18E21rocsparse_complex_numIfEiiS2_S2_S2_EEvT2_20rocsparse_direction_NS_24const_host_device_scalarIT0_EES3_PKS3_PKT1_SC_S9_PKT3_PKT4_S7_PT5_21rocsparse_index_base_b,comdat
	.globl	_ZN9rocsparseL20bsrxmvn_17_32_kernelILj18E21rocsparse_complex_numIfEiiS2_S2_S2_EEvT2_20rocsparse_direction_NS_24const_host_device_scalarIT0_EES3_PKS3_PKT1_SC_S9_PKT3_PKT4_S7_PT5_21rocsparse_index_base_b ; -- Begin function _ZN9rocsparseL20bsrxmvn_17_32_kernelILj18E21rocsparse_complex_numIfEiiS2_S2_S2_EEvT2_20rocsparse_direction_NS_24const_host_device_scalarIT0_EES3_PKS3_PKT1_SC_S9_PKT3_PKT4_S7_PT5_21rocsparse_index_base_b
	.p2align	8
	.type	_ZN9rocsparseL20bsrxmvn_17_32_kernelILj18E21rocsparse_complex_numIfEiiS2_S2_S2_EEvT2_20rocsparse_direction_NS_24const_host_device_scalarIT0_EES3_PKS3_PKT1_SC_S9_PKT3_PKT4_S7_PT5_21rocsparse_index_base_b,@function
_ZN9rocsparseL20bsrxmvn_17_32_kernelILj18E21rocsparse_complex_numIfEiiS2_S2_S2_EEvT2_20rocsparse_direction_NS_24const_host_device_scalarIT0_EES3_PKS3_PKT1_SC_S9_PKT3_PKT4_S7_PT5_21rocsparse_index_base_b: ; @_ZN9rocsparseL20bsrxmvn_17_32_kernelILj18E21rocsparse_complex_numIfEiiS2_S2_S2_EEvT2_20rocsparse_direction_NS_24const_host_device_scalarIT0_EES3_PKS3_PKT1_SC_S9_PKT3_PKT4_S7_PT5_21rocsparse_index_base_b
; %bb.0:
	s_clause 0x2
	s_load_b64 s[10:11], s[0:1], 0x58
	s_load_b64 s[4:5], s[0:1], 0x8
	;; [unrolled: 1-line block ×3, first 2 shown]
	s_mov_b32 s8, s15
	s_waitcnt lgkmcnt(0)
	s_bitcmp1_b32 s11, 0
	v_mov_b32_e32 v10, s4
	s_cselect_b32 s6, -1, 0
	s_delay_alu instid0(SALU_CYCLE_1)
	s_and_b32 vcc_lo, exec_lo, s6
	s_xor_b32 s6, s6, -1
	s_cbranch_vccz .LBB33_15
; %bb.1:
	v_cndmask_b32_e64 v1, 0, 1, s6
	v_mov_b32_e32 v11, s5
	s_and_not1_b32 vcc_lo, exec_lo, s6
	s_cbranch_vccz .LBB33_16
.LBB33_2:
	s_delay_alu instid0(VALU_DEP_2)
	v_cmp_ne_u32_e32 vcc_lo, 1, v1
	v_mov_b32_e32 v8, s2
	s_cbranch_vccz .LBB33_17
.LBB33_3:
	v_cmp_ne_u32_e32 vcc_lo, 1, v1
	v_mov_b32_e32 v9, s3
	s_cbranch_vccnz .LBB33_5
.LBB33_4:
	v_dual_mov_b32 v1, s2 :: v_dual_mov_b32 v2, s3
	flat_load_b32 v9, v[1:2] offset:4
.LBB33_5:
	s_waitcnt vmcnt(0) lgkmcnt(0)
	v_cmp_eq_f32_e32 vcc_lo, 0, v10
	v_cmp_eq_f32_e64 s2, 0, v11
	s_delay_alu instid0(VALU_DEP_1)
	s_and_b32 s4, vcc_lo, s2
	s_mov_b32 s2, -1
	s_and_saveexec_b32 s3, s4
; %bb.6:
	v_cmp_neq_f32_e32 vcc_lo, 1.0, v8
	v_cmp_neq_f32_e64 s2, 0, v9
	s_delay_alu instid0(VALU_DEP_1) | instskip(NEXT) | instid1(SALU_CYCLE_1)
	s_or_b32 s2, vcc_lo, s2
	s_or_not1_b32 s2, s2, exec_lo
; %bb.7:
	s_or_b32 exec_lo, exec_lo, s3
	s_and_saveexec_b32 s3, s2
	s_cbranch_execz .LBB33_44
; %bb.8:
	s_clause 0x1
	s_load_b128 s[4:7], s[0:1], 0x18
	s_load_b64 s[2:3], s[0:1], 0x28
	s_waitcnt lgkmcnt(0)
	s_cmp_eq_u64 s[4:5], 0
	s_cbranch_scc1 .LBB33_10
; %bb.9:
	s_ashr_i32 s9, s8, 31
	s_delay_alu instid0(SALU_CYCLE_1) | instskip(NEXT) | instid1(SALU_CYCLE_1)
	s_lshl_b64 s[8:9], s[8:9], 2
	s_add_u32 s4, s4, s8
	s_addc_u32 s5, s5, s9
	s_load_b32 s4, s[4:5], 0x0
	s_waitcnt lgkmcnt(0)
	s_sub_i32 s8, s4, s10
.LBB33_10:
	s_load_b32 s4, s[0:1], 0x4
	v_mul_u32_u24_e32 v1, 0xe39, v0
	v_mov_b32_e32 v2, 0
	v_lshlrev_b32_e32 v12, 3, v0
	s_delay_alu instid0(VALU_DEP_3) | instskip(NEXT) | instid1(VALU_DEP_1)
	v_lshrrev_b32_e32 v3, 16, v1
	v_mul_lo_u16 v1, v3, 18
	s_delay_alu instid0(VALU_DEP_1)
	v_sub_nc_u16 v13, v0, v1
	v_mov_b32_e32 v1, 0
	s_waitcnt lgkmcnt(0)
	s_cmp_eq_u32 s4, 1
	s_cselect_b32 vcc_lo, -1, 0
	s_cmp_lg_u32 s4, 1
	s_cselect_b32 s11, -1, 0
	s_ashr_i32 s9, s8, 31
	s_delay_alu instid0(SALU_CYCLE_1) | instskip(NEXT) | instid1(SALU_CYCLE_1)
	s_lshl_b64 s[4:5], s[8:9], 2
	s_add_u32 s6, s6, s4
	s_addc_u32 s7, s7, s5
	s_add_u32 s9, s6, 4
	s_addc_u32 s12, s7, 0
	s_add_u32 s4, s2, s4
	s_addc_u32 s5, s3, s5
	s_cmp_eq_u64 s[2:3], 0
	s_cselect_b32 s3, s12, s5
	s_cselect_b32 s2, s9, s4
	s_load_b32 s12, s[6:7], 0x0
	s_load_b32 s9, s[2:3], 0x0
	s_load_b64 s[2:3], s[0:1], 0x50
	s_waitcnt lgkmcnt(0)
	s_cmp_ge_i32 s12, s9
	s_cbranch_scc1 .LBB33_18
; %bb.11:
	v_mul_lo_u16 v1, v3, 15
	s_clause 0x1
	s_load_b128 s[4:7], s[0:1], 0x30
	s_load_b64 s[0:1], s[0:1], 0x40
	v_and_b32_e32 v5, 0xffff, v13
	s_sub_i32 s12, s12, s10
	v_lshrrev_b16 v1, 8, v1
	s_mul_i32 s14, s12, 0xa20
	s_sub_i32 s9, s9, s10
	s_mul_hi_i32 s13, s12, 0xa20
	s_delay_alu instid0(VALU_DEP_1) | instskip(NEXT) | instid1(VALU_DEP_1)
	v_mul_lo_u16 v1, v1, 18
	v_sub_nc_u16 v1, v3, v1
	s_delay_alu instid0(VALU_DEP_1)
	v_and_b32_e32 v1, 0xff, v1
	v_and_b32_e32 v2, 0xffff, v0
	s_waitcnt lgkmcnt(0)
	s_add_u32 s6, s6, s14
	s_addc_u32 s7, s7, s13
	v_cndmask_b32_e32 v5, v5, v1, vcc_lo
	v_mul_u32_u24_e32 v6, 0x195, v2
	v_mov_b32_e32 v2, 0
	v_lshlrev_b32_e32 v4, 3, v0
	s_delay_alu instid0(VALU_DEP_3) | instskip(NEXT) | instid1(VALU_DEP_3)
	v_lshrrev_b32_e32 v14, 17, v6
	v_mov_b32_e32 v1, v2
	s_delay_alu instid0(VALU_DEP_3) | instskip(NEXT) | instid1(VALU_DEP_1)
	v_add_co_u32 v3, s6, s6, v4
	v_add_co_ci_u32_e64 v4, null, s7, 0, s6
	s_set_inst_prefetch_distance 0x1
	s_branch .LBB33_13
	.p2align	6
.LBB33_12:                              ;   in Loop: Header=BB33_13 Depth=1
	s_or_b32 exec_lo, exec_lo, s6
	s_add_i32 s12, s12, 1
	s_delay_alu instid0(SALU_CYCLE_1)
	s_cmp_lt_i32 s12, s9
	s_cbranch_scc0 .LBB33_18
.LBB33_13:                              ; =>This Inner Loop Header: Depth=1
	v_add_nc_u32_e32 v6, s12, v14
	s_mov_b32 s6, exec_lo
	s_delay_alu instid0(VALU_DEP_1)
	v_cmpx_gt_i32_e64 s9, v6
	s_cbranch_execz .LBB33_12
; %bb.14:                               ;   in Loop: Header=BB33_13 Depth=1
	v_ashrrev_i32_e32 v7, 31, v6
	s_delay_alu instid0(VALU_DEP_1) | instskip(NEXT) | instid1(VALU_DEP_1)
	v_lshlrev_b64 v[6:7], 2, v[6:7]
	v_add_co_u32 v6, vcc_lo, s4, v6
	s_delay_alu instid0(VALU_DEP_2) | instskip(SKIP_3) | instid1(VALU_DEP_1)
	v_add_co_ci_u32_e32 v7, vcc_lo, s5, v7, vcc_lo
	global_load_b32 v6, v[6:7], off
	s_waitcnt vmcnt(0)
	v_subrev_nc_u32_e32 v15, s10, v6
	v_mad_u64_u32 v[6:7], null, v15, 18, v[5:6]
	s_delay_alu instid0(VALU_DEP_1) | instskip(NEXT) | instid1(VALU_DEP_1)
	v_ashrrev_i32_e32 v7, 31, v6
	v_lshlrev_b64 v[6:7], 3, v[6:7]
	s_delay_alu instid0(VALU_DEP_1) | instskip(NEXT) | instid1(VALU_DEP_2)
	v_add_co_u32 v6, vcc_lo, s0, v6
	v_add_co_ci_u32_e32 v7, vcc_lo, s1, v7, vcc_lo
	global_load_b64 v[15:16], v[3:4], off
	global_load_b64 v[6:7], v[6:7], off
	v_add_co_u32 v3, vcc_lo, 0xa20, v3
	v_add_co_ci_u32_e32 v4, vcc_lo, 0, v4, vcc_lo
	s_waitcnt vmcnt(0)
	v_fmac_f32_e32 v1, v15, v6
	v_fmac_f32_e32 v2, v16, v6
	s_delay_alu instid0(VALU_DEP_2) | instskip(NEXT) | instid1(VALU_DEP_2)
	v_fma_f32 v1, -v16, v7, v1
	v_fmac_f32_e32 v2, v15, v7
	s_branch .LBB33_12
.LBB33_15:
	v_dual_mov_b32 v1, s4 :: v_dual_mov_b32 v2, s5
	flat_load_b32 v10, v[1:2]
	v_cndmask_b32_e64 v1, 0, 1, s6
	v_mov_b32_e32 v11, s5
	s_and_not1_b32 vcc_lo, exec_lo, s6
	s_cbranch_vccnz .LBB33_2
.LBB33_16:
	v_dual_mov_b32 v2, s4 :: v_dual_mov_b32 v3, s5
	flat_load_b32 v11, v[2:3] offset:4
	v_cmp_ne_u32_e32 vcc_lo, 1, v1
	v_mov_b32_e32 v8, s2
	s_cbranch_vccnz .LBB33_3
.LBB33_17:
	v_dual_mov_b32 v2, s2 :: v_dual_mov_b32 v3, s3
	flat_load_b32 v8, v[2:3]
	v_cmp_ne_u32_e32 vcc_lo, 1, v1
	v_mov_b32_e32 v9, s3
	s_cbranch_vccz .LBB33_4
	s_branch .LBB33_5
.LBB33_18:
	s_set_inst_prefetch_distance 0x2
	s_and_b32 vcc_lo, exec_lo, s11
	ds_store_b64 v12, v[1:2]
	s_waitcnt lgkmcnt(0)
	s_barrier
	buffer_gl0_inv
	s_cbranch_vccz .LBB33_30
; %bb.19:
	v_cmp_gt_u16_e32 vcc_lo, 2, v13
	s_and_saveexec_b32 s0, vcc_lo
	s_cbranch_execz .LBB33_21
; %bb.20:
	ds_load_2addr_b64 v[3:6], v12 offset1:16
	s_waitcnt lgkmcnt(0)
	v_dual_add_f32 v3, v5, v3 :: v_dual_add_f32 v4, v6, v4
	ds_store_b64 v12, v[3:4]
.LBB33_21:
	s_or_b32 exec_lo, exec_lo, s0
	s_delay_alu instid0(SALU_CYCLE_1)
	s_mov_b32 s1, exec_lo
	s_waitcnt lgkmcnt(0)
	s_barrier
	buffer_gl0_inv
	v_cmpx_gt_u16_e32 8, v13
	s_cbranch_execz .LBB33_23
; %bb.22:
	ds_load_2addr_b64 v[3:6], v12 offset1:8
	s_waitcnt lgkmcnt(0)
	v_dual_add_f32 v3, v5, v3 :: v_dual_add_f32 v4, v6, v4
	ds_store_b64 v12, v[3:4]
.LBB33_23:
	s_or_b32 exec_lo, exec_lo, s1
	s_delay_alu instid0(SALU_CYCLE_1)
	s_mov_b32 s1, exec_lo
	s_waitcnt lgkmcnt(0)
	s_barrier
	buffer_gl0_inv
	v_cmpx_gt_u16_e32 4, v13
	s_cbranch_execz .LBB33_25
; %bb.24:
	ds_load_2addr_b64 v[3:6], v12 offset1:4
	s_waitcnt lgkmcnt(0)
	v_dual_add_f32 v3, v5, v3 :: v_dual_add_f32 v4, v6, v4
	ds_store_b64 v12, v[3:4]
.LBB33_25:
	s_or_b32 exec_lo, exec_lo, s1
	s_waitcnt lgkmcnt(0)
	s_barrier
	buffer_gl0_inv
	s_and_saveexec_b32 s0, vcc_lo
	s_cbranch_execz .LBB33_27
; %bb.26:
	ds_load_2addr_b64 v[3:6], v12 offset1:2
	s_waitcnt lgkmcnt(0)
	v_dual_add_f32 v3, v5, v3 :: v_dual_add_f32 v4, v6, v4
	ds_store_b64 v12, v[3:4]
.LBB33_27:
	s_or_b32 exec_lo, exec_lo, s0
	s_mov_b32 s0, 0
	s_mov_b32 s1, 0
	s_mov_b32 s4, exec_lo
	s_waitcnt lgkmcnt(0)
	s_barrier
	buffer_gl0_inv
                                        ; implicit-def: $vgpr4
                                        ; implicit-def: $vgpr3
	v_cmpx_gt_u32_e32 18, v0
	s_xor_b32 s4, exec_lo, s4
; %bb.28:
	v_mul_u32_u24_e32 v3, 18, v0
	s_mov_b32 s1, exec_lo
	s_delay_alu instid0(VALU_DEP_1)
	v_lshlrev_b32_e32 v4, 3, v3
	v_or_b32_e32 v3, 1, v3
; %bb.29:
	s_or_b32 exec_lo, exec_lo, s4
	s_delay_alu instid0(SALU_CYCLE_1)
	s_and_b32 vcc_lo, exec_lo, s0
	s_cbranch_vccnz .LBB33_31
	s_branch .LBB33_42
.LBB33_30:
	s_mov_b32 s1, 0
                                        ; implicit-def: $vgpr4
                                        ; implicit-def: $vgpr3
	s_cbranch_execz .LBB33_42
.LBB33_31:
	v_cmp_gt_u32_e32 vcc_lo, 36, v0
	s_and_saveexec_b32 s0, vcc_lo
	s_cbranch_execz .LBB33_33
; %bb.32:
	ds_load_b64 v[3:4], v12 offset:2304
	ds_load_b64 v[5:6], v12
	s_waitcnt lgkmcnt(0)
	v_dual_add_f32 v3, v3, v5 :: v_dual_add_f32 v4, v4, v6
	ds_store_b64 v12, v[3:4]
.LBB33_33:
	s_or_b32 exec_lo, exec_lo, s0
	s_delay_alu instid0(SALU_CYCLE_1)
	s_mov_b32 s4, exec_lo
	s_waitcnt lgkmcnt(0)
	s_barrier
	buffer_gl0_inv
	v_cmpx_gt_u32_e32 0x90, v0
	s_cbranch_execz .LBB33_35
; %bb.34:
	ds_load_2addr_b64 v[3:6], v12 offset1:144
	s_waitcnt lgkmcnt(0)
	v_dual_add_f32 v3, v5, v3 :: v_dual_add_f32 v4, v6, v4
	ds_store_b64 v12, v[3:4]
.LBB33_35:
	s_or_b32 exec_lo, exec_lo, s4
	s_delay_alu instid0(SALU_CYCLE_1)
	s_mov_b32 s4, exec_lo
	s_waitcnt lgkmcnt(0)
	s_barrier
	buffer_gl0_inv
	v_cmpx_gt_u32_e32 0x48, v0
	s_cbranch_execz .LBB33_37
; %bb.36:
	ds_load_2addr_b64 v[3:6], v12 offset1:72
	s_waitcnt lgkmcnt(0)
	v_dual_add_f32 v3, v5, v3 :: v_dual_add_f32 v4, v6, v4
	ds_store_b64 v12, v[3:4]
.LBB33_37:
	s_or_b32 exec_lo, exec_lo, s4
	s_waitcnt lgkmcnt(0)
	s_barrier
	buffer_gl0_inv
	s_and_saveexec_b32 s0, vcc_lo
	s_cbranch_execz .LBB33_39
; %bb.38:
	ds_load_2addr_b64 v[3:6], v12 offset1:36
	s_waitcnt lgkmcnt(0)
	v_dual_add_f32 v3, v5, v3 :: v_dual_add_f32 v4, v6, v4
	ds_store_b64 v12, v[3:4]
.LBB33_39:
	s_or_b32 exec_lo, exec_lo, s0
	s_delay_alu instid0(SALU_CYCLE_1)
	s_mov_b32 s0, exec_lo
	s_waitcnt lgkmcnt(0)
	buffer_gl0_inv
                                        ; implicit-def: $vgpr3
	v_cmpx_gt_u32_e32 18, v0
; %bb.40:
	v_add_nc_u32_e32 v3, 18, v0
	s_or_b32 s1, s1, exec_lo
                                        ; implicit-def: $vgpr2
; %bb.41:
	s_or_b32 exec_lo, exec_lo, s0
	v_mov_b32_e32 v4, v12
.LBB33_42:
	s_and_saveexec_b32 s0, s1
	s_cbranch_execnz .LBB33_45
; %bb.43:
	s_or_b32 exec_lo, exec_lo, s0
	v_cmp_gt_u32_e32 vcc_lo, 18, v0
	s_and_b32 exec_lo, exec_lo, vcc_lo
	s_cbranch_execnz .LBB33_46
.LBB33_44:
	s_nop 0
	s_sendmsg sendmsg(MSG_DEALLOC_VGPRS)
	s_endpgm
.LBB33_45:
	v_lshlrev_b32_e32 v3, 3, v3
	ds_load_2addr_b32 v[1:2], v4 offset1:1
	ds_load_b64 v[3:4], v3
	s_waitcnt lgkmcnt(0)
	v_dual_add_f32 v2, v4, v2 :: v_dual_add_f32 v1, v3, v1
	s_or_b32 exec_lo, exec_lo, s0
	v_cmp_gt_u32_e32 vcc_lo, 18, v0
	s_and_b32 exec_lo, exec_lo, vcc_lo
	s_cbranch_execz .LBB33_44
.LBB33_46:
	v_mul_f32_e64 v3, v2, -v11
	v_mul_f32_e32 v4, v2, v10
	v_cmp_eq_f32_e32 vcc_lo, 0, v8
	v_cmp_eq_f32_e64 s0, 0, v9
	s_delay_alu instid0(VALU_DEP_4) | instskip(NEXT) | instid1(VALU_DEP_4)
	v_fmac_f32_e32 v3, v10, v1
	v_fmac_f32_e32 v4, v11, v1
	s_delay_alu instid0(VALU_DEP_3) | instskip(NEXT) | instid1(SALU_CYCLE_1)
	s_and_b32 s0, vcc_lo, s0
	s_and_saveexec_b32 s1, s0
	s_delay_alu instid0(SALU_CYCLE_1)
	s_xor_b32 s0, exec_lo, s1
	s_cbranch_execz .LBB33_48
; %bb.47:
	v_mad_u64_u32 v[1:2], null, s8, 18, v[0:1]
	v_mov_b32_e32 v2, 0
                                        ; implicit-def: $vgpr8
                                        ; implicit-def: $vgpr9
	s_delay_alu instid0(VALU_DEP_1) | instskip(NEXT) | instid1(VALU_DEP_1)
	v_lshlrev_b64 v[0:1], 3, v[1:2]
	v_add_co_u32 v0, vcc_lo, s2, v0
	s_delay_alu instid0(VALU_DEP_2)
	v_add_co_ci_u32_e32 v1, vcc_lo, s3, v1, vcc_lo
	global_store_b64 v[0:1], v[3:4], off
                                        ; implicit-def: $vgpr0
                                        ; implicit-def: $vgpr3
.LBB33_48:
	s_and_not1_saveexec_b32 s0, s0
	s_cbranch_execz .LBB33_44
; %bb.49:
	v_mad_u64_u32 v[1:2], null, s8, 18, v[0:1]
	v_mov_b32_e32 v2, 0
	s_delay_alu instid0(VALU_DEP_1) | instskip(NEXT) | instid1(VALU_DEP_1)
	v_lshlrev_b64 v[0:1], 3, v[1:2]
	v_add_co_u32 v0, vcc_lo, s2, v0
	s_delay_alu instid0(VALU_DEP_2) | instskip(SKIP_4) | instid1(VALU_DEP_2)
	v_add_co_ci_u32_e32 v1, vcc_lo, s3, v1, vcc_lo
	global_load_b64 v[5:6], v[0:1], off
	s_waitcnt vmcnt(0)
	v_fmac_f32_e32 v3, v8, v5
	v_fmac_f32_e32 v4, v9, v5
	v_fma_f32 v3, -v9, v6, v3
	s_delay_alu instid0(VALU_DEP_2)
	v_fmac_f32_e32 v4, v8, v6
	global_store_b64 v[0:1], v[3:4], off
	s_nop 0
	s_sendmsg sendmsg(MSG_DEALLOC_VGPRS)
	s_endpgm
	.section	.rodata,"a",@progbits
	.p2align	6, 0x0
	.amdhsa_kernel _ZN9rocsparseL20bsrxmvn_17_32_kernelILj18E21rocsparse_complex_numIfEiiS2_S2_S2_EEvT2_20rocsparse_direction_NS_24const_host_device_scalarIT0_EES3_PKS3_PKT1_SC_S9_PKT3_PKT4_S7_PT5_21rocsparse_index_base_b
		.amdhsa_group_segment_fixed_size 2592
		.amdhsa_private_segment_fixed_size 0
		.amdhsa_kernarg_size 96
		.amdhsa_user_sgpr_count 15
		.amdhsa_user_sgpr_dispatch_ptr 0
		.amdhsa_user_sgpr_queue_ptr 0
		.amdhsa_user_sgpr_kernarg_segment_ptr 1
		.amdhsa_user_sgpr_dispatch_id 0
		.amdhsa_user_sgpr_private_segment_size 0
		.amdhsa_wavefront_size32 1
		.amdhsa_uses_dynamic_stack 0
		.amdhsa_enable_private_segment 0
		.amdhsa_system_sgpr_workgroup_id_x 1
		.amdhsa_system_sgpr_workgroup_id_y 0
		.amdhsa_system_sgpr_workgroup_id_z 0
		.amdhsa_system_sgpr_workgroup_info 0
		.amdhsa_system_vgpr_workitem_id 0
		.amdhsa_next_free_vgpr 17
		.amdhsa_next_free_sgpr 16
		.amdhsa_reserve_vcc 1
		.amdhsa_float_round_mode_32 0
		.amdhsa_float_round_mode_16_64 0
		.amdhsa_float_denorm_mode_32 3
		.amdhsa_float_denorm_mode_16_64 3
		.amdhsa_dx10_clamp 1
		.amdhsa_ieee_mode 1
		.amdhsa_fp16_overflow 0
		.amdhsa_workgroup_processor_mode 1
		.amdhsa_memory_ordered 1
		.amdhsa_forward_progress 0
		.amdhsa_shared_vgpr_count 0
		.amdhsa_exception_fp_ieee_invalid_op 0
		.amdhsa_exception_fp_denorm_src 0
		.amdhsa_exception_fp_ieee_div_zero 0
		.amdhsa_exception_fp_ieee_overflow 0
		.amdhsa_exception_fp_ieee_underflow 0
		.amdhsa_exception_fp_ieee_inexact 0
		.amdhsa_exception_int_div_zero 0
	.end_amdhsa_kernel
	.section	.text._ZN9rocsparseL20bsrxmvn_17_32_kernelILj18E21rocsparse_complex_numIfEiiS2_S2_S2_EEvT2_20rocsparse_direction_NS_24const_host_device_scalarIT0_EES3_PKS3_PKT1_SC_S9_PKT3_PKT4_S7_PT5_21rocsparse_index_base_b,"axG",@progbits,_ZN9rocsparseL20bsrxmvn_17_32_kernelILj18E21rocsparse_complex_numIfEiiS2_S2_S2_EEvT2_20rocsparse_direction_NS_24const_host_device_scalarIT0_EES3_PKS3_PKT1_SC_S9_PKT3_PKT4_S7_PT5_21rocsparse_index_base_b,comdat
.Lfunc_end33:
	.size	_ZN9rocsparseL20bsrxmvn_17_32_kernelILj18E21rocsparse_complex_numIfEiiS2_S2_S2_EEvT2_20rocsparse_direction_NS_24const_host_device_scalarIT0_EES3_PKS3_PKT1_SC_S9_PKT3_PKT4_S7_PT5_21rocsparse_index_base_b, .Lfunc_end33-_ZN9rocsparseL20bsrxmvn_17_32_kernelILj18E21rocsparse_complex_numIfEiiS2_S2_S2_EEvT2_20rocsparse_direction_NS_24const_host_device_scalarIT0_EES3_PKS3_PKT1_SC_S9_PKT3_PKT4_S7_PT5_21rocsparse_index_base_b
                                        ; -- End function
	.section	.AMDGPU.csdata,"",@progbits
; Kernel info:
; codeLenInByte = 1824
; NumSgprs: 18
; NumVgprs: 17
; ScratchSize: 0
; MemoryBound: 0
; FloatMode: 240
; IeeeMode: 1
; LDSByteSize: 2592 bytes/workgroup (compile time only)
; SGPRBlocks: 2
; VGPRBlocks: 2
; NumSGPRsForWavesPerEU: 18
; NumVGPRsForWavesPerEU: 17
; Occupancy: 14
; WaveLimiterHint : 1
; COMPUTE_PGM_RSRC2:SCRATCH_EN: 0
; COMPUTE_PGM_RSRC2:USER_SGPR: 15
; COMPUTE_PGM_RSRC2:TRAP_HANDLER: 0
; COMPUTE_PGM_RSRC2:TGID_X_EN: 1
; COMPUTE_PGM_RSRC2:TGID_Y_EN: 0
; COMPUTE_PGM_RSRC2:TGID_Z_EN: 0
; COMPUTE_PGM_RSRC2:TIDIG_COMP_CNT: 0
	.section	.text._ZN9rocsparseL20bsrxmvn_17_32_kernelILj19E21rocsparse_complex_numIfEiiS2_S2_S2_EEvT2_20rocsparse_direction_NS_24const_host_device_scalarIT0_EES3_PKS3_PKT1_SC_S9_PKT3_PKT4_S7_PT5_21rocsparse_index_base_b,"axG",@progbits,_ZN9rocsparseL20bsrxmvn_17_32_kernelILj19E21rocsparse_complex_numIfEiiS2_S2_S2_EEvT2_20rocsparse_direction_NS_24const_host_device_scalarIT0_EES3_PKS3_PKT1_SC_S9_PKT3_PKT4_S7_PT5_21rocsparse_index_base_b,comdat
	.globl	_ZN9rocsparseL20bsrxmvn_17_32_kernelILj19E21rocsparse_complex_numIfEiiS2_S2_S2_EEvT2_20rocsparse_direction_NS_24const_host_device_scalarIT0_EES3_PKS3_PKT1_SC_S9_PKT3_PKT4_S7_PT5_21rocsparse_index_base_b ; -- Begin function _ZN9rocsparseL20bsrxmvn_17_32_kernelILj19E21rocsparse_complex_numIfEiiS2_S2_S2_EEvT2_20rocsparse_direction_NS_24const_host_device_scalarIT0_EES3_PKS3_PKT1_SC_S9_PKT3_PKT4_S7_PT5_21rocsparse_index_base_b
	.p2align	8
	.type	_ZN9rocsparseL20bsrxmvn_17_32_kernelILj19E21rocsparse_complex_numIfEiiS2_S2_S2_EEvT2_20rocsparse_direction_NS_24const_host_device_scalarIT0_EES3_PKS3_PKT1_SC_S9_PKT3_PKT4_S7_PT5_21rocsparse_index_base_b,@function
_ZN9rocsparseL20bsrxmvn_17_32_kernelILj19E21rocsparse_complex_numIfEiiS2_S2_S2_EEvT2_20rocsparse_direction_NS_24const_host_device_scalarIT0_EES3_PKS3_PKT1_SC_S9_PKT3_PKT4_S7_PT5_21rocsparse_index_base_b: ; @_ZN9rocsparseL20bsrxmvn_17_32_kernelILj19E21rocsparse_complex_numIfEiiS2_S2_S2_EEvT2_20rocsparse_direction_NS_24const_host_device_scalarIT0_EES3_PKS3_PKT1_SC_S9_PKT3_PKT4_S7_PT5_21rocsparse_index_base_b
; %bb.0:
	s_clause 0x2
	s_load_b64 s[10:11], s[0:1], 0x58
	s_load_b64 s[4:5], s[0:1], 0x8
	;; [unrolled: 1-line block ×3, first 2 shown]
	s_mov_b32 s8, s15
	s_waitcnt lgkmcnt(0)
	s_bitcmp1_b32 s11, 0
	v_mov_b32_e32 v10, s4
	s_cselect_b32 s6, -1, 0
	s_delay_alu instid0(SALU_CYCLE_1)
	s_and_b32 vcc_lo, exec_lo, s6
	s_xor_b32 s6, s6, -1
	s_cbranch_vccz .LBB34_15
; %bb.1:
	v_cndmask_b32_e64 v1, 0, 1, s6
	v_mov_b32_e32 v11, s5
	s_and_not1_b32 vcc_lo, exec_lo, s6
	s_cbranch_vccz .LBB34_16
.LBB34_2:
	s_delay_alu instid0(VALU_DEP_2)
	v_cmp_ne_u32_e32 vcc_lo, 1, v1
	v_mov_b32_e32 v8, s2
	s_cbranch_vccz .LBB34_17
.LBB34_3:
	v_cmp_ne_u32_e32 vcc_lo, 1, v1
	v_mov_b32_e32 v9, s3
	s_cbranch_vccnz .LBB34_5
.LBB34_4:
	v_dual_mov_b32 v1, s2 :: v_dual_mov_b32 v2, s3
	flat_load_b32 v9, v[1:2] offset:4
.LBB34_5:
	s_waitcnt vmcnt(0) lgkmcnt(0)
	v_cmp_eq_f32_e32 vcc_lo, 0, v10
	v_cmp_eq_f32_e64 s2, 0, v11
	s_delay_alu instid0(VALU_DEP_1)
	s_and_b32 s4, vcc_lo, s2
	s_mov_b32 s2, -1
	s_and_saveexec_b32 s3, s4
; %bb.6:
	v_cmp_neq_f32_e32 vcc_lo, 1.0, v8
	v_cmp_neq_f32_e64 s2, 0, v9
	s_delay_alu instid0(VALU_DEP_1) | instskip(NEXT) | instid1(SALU_CYCLE_1)
	s_or_b32 s2, vcc_lo, s2
	s_or_not1_b32 s2, s2, exec_lo
; %bb.7:
	s_or_b32 exec_lo, exec_lo, s3
	s_and_saveexec_b32 s3, s2
	s_cbranch_execz .LBB34_44
; %bb.8:
	s_clause 0x1
	s_load_b128 s[4:7], s[0:1], 0x18
	s_load_b64 s[2:3], s[0:1], 0x28
	s_waitcnt lgkmcnt(0)
	s_cmp_eq_u64 s[4:5], 0
	s_cbranch_scc1 .LBB34_10
; %bb.9:
	s_ashr_i32 s9, s8, 31
	s_delay_alu instid0(SALU_CYCLE_1) | instskip(NEXT) | instid1(SALU_CYCLE_1)
	s_lshl_b64 s[8:9], s[8:9], 2
	s_add_u32 s4, s4, s8
	s_addc_u32 s5, s5, s9
	s_load_b32 s4, s[4:5], 0x0
	s_waitcnt lgkmcnt(0)
	s_sub_i32 s8, s4, s10
.LBB34_10:
	s_load_b32 s4, s[0:1], 0x4
	v_mul_u32_u24_e32 v1, 0xd7a, v0
	v_mov_b32_e32 v2, 0
	v_lshlrev_b32_e32 v12, 3, v0
	s_delay_alu instid0(VALU_DEP_3) | instskip(NEXT) | instid1(VALU_DEP_1)
	v_lshrrev_b32_e32 v3, 16, v1
	v_mul_lo_u16 v1, v3, 19
	s_delay_alu instid0(VALU_DEP_1)
	v_sub_nc_u16 v13, v0, v1
	v_mov_b32_e32 v1, 0
	s_waitcnt lgkmcnt(0)
	s_cmp_eq_u32 s4, 1
	s_cselect_b32 vcc_lo, -1, 0
	s_cmp_lg_u32 s4, 1
	s_cselect_b32 s11, -1, 0
	s_ashr_i32 s9, s8, 31
	s_delay_alu instid0(SALU_CYCLE_1) | instskip(NEXT) | instid1(SALU_CYCLE_1)
	s_lshl_b64 s[4:5], s[8:9], 2
	s_add_u32 s6, s6, s4
	s_addc_u32 s7, s7, s5
	s_add_u32 s9, s6, 4
	s_addc_u32 s12, s7, 0
	;; [unrolled: 2-line block ×3, first 2 shown]
	s_cmp_eq_u64 s[2:3], 0
	s_cselect_b32 s3, s12, s5
	s_cselect_b32 s2, s9, s4
	s_load_b32 s12, s[6:7], 0x0
	s_load_b32 s9, s[2:3], 0x0
	s_load_b64 s[2:3], s[0:1], 0x50
	s_waitcnt lgkmcnt(0)
	s_cmp_ge_i32 s12, s9
	s_cbranch_scc1 .LBB34_18
; %bb.11:
	v_mul_lo_u16 v1, v3, 14
	s_clause 0x1
	s_load_b128 s[4:7], s[0:1], 0x30
	s_load_b64 s[0:1], s[0:1], 0x40
	v_and_b32_e32 v5, 0xffff, v13
	s_sub_i32 s12, s12, s10
	v_lshrrev_b16 v1, 8, v1
	s_mul_i32 s14, s12, 0xb48
	s_sub_i32 s9, s9, s10
	s_mul_hi_i32 s13, s12, 0xb48
	s_delay_alu instid0(VALU_DEP_1) | instskip(NEXT) | instid1(VALU_DEP_1)
	v_mul_lo_u16 v1, v1, 19
	v_sub_nc_u16 v1, v3, v1
	s_delay_alu instid0(VALU_DEP_1)
	v_and_b32_e32 v1, 0xff, v1
	v_and_b32_e32 v2, 0xffff, v0
	s_waitcnt lgkmcnt(0)
	s_add_u32 s6, s6, s14
	s_addc_u32 s7, s7, s13
	v_cndmask_b32_e32 v5, v5, v1, vcc_lo
	v_mul_u32_u24_e32 v6, 0xb6, v2
	v_mov_b32_e32 v2, 0
	v_lshlrev_b32_e32 v4, 3, v0
	s_delay_alu instid0(VALU_DEP_3) | instskip(NEXT) | instid1(VALU_DEP_3)
	v_lshrrev_b32_e32 v14, 16, v6
	v_mov_b32_e32 v1, v2
	s_delay_alu instid0(VALU_DEP_3) | instskip(NEXT) | instid1(VALU_DEP_1)
	v_add_co_u32 v3, s6, s6, v4
	v_add_co_ci_u32_e64 v4, null, s7, 0, s6
	s_set_inst_prefetch_distance 0x1
	s_branch .LBB34_13
	.p2align	6
.LBB34_12:                              ;   in Loop: Header=BB34_13 Depth=1
	s_or_b32 exec_lo, exec_lo, s6
	s_add_i32 s12, s12, 1
	s_delay_alu instid0(SALU_CYCLE_1)
	s_cmp_lt_i32 s12, s9
	s_cbranch_scc0 .LBB34_18
.LBB34_13:                              ; =>This Inner Loop Header: Depth=1
	v_add_nc_u32_e32 v6, s12, v14
	s_mov_b32 s6, exec_lo
	s_delay_alu instid0(VALU_DEP_1)
	v_cmpx_gt_i32_e64 s9, v6
	s_cbranch_execz .LBB34_12
; %bb.14:                               ;   in Loop: Header=BB34_13 Depth=1
	v_ashrrev_i32_e32 v7, 31, v6
	s_delay_alu instid0(VALU_DEP_1) | instskip(NEXT) | instid1(VALU_DEP_1)
	v_lshlrev_b64 v[6:7], 2, v[6:7]
	v_add_co_u32 v6, vcc_lo, s4, v6
	s_delay_alu instid0(VALU_DEP_2) | instskip(SKIP_3) | instid1(VALU_DEP_1)
	v_add_co_ci_u32_e32 v7, vcc_lo, s5, v7, vcc_lo
	global_load_b32 v6, v[6:7], off
	s_waitcnt vmcnt(0)
	v_subrev_nc_u32_e32 v15, s10, v6
	v_mad_u64_u32 v[6:7], null, v15, 19, v[5:6]
	s_delay_alu instid0(VALU_DEP_1) | instskip(NEXT) | instid1(VALU_DEP_1)
	v_ashrrev_i32_e32 v7, 31, v6
	v_lshlrev_b64 v[6:7], 3, v[6:7]
	s_delay_alu instid0(VALU_DEP_1) | instskip(NEXT) | instid1(VALU_DEP_2)
	v_add_co_u32 v6, vcc_lo, s0, v6
	v_add_co_ci_u32_e32 v7, vcc_lo, s1, v7, vcc_lo
	global_load_b64 v[15:16], v[3:4], off
	global_load_b64 v[6:7], v[6:7], off
	v_add_co_u32 v3, vcc_lo, 0xb48, v3
	v_add_co_ci_u32_e32 v4, vcc_lo, 0, v4, vcc_lo
	s_waitcnt vmcnt(0)
	v_fmac_f32_e32 v1, v15, v6
	v_fmac_f32_e32 v2, v16, v6
	s_delay_alu instid0(VALU_DEP_2) | instskip(NEXT) | instid1(VALU_DEP_2)
	v_fma_f32 v1, -v16, v7, v1
	v_fmac_f32_e32 v2, v15, v7
	s_branch .LBB34_12
.LBB34_15:
	v_dual_mov_b32 v1, s4 :: v_dual_mov_b32 v2, s5
	flat_load_b32 v10, v[1:2]
	v_cndmask_b32_e64 v1, 0, 1, s6
	v_mov_b32_e32 v11, s5
	s_and_not1_b32 vcc_lo, exec_lo, s6
	s_cbranch_vccnz .LBB34_2
.LBB34_16:
	v_dual_mov_b32 v2, s4 :: v_dual_mov_b32 v3, s5
	flat_load_b32 v11, v[2:3] offset:4
	v_cmp_ne_u32_e32 vcc_lo, 1, v1
	v_mov_b32_e32 v8, s2
	s_cbranch_vccnz .LBB34_3
.LBB34_17:
	v_dual_mov_b32 v2, s2 :: v_dual_mov_b32 v3, s3
	flat_load_b32 v8, v[2:3]
	v_cmp_ne_u32_e32 vcc_lo, 1, v1
	v_mov_b32_e32 v9, s3
	s_cbranch_vccz .LBB34_4
	s_branch .LBB34_5
.LBB34_18:
	s_set_inst_prefetch_distance 0x2
	s_and_b32 vcc_lo, exec_lo, s11
	ds_store_b64 v12, v[1:2]
	s_waitcnt lgkmcnt(0)
	s_barrier
	buffer_gl0_inv
	s_cbranch_vccz .LBB34_30
; %bb.19:
	s_mov_b32 s0, exec_lo
	v_cmpx_gt_u16_e32 3, v13
	s_cbranch_execz .LBB34_21
; %bb.20:
	ds_load_2addr_b64 v[3:6], v12 offset1:16
	s_waitcnt lgkmcnt(0)
	v_dual_add_f32 v3, v5, v3 :: v_dual_add_f32 v4, v6, v4
	ds_store_b64 v12, v[3:4]
.LBB34_21:
	s_or_b32 exec_lo, exec_lo, s0
	s_delay_alu instid0(SALU_CYCLE_1)
	s_mov_b32 s0, exec_lo
	s_waitcnt lgkmcnt(0)
	s_barrier
	buffer_gl0_inv
	v_cmpx_gt_u16_e32 8, v13
	s_cbranch_execz .LBB34_23
; %bb.22:
	ds_load_2addr_b64 v[3:6], v12 offset1:8
	s_waitcnt lgkmcnt(0)
	v_dual_add_f32 v3, v5, v3 :: v_dual_add_f32 v4, v6, v4
	ds_store_b64 v12, v[3:4]
.LBB34_23:
	s_or_b32 exec_lo, exec_lo, s0
	s_delay_alu instid0(SALU_CYCLE_1)
	s_mov_b32 s0, exec_lo
	s_waitcnt lgkmcnt(0)
	s_barrier
	buffer_gl0_inv
	;; [unrolled: 14-line block ×3, first 2 shown]
	v_cmpx_gt_u16_e32 2, v13
	s_cbranch_execz .LBB34_27
; %bb.26:
	ds_load_2addr_b64 v[3:6], v12 offset1:2
	s_waitcnt lgkmcnt(0)
	v_dual_add_f32 v3, v5, v3 :: v_dual_add_f32 v4, v6, v4
	ds_store_b64 v12, v[3:4]
.LBB34_27:
	s_or_b32 exec_lo, exec_lo, s0
	s_mov_b32 s1, 0
	s_mov_b32 s0, 0
	s_mov_b32 s4, exec_lo
	s_waitcnt lgkmcnt(0)
	s_barrier
	buffer_gl0_inv
                                        ; implicit-def: $vgpr4
                                        ; implicit-def: $vgpr3
	v_cmpx_gt_u32_e32 19, v0
	s_xor_b32 s4, exec_lo, s4
; %bb.28:
	v_mul_u32_u24_e32 v3, 19, v0
	s_mov_b32 s0, exec_lo
	s_delay_alu instid0(VALU_DEP_1)
	v_lshlrev_b32_e32 v4, 3, v3
	v_mad_u32_u24 v3, v0, 19, 1
; %bb.29:
	s_or_b32 exec_lo, exec_lo, s4
	s_delay_alu instid0(SALU_CYCLE_1)
	s_and_b32 vcc_lo, exec_lo, s1
	s_cbranch_vccnz .LBB34_31
	s_branch .LBB34_42
.LBB34_30:
	s_mov_b32 s0, 0
                                        ; implicit-def: $vgpr4
                                        ; implicit-def: $vgpr3
	s_cbranch_execz .LBB34_42
.LBB34_31:
	s_mov_b32 s1, exec_lo
	v_cmpx_gt_u32_e32 57, v0
	s_cbranch_execz .LBB34_33
; %bb.32:
	ds_load_b64 v[3:4], v12 offset:2432
	ds_load_b64 v[5:6], v12
	s_waitcnt lgkmcnt(0)
	v_dual_add_f32 v3, v3, v5 :: v_dual_add_f32 v4, v4, v6
	ds_store_b64 v12, v[3:4]
.LBB34_33:
	s_or_b32 exec_lo, exec_lo, s1
	s_delay_alu instid0(SALU_CYCLE_1)
	s_mov_b32 s1, exec_lo
	s_waitcnt lgkmcnt(0)
	s_barrier
	buffer_gl0_inv
	v_cmpx_gt_u32_e32 0x98, v0
	s_cbranch_execz .LBB34_35
; %bb.34:
	ds_load_2addr_b64 v[3:6], v12 offset1:152
	s_waitcnt lgkmcnt(0)
	v_dual_add_f32 v3, v5, v3 :: v_dual_add_f32 v4, v6, v4
	ds_store_b64 v12, v[3:4]
.LBB34_35:
	s_or_b32 exec_lo, exec_lo, s1
	s_delay_alu instid0(SALU_CYCLE_1)
	s_mov_b32 s1, exec_lo
	s_waitcnt lgkmcnt(0)
	s_barrier
	buffer_gl0_inv
	v_cmpx_gt_u32_e32 0x4c, v0
	s_cbranch_execz .LBB34_37
; %bb.36:
	ds_load_2addr_b64 v[3:6], v12 offset1:76
	s_waitcnt lgkmcnt(0)
	v_dual_add_f32 v3, v5, v3 :: v_dual_add_f32 v4, v6, v4
	ds_store_b64 v12, v[3:4]
.LBB34_37:
	;; [unrolled: 14-line block ×3, first 2 shown]
	s_or_b32 exec_lo, exec_lo, s1
	s_delay_alu instid0(SALU_CYCLE_1)
	s_mov_b32 s1, exec_lo
	s_waitcnt lgkmcnt(0)
	buffer_gl0_inv
                                        ; implicit-def: $vgpr3
	v_cmpx_gt_u32_e32 19, v0
; %bb.40:
	v_add_nc_u32_e32 v3, 19, v0
	s_or_b32 s0, s0, exec_lo
                                        ; implicit-def: $vgpr2
; %bb.41:
	s_or_b32 exec_lo, exec_lo, s1
	v_mov_b32_e32 v4, v12
.LBB34_42:
	s_and_saveexec_b32 s1, s0
	s_cbranch_execnz .LBB34_45
; %bb.43:
	s_or_b32 exec_lo, exec_lo, s1
	v_cmp_gt_u32_e32 vcc_lo, 19, v0
	s_and_b32 exec_lo, exec_lo, vcc_lo
	s_cbranch_execnz .LBB34_46
.LBB34_44:
	s_nop 0
	s_sendmsg sendmsg(MSG_DEALLOC_VGPRS)
	s_endpgm
.LBB34_45:
	v_lshlrev_b32_e32 v3, 3, v3
	ds_load_2addr_b32 v[1:2], v4 offset1:1
	ds_load_b64 v[3:4], v3
	s_waitcnt lgkmcnt(0)
	v_dual_add_f32 v2, v4, v2 :: v_dual_add_f32 v1, v3, v1
	s_or_b32 exec_lo, exec_lo, s1
	v_cmp_gt_u32_e32 vcc_lo, 19, v0
	s_and_b32 exec_lo, exec_lo, vcc_lo
	s_cbranch_execz .LBB34_44
.LBB34_46:
	v_mul_f32_e64 v3, v2, -v11
	v_mul_f32_e32 v4, v2, v10
	v_cmp_eq_f32_e32 vcc_lo, 0, v8
	v_cmp_eq_f32_e64 s0, 0, v9
	s_delay_alu instid0(VALU_DEP_4) | instskip(NEXT) | instid1(VALU_DEP_4)
	v_fmac_f32_e32 v3, v10, v1
	v_fmac_f32_e32 v4, v11, v1
	s_delay_alu instid0(VALU_DEP_3) | instskip(NEXT) | instid1(SALU_CYCLE_1)
	s_and_b32 s0, vcc_lo, s0
	s_and_saveexec_b32 s1, s0
	s_delay_alu instid0(SALU_CYCLE_1)
	s_xor_b32 s0, exec_lo, s1
	s_cbranch_execz .LBB34_48
; %bb.47:
	v_mad_u64_u32 v[1:2], null, s8, 19, v[0:1]
	v_mov_b32_e32 v2, 0
                                        ; implicit-def: $vgpr8
                                        ; implicit-def: $vgpr9
	s_delay_alu instid0(VALU_DEP_1) | instskip(NEXT) | instid1(VALU_DEP_1)
	v_lshlrev_b64 v[0:1], 3, v[1:2]
	v_add_co_u32 v0, vcc_lo, s2, v0
	s_delay_alu instid0(VALU_DEP_2)
	v_add_co_ci_u32_e32 v1, vcc_lo, s3, v1, vcc_lo
	global_store_b64 v[0:1], v[3:4], off
                                        ; implicit-def: $vgpr0
                                        ; implicit-def: $vgpr3
.LBB34_48:
	s_and_not1_saveexec_b32 s0, s0
	s_cbranch_execz .LBB34_44
; %bb.49:
	v_mad_u64_u32 v[1:2], null, s8, 19, v[0:1]
	v_mov_b32_e32 v2, 0
	s_delay_alu instid0(VALU_DEP_1) | instskip(NEXT) | instid1(VALU_DEP_1)
	v_lshlrev_b64 v[0:1], 3, v[1:2]
	v_add_co_u32 v0, vcc_lo, s2, v0
	s_delay_alu instid0(VALU_DEP_2) | instskip(SKIP_4) | instid1(VALU_DEP_2)
	v_add_co_ci_u32_e32 v1, vcc_lo, s3, v1, vcc_lo
	global_load_b64 v[5:6], v[0:1], off
	s_waitcnt vmcnt(0)
	v_fmac_f32_e32 v3, v8, v5
	v_fmac_f32_e32 v4, v9, v5
	v_fma_f32 v3, -v9, v6, v3
	s_delay_alu instid0(VALU_DEP_2)
	v_fmac_f32_e32 v4, v8, v6
	global_store_b64 v[0:1], v[3:4], off
	s_nop 0
	s_sendmsg sendmsg(MSG_DEALLOC_VGPRS)
	s_endpgm
	.section	.rodata,"a",@progbits
	.p2align	6, 0x0
	.amdhsa_kernel _ZN9rocsparseL20bsrxmvn_17_32_kernelILj19E21rocsparse_complex_numIfEiiS2_S2_S2_EEvT2_20rocsparse_direction_NS_24const_host_device_scalarIT0_EES3_PKS3_PKT1_SC_S9_PKT3_PKT4_S7_PT5_21rocsparse_index_base_b
		.amdhsa_group_segment_fixed_size 2888
		.amdhsa_private_segment_fixed_size 0
		.amdhsa_kernarg_size 96
		.amdhsa_user_sgpr_count 15
		.amdhsa_user_sgpr_dispatch_ptr 0
		.amdhsa_user_sgpr_queue_ptr 0
		.amdhsa_user_sgpr_kernarg_segment_ptr 1
		.amdhsa_user_sgpr_dispatch_id 0
		.amdhsa_user_sgpr_private_segment_size 0
		.amdhsa_wavefront_size32 1
		.amdhsa_uses_dynamic_stack 0
		.amdhsa_enable_private_segment 0
		.amdhsa_system_sgpr_workgroup_id_x 1
		.amdhsa_system_sgpr_workgroup_id_y 0
		.amdhsa_system_sgpr_workgroup_id_z 0
		.amdhsa_system_sgpr_workgroup_info 0
		.amdhsa_system_vgpr_workitem_id 0
		.amdhsa_next_free_vgpr 17
		.amdhsa_next_free_sgpr 16
		.amdhsa_reserve_vcc 1
		.amdhsa_float_round_mode_32 0
		.amdhsa_float_round_mode_16_64 0
		.amdhsa_float_denorm_mode_32 3
		.amdhsa_float_denorm_mode_16_64 3
		.amdhsa_dx10_clamp 1
		.amdhsa_ieee_mode 1
		.amdhsa_fp16_overflow 0
		.amdhsa_workgroup_processor_mode 1
		.amdhsa_memory_ordered 1
		.amdhsa_forward_progress 0
		.amdhsa_shared_vgpr_count 0
		.amdhsa_exception_fp_ieee_invalid_op 0
		.amdhsa_exception_fp_denorm_src 0
		.amdhsa_exception_fp_ieee_div_zero 0
		.amdhsa_exception_fp_ieee_overflow 0
		.amdhsa_exception_fp_ieee_underflow 0
		.amdhsa_exception_fp_ieee_inexact 0
		.amdhsa_exception_int_div_zero 0
	.end_amdhsa_kernel
	.section	.text._ZN9rocsparseL20bsrxmvn_17_32_kernelILj19E21rocsparse_complex_numIfEiiS2_S2_S2_EEvT2_20rocsparse_direction_NS_24const_host_device_scalarIT0_EES3_PKS3_PKT1_SC_S9_PKT3_PKT4_S7_PT5_21rocsparse_index_base_b,"axG",@progbits,_ZN9rocsparseL20bsrxmvn_17_32_kernelILj19E21rocsparse_complex_numIfEiiS2_S2_S2_EEvT2_20rocsparse_direction_NS_24const_host_device_scalarIT0_EES3_PKS3_PKT1_SC_S9_PKT3_PKT4_S7_PT5_21rocsparse_index_base_b,comdat
.Lfunc_end34:
	.size	_ZN9rocsparseL20bsrxmvn_17_32_kernelILj19E21rocsparse_complex_numIfEiiS2_S2_S2_EEvT2_20rocsparse_direction_NS_24const_host_device_scalarIT0_EES3_PKS3_PKT1_SC_S9_PKT3_PKT4_S7_PT5_21rocsparse_index_base_b, .Lfunc_end34-_ZN9rocsparseL20bsrxmvn_17_32_kernelILj19E21rocsparse_complex_numIfEiiS2_S2_S2_EEvT2_20rocsparse_direction_NS_24const_host_device_scalarIT0_EES3_PKS3_PKT1_SC_S9_PKT3_PKT4_S7_PT5_21rocsparse_index_base_b
                                        ; -- End function
	.section	.AMDGPU.csdata,"",@progbits
; Kernel info:
; codeLenInByte = 1844
; NumSgprs: 18
; NumVgprs: 17
; ScratchSize: 0
; MemoryBound: 0
; FloatMode: 240
; IeeeMode: 1
; LDSByteSize: 2888 bytes/workgroup (compile time only)
; SGPRBlocks: 2
; VGPRBlocks: 2
; NumSGPRsForWavesPerEU: 18
; NumVGPRsForWavesPerEU: 17
; Occupancy: 15
; WaveLimiterHint : 1
; COMPUTE_PGM_RSRC2:SCRATCH_EN: 0
; COMPUTE_PGM_RSRC2:USER_SGPR: 15
; COMPUTE_PGM_RSRC2:TRAP_HANDLER: 0
; COMPUTE_PGM_RSRC2:TGID_X_EN: 1
; COMPUTE_PGM_RSRC2:TGID_Y_EN: 0
; COMPUTE_PGM_RSRC2:TGID_Z_EN: 0
; COMPUTE_PGM_RSRC2:TIDIG_COMP_CNT: 0
	.section	.text._ZN9rocsparseL20bsrxmvn_17_32_kernelILj20E21rocsparse_complex_numIfEiiS2_S2_S2_EEvT2_20rocsparse_direction_NS_24const_host_device_scalarIT0_EES3_PKS3_PKT1_SC_S9_PKT3_PKT4_S7_PT5_21rocsparse_index_base_b,"axG",@progbits,_ZN9rocsparseL20bsrxmvn_17_32_kernelILj20E21rocsparse_complex_numIfEiiS2_S2_S2_EEvT2_20rocsparse_direction_NS_24const_host_device_scalarIT0_EES3_PKS3_PKT1_SC_S9_PKT3_PKT4_S7_PT5_21rocsparse_index_base_b,comdat
	.globl	_ZN9rocsparseL20bsrxmvn_17_32_kernelILj20E21rocsparse_complex_numIfEiiS2_S2_S2_EEvT2_20rocsparse_direction_NS_24const_host_device_scalarIT0_EES3_PKS3_PKT1_SC_S9_PKT3_PKT4_S7_PT5_21rocsparse_index_base_b ; -- Begin function _ZN9rocsparseL20bsrxmvn_17_32_kernelILj20E21rocsparse_complex_numIfEiiS2_S2_S2_EEvT2_20rocsparse_direction_NS_24const_host_device_scalarIT0_EES3_PKS3_PKT1_SC_S9_PKT3_PKT4_S7_PT5_21rocsparse_index_base_b
	.p2align	8
	.type	_ZN9rocsparseL20bsrxmvn_17_32_kernelILj20E21rocsparse_complex_numIfEiiS2_S2_S2_EEvT2_20rocsparse_direction_NS_24const_host_device_scalarIT0_EES3_PKS3_PKT1_SC_S9_PKT3_PKT4_S7_PT5_21rocsparse_index_base_b,@function
_ZN9rocsparseL20bsrxmvn_17_32_kernelILj20E21rocsparse_complex_numIfEiiS2_S2_S2_EEvT2_20rocsparse_direction_NS_24const_host_device_scalarIT0_EES3_PKS3_PKT1_SC_S9_PKT3_PKT4_S7_PT5_21rocsparse_index_base_b: ; @_ZN9rocsparseL20bsrxmvn_17_32_kernelILj20E21rocsparse_complex_numIfEiiS2_S2_S2_EEvT2_20rocsparse_direction_NS_24const_host_device_scalarIT0_EES3_PKS3_PKT1_SC_S9_PKT3_PKT4_S7_PT5_21rocsparse_index_base_b
; %bb.0:
	s_clause 0x2
	s_load_b64 s[10:11], s[0:1], 0x58
	s_load_b64 s[4:5], s[0:1], 0x8
	;; [unrolled: 1-line block ×3, first 2 shown]
	s_mov_b32 s8, s15
	s_waitcnt lgkmcnt(0)
	s_bitcmp1_b32 s11, 0
	v_mov_b32_e32 v10, s4
	s_cselect_b32 s6, -1, 0
	s_delay_alu instid0(SALU_CYCLE_1)
	s_and_b32 vcc_lo, exec_lo, s6
	s_xor_b32 s6, s6, -1
	s_cbranch_vccz .LBB35_15
; %bb.1:
	v_cndmask_b32_e64 v1, 0, 1, s6
	v_mov_b32_e32 v11, s5
	s_and_not1_b32 vcc_lo, exec_lo, s6
	s_cbranch_vccz .LBB35_16
.LBB35_2:
	s_delay_alu instid0(VALU_DEP_2)
	v_cmp_ne_u32_e32 vcc_lo, 1, v1
	v_mov_b32_e32 v8, s2
	s_cbranch_vccz .LBB35_17
.LBB35_3:
	v_cmp_ne_u32_e32 vcc_lo, 1, v1
	v_mov_b32_e32 v9, s3
	s_cbranch_vccnz .LBB35_5
.LBB35_4:
	v_dual_mov_b32 v1, s2 :: v_dual_mov_b32 v2, s3
	flat_load_b32 v9, v[1:2] offset:4
.LBB35_5:
	s_waitcnt vmcnt(0) lgkmcnt(0)
	v_cmp_eq_f32_e32 vcc_lo, 0, v10
	v_cmp_eq_f32_e64 s2, 0, v11
	s_delay_alu instid0(VALU_DEP_1)
	s_and_b32 s4, vcc_lo, s2
	s_mov_b32 s2, -1
	s_and_saveexec_b32 s3, s4
; %bb.6:
	v_cmp_neq_f32_e32 vcc_lo, 1.0, v8
	v_cmp_neq_f32_e64 s2, 0, v9
	s_delay_alu instid0(VALU_DEP_1) | instskip(NEXT) | instid1(SALU_CYCLE_1)
	s_or_b32 s2, vcc_lo, s2
	s_or_not1_b32 s2, s2, exec_lo
; %bb.7:
	s_or_b32 exec_lo, exec_lo, s3
	s_and_saveexec_b32 s3, s2
	s_cbranch_execz .LBB35_44
; %bb.8:
	s_clause 0x1
	s_load_b128 s[4:7], s[0:1], 0x18
	s_load_b64 s[2:3], s[0:1], 0x28
	s_waitcnt lgkmcnt(0)
	s_cmp_eq_u64 s[4:5], 0
	s_cbranch_scc1 .LBB35_10
; %bb.9:
	s_ashr_i32 s9, s8, 31
	s_delay_alu instid0(SALU_CYCLE_1) | instskip(NEXT) | instid1(SALU_CYCLE_1)
	s_lshl_b64 s[8:9], s[8:9], 2
	s_add_u32 s4, s4, s8
	s_addc_u32 s5, s5, s9
	s_load_b32 s4, s[4:5], 0x0
	s_waitcnt lgkmcnt(0)
	s_sub_i32 s8, s4, s10
.LBB35_10:
	s_load_b32 s4, s[0:1], 0x4
	v_mul_u32_u24_e32 v1, 0xccd, v0
	v_mov_b32_e32 v2, 0
	v_lshlrev_b32_e32 v12, 3, v0
	s_delay_alu instid0(VALU_DEP_3) | instskip(NEXT) | instid1(VALU_DEP_1)
	v_lshrrev_b32_e32 v3, 16, v1
	v_mul_lo_u16 v1, v3, 20
	s_delay_alu instid0(VALU_DEP_1)
	v_sub_nc_u16 v13, v0, v1
	v_mov_b32_e32 v1, 0
	s_waitcnt lgkmcnt(0)
	s_cmp_eq_u32 s4, 1
	s_cselect_b32 vcc_lo, -1, 0
	s_cmp_lg_u32 s4, 1
	s_cselect_b32 s11, -1, 0
	s_ashr_i32 s9, s8, 31
	s_delay_alu instid0(SALU_CYCLE_1) | instskip(NEXT) | instid1(SALU_CYCLE_1)
	s_lshl_b64 s[4:5], s[8:9], 2
	s_add_u32 s6, s6, s4
	s_addc_u32 s7, s7, s5
	s_add_u32 s9, s6, 4
	s_addc_u32 s12, s7, 0
	;; [unrolled: 2-line block ×3, first 2 shown]
	s_cmp_eq_u64 s[2:3], 0
	s_cselect_b32 s3, s12, s5
	s_cselect_b32 s2, s9, s4
	s_load_b32 s12, s[6:7], 0x0
	s_load_b32 s9, s[2:3], 0x0
	s_load_b64 s[2:3], s[0:1], 0x50
	s_waitcnt lgkmcnt(0)
	s_cmp_ge_i32 s12, s9
	s_cbranch_scc1 .LBB35_18
; %bb.11:
	v_mul_lo_u16 v1, v3, 13
	s_clause 0x1
	s_load_b128 s[4:7], s[0:1], 0x30
	s_load_b64 s[0:1], s[0:1], 0x40
	v_and_b32_e32 v5, 0xffff, v13
	s_sub_i32 s12, s12, s10
	v_lshrrev_b16 v1, 8, v1
	s_mul_i32 s14, s12, 0xc80
	s_sub_i32 s9, s9, s10
	s_mul_hi_i32 s13, s12, 0xc80
	s_delay_alu instid0(VALU_DEP_1) | instskip(NEXT) | instid1(VALU_DEP_1)
	v_mul_lo_u16 v1, v1, 20
	v_sub_nc_u16 v1, v3, v1
	s_delay_alu instid0(VALU_DEP_1)
	v_and_b32_e32 v1, 0xff, v1
	v_and_b32_e32 v2, 0xffff, v0
	s_waitcnt lgkmcnt(0)
	s_add_u32 s6, s6, s14
	s_addc_u32 s7, s7, s13
	v_cndmask_b32_e32 v5, v5, v1, vcc_lo
	v_mul_u32_u24_e32 v6, 0xa4, v2
	v_mov_b32_e32 v2, 0
	v_lshlrev_b32_e32 v4, 3, v0
	s_delay_alu instid0(VALU_DEP_3) | instskip(NEXT) | instid1(VALU_DEP_3)
	v_lshrrev_b32_e32 v14, 16, v6
	v_mov_b32_e32 v1, v2
	s_delay_alu instid0(VALU_DEP_3) | instskip(NEXT) | instid1(VALU_DEP_1)
	v_add_co_u32 v3, s6, s6, v4
	v_add_co_ci_u32_e64 v4, null, s7, 0, s6
	s_set_inst_prefetch_distance 0x1
	s_branch .LBB35_13
	.p2align	6
.LBB35_12:                              ;   in Loop: Header=BB35_13 Depth=1
	s_or_b32 exec_lo, exec_lo, s6
	s_add_i32 s12, s12, 1
	s_delay_alu instid0(SALU_CYCLE_1)
	s_cmp_lt_i32 s12, s9
	s_cbranch_scc0 .LBB35_18
.LBB35_13:                              ; =>This Inner Loop Header: Depth=1
	v_add_nc_u32_e32 v6, s12, v14
	s_mov_b32 s6, exec_lo
	s_delay_alu instid0(VALU_DEP_1)
	v_cmpx_gt_i32_e64 s9, v6
	s_cbranch_execz .LBB35_12
; %bb.14:                               ;   in Loop: Header=BB35_13 Depth=1
	v_ashrrev_i32_e32 v7, 31, v6
	s_delay_alu instid0(VALU_DEP_1) | instskip(NEXT) | instid1(VALU_DEP_1)
	v_lshlrev_b64 v[6:7], 2, v[6:7]
	v_add_co_u32 v6, vcc_lo, s4, v6
	s_delay_alu instid0(VALU_DEP_2) | instskip(SKIP_3) | instid1(VALU_DEP_1)
	v_add_co_ci_u32_e32 v7, vcc_lo, s5, v7, vcc_lo
	global_load_b32 v6, v[6:7], off
	s_waitcnt vmcnt(0)
	v_subrev_nc_u32_e32 v15, s10, v6
	v_mad_u64_u32 v[6:7], null, v15, 20, v[5:6]
	s_delay_alu instid0(VALU_DEP_1) | instskip(NEXT) | instid1(VALU_DEP_1)
	v_ashrrev_i32_e32 v7, 31, v6
	v_lshlrev_b64 v[6:7], 3, v[6:7]
	s_delay_alu instid0(VALU_DEP_1) | instskip(NEXT) | instid1(VALU_DEP_2)
	v_add_co_u32 v6, vcc_lo, s0, v6
	v_add_co_ci_u32_e32 v7, vcc_lo, s1, v7, vcc_lo
	global_load_b64 v[15:16], v[3:4], off
	global_load_b64 v[6:7], v[6:7], off
	v_add_co_u32 v3, vcc_lo, 0xc80, v3
	v_add_co_ci_u32_e32 v4, vcc_lo, 0, v4, vcc_lo
	s_waitcnt vmcnt(0)
	v_fmac_f32_e32 v1, v15, v6
	v_fmac_f32_e32 v2, v16, v6
	s_delay_alu instid0(VALU_DEP_2) | instskip(NEXT) | instid1(VALU_DEP_2)
	v_fma_f32 v1, -v16, v7, v1
	v_fmac_f32_e32 v2, v15, v7
	s_branch .LBB35_12
.LBB35_15:
	v_dual_mov_b32 v1, s4 :: v_dual_mov_b32 v2, s5
	flat_load_b32 v10, v[1:2]
	v_cndmask_b32_e64 v1, 0, 1, s6
	v_mov_b32_e32 v11, s5
	s_and_not1_b32 vcc_lo, exec_lo, s6
	s_cbranch_vccnz .LBB35_2
.LBB35_16:
	v_dual_mov_b32 v2, s4 :: v_dual_mov_b32 v3, s5
	flat_load_b32 v11, v[2:3] offset:4
	v_cmp_ne_u32_e32 vcc_lo, 1, v1
	v_mov_b32_e32 v8, s2
	s_cbranch_vccnz .LBB35_3
.LBB35_17:
	v_dual_mov_b32 v2, s2 :: v_dual_mov_b32 v3, s3
	flat_load_b32 v8, v[2:3]
	v_cmp_ne_u32_e32 vcc_lo, 1, v1
	v_mov_b32_e32 v9, s3
	s_cbranch_vccz .LBB35_4
	s_branch .LBB35_5
.LBB35_18:
	s_set_inst_prefetch_distance 0x2
	s_and_b32 vcc_lo, exec_lo, s11
	ds_store_b64 v12, v[1:2]
	s_waitcnt lgkmcnt(0)
	s_barrier
	buffer_gl0_inv
	s_cbranch_vccz .LBB35_30
; %bb.19:
	v_cmp_gt_u16_e32 vcc_lo, 4, v13
	s_and_saveexec_b32 s0, vcc_lo
	s_cbranch_execz .LBB35_21
; %bb.20:
	ds_load_2addr_b64 v[3:6], v12 offset1:16
	s_waitcnt lgkmcnt(0)
	v_dual_add_f32 v3, v5, v3 :: v_dual_add_f32 v4, v6, v4
	ds_store_b64 v12, v[3:4]
.LBB35_21:
	s_or_b32 exec_lo, exec_lo, s0
	s_delay_alu instid0(SALU_CYCLE_1)
	s_mov_b32 s1, exec_lo
	s_waitcnt lgkmcnt(0)
	s_barrier
	buffer_gl0_inv
	v_cmpx_gt_u16_e32 8, v13
	s_cbranch_execz .LBB35_23
; %bb.22:
	ds_load_2addr_b64 v[3:6], v12 offset1:8
	s_waitcnt lgkmcnt(0)
	v_dual_add_f32 v3, v5, v3 :: v_dual_add_f32 v4, v6, v4
	ds_store_b64 v12, v[3:4]
.LBB35_23:
	s_or_b32 exec_lo, exec_lo, s1
	s_waitcnt lgkmcnt(0)
	s_barrier
	buffer_gl0_inv
	s_and_saveexec_b32 s0, vcc_lo
	s_cbranch_execz .LBB35_25
; %bb.24:
	ds_load_2addr_b64 v[3:6], v12 offset1:4
	s_waitcnt lgkmcnt(0)
	v_dual_add_f32 v3, v5, v3 :: v_dual_add_f32 v4, v6, v4
	ds_store_b64 v12, v[3:4]
.LBB35_25:
	s_or_b32 exec_lo, exec_lo, s0
	s_delay_alu instid0(SALU_CYCLE_1)
	s_mov_b32 s0, exec_lo
	s_waitcnt lgkmcnt(0)
	s_barrier
	buffer_gl0_inv
	v_cmpx_gt_u16_e32 2, v13
	s_cbranch_execz .LBB35_27
; %bb.26:
	ds_load_2addr_b64 v[3:6], v12 offset1:2
	s_waitcnt lgkmcnt(0)
	v_dual_add_f32 v3, v5, v3 :: v_dual_add_f32 v4, v6, v4
	ds_store_b64 v12, v[3:4]
.LBB35_27:
	s_or_b32 exec_lo, exec_lo, s0
	s_mov_b32 s0, 0
	s_mov_b32 s1, 0
	s_mov_b32 s4, exec_lo
	s_waitcnt lgkmcnt(0)
	s_barrier
	buffer_gl0_inv
                                        ; implicit-def: $vgpr4
                                        ; implicit-def: $vgpr3
	v_cmpx_gt_u32_e32 20, v0
	s_xor_b32 s4, exec_lo, s4
; %bb.28:
	v_mul_u32_u24_e32 v3, 20, v0
	s_mov_b32 s1, exec_lo
	s_delay_alu instid0(VALU_DEP_1)
	v_lshlrev_b32_e32 v4, 3, v3
	v_or_b32_e32 v3, 1, v3
; %bb.29:
	s_or_b32 exec_lo, exec_lo, s4
	s_delay_alu instid0(SALU_CYCLE_1)
	s_and_b32 vcc_lo, exec_lo, s0
	s_cbranch_vccnz .LBB35_31
	s_branch .LBB35_42
.LBB35_30:
	s_mov_b32 s1, 0
                                        ; implicit-def: $vgpr4
                                        ; implicit-def: $vgpr3
	s_cbranch_execz .LBB35_42
.LBB35_31:
	v_cmp_gt_u32_e32 vcc_lo, 0x50, v0
	s_and_saveexec_b32 s0, vcc_lo
	s_cbranch_execz .LBB35_33
; %bb.32:
	ds_load_2addr_stride64_b64 v[3:6], v12 offset1:5
	s_waitcnt lgkmcnt(0)
	v_dual_add_f32 v3, v5, v3 :: v_dual_add_f32 v4, v6, v4
	ds_store_b64 v12, v[3:4]
.LBB35_33:
	s_or_b32 exec_lo, exec_lo, s0
	s_delay_alu instid0(SALU_CYCLE_1)
	s_mov_b32 s4, exec_lo
	s_waitcnt lgkmcnt(0)
	s_barrier
	buffer_gl0_inv
	v_cmpx_gt_u32_e32 0xa0, v0
	s_cbranch_execz .LBB35_35
; %bb.34:
	ds_load_2addr_b64 v[3:6], v12 offset1:160
	s_waitcnt lgkmcnt(0)
	v_dual_add_f32 v3, v5, v3 :: v_dual_add_f32 v4, v6, v4
	ds_store_b64 v12, v[3:4]
.LBB35_35:
	s_or_b32 exec_lo, exec_lo, s4
	s_waitcnt lgkmcnt(0)
	s_barrier
	buffer_gl0_inv
	s_and_saveexec_b32 s0, vcc_lo
	s_cbranch_execz .LBB35_37
; %bb.36:
	ds_load_2addr_b64 v[3:6], v12 offset1:80
	s_waitcnt lgkmcnt(0)
	v_dual_add_f32 v3, v5, v3 :: v_dual_add_f32 v4, v6, v4
	ds_store_b64 v12, v[3:4]
.LBB35_37:
	s_or_b32 exec_lo, exec_lo, s0
	s_delay_alu instid0(SALU_CYCLE_1)
	s_mov_b32 s0, exec_lo
	s_waitcnt lgkmcnt(0)
	s_barrier
	buffer_gl0_inv
	v_cmpx_gt_u32_e32 40, v0
	s_cbranch_execz .LBB35_39
; %bb.38:
	ds_load_2addr_b64 v[3:6], v12 offset1:40
	s_waitcnt lgkmcnt(0)
	v_dual_add_f32 v3, v5, v3 :: v_dual_add_f32 v4, v6, v4
	ds_store_b64 v12, v[3:4]
.LBB35_39:
	s_or_b32 exec_lo, exec_lo, s0
	s_delay_alu instid0(SALU_CYCLE_1)
	s_mov_b32 s0, exec_lo
	s_waitcnt lgkmcnt(0)
	buffer_gl0_inv
                                        ; implicit-def: $vgpr3
	v_cmpx_gt_u32_e32 20, v0
; %bb.40:
	v_add_nc_u32_e32 v3, 20, v0
	s_or_b32 s1, s1, exec_lo
                                        ; implicit-def: $vgpr2
; %bb.41:
	s_or_b32 exec_lo, exec_lo, s0
	v_mov_b32_e32 v4, v12
.LBB35_42:
	s_and_saveexec_b32 s0, s1
	s_cbranch_execnz .LBB35_45
; %bb.43:
	s_or_b32 exec_lo, exec_lo, s0
	v_cmp_gt_u32_e32 vcc_lo, 20, v0
	s_and_b32 exec_lo, exec_lo, vcc_lo
	s_cbranch_execnz .LBB35_46
.LBB35_44:
	s_nop 0
	s_sendmsg sendmsg(MSG_DEALLOC_VGPRS)
	s_endpgm
.LBB35_45:
	v_lshlrev_b32_e32 v3, 3, v3
	ds_load_2addr_b32 v[1:2], v4 offset1:1
	ds_load_b64 v[3:4], v3
	s_waitcnt lgkmcnt(0)
	v_dual_add_f32 v2, v4, v2 :: v_dual_add_f32 v1, v3, v1
	s_or_b32 exec_lo, exec_lo, s0
	v_cmp_gt_u32_e32 vcc_lo, 20, v0
	s_and_b32 exec_lo, exec_lo, vcc_lo
	s_cbranch_execz .LBB35_44
.LBB35_46:
	v_mul_f32_e64 v3, v2, -v11
	v_mul_f32_e32 v4, v2, v10
	v_cmp_eq_f32_e32 vcc_lo, 0, v8
	v_cmp_eq_f32_e64 s0, 0, v9
	s_delay_alu instid0(VALU_DEP_4) | instskip(NEXT) | instid1(VALU_DEP_4)
	v_fmac_f32_e32 v3, v10, v1
	v_fmac_f32_e32 v4, v11, v1
	s_delay_alu instid0(VALU_DEP_3) | instskip(NEXT) | instid1(SALU_CYCLE_1)
	s_and_b32 s0, vcc_lo, s0
	s_and_saveexec_b32 s1, s0
	s_delay_alu instid0(SALU_CYCLE_1)
	s_xor_b32 s0, exec_lo, s1
	s_cbranch_execz .LBB35_48
; %bb.47:
	v_mad_u64_u32 v[1:2], null, s8, 20, v[0:1]
	v_mov_b32_e32 v2, 0
                                        ; implicit-def: $vgpr8
                                        ; implicit-def: $vgpr9
	s_delay_alu instid0(VALU_DEP_1) | instskip(NEXT) | instid1(VALU_DEP_1)
	v_lshlrev_b64 v[0:1], 3, v[1:2]
	v_add_co_u32 v0, vcc_lo, s2, v0
	s_delay_alu instid0(VALU_DEP_2)
	v_add_co_ci_u32_e32 v1, vcc_lo, s3, v1, vcc_lo
	global_store_b64 v[0:1], v[3:4], off
                                        ; implicit-def: $vgpr0
                                        ; implicit-def: $vgpr3
.LBB35_48:
	s_and_not1_saveexec_b32 s0, s0
	s_cbranch_execz .LBB35_44
; %bb.49:
	v_mad_u64_u32 v[1:2], null, s8, 20, v[0:1]
	v_mov_b32_e32 v2, 0
	s_delay_alu instid0(VALU_DEP_1) | instskip(NEXT) | instid1(VALU_DEP_1)
	v_lshlrev_b64 v[0:1], 3, v[1:2]
	v_add_co_u32 v0, vcc_lo, s2, v0
	s_delay_alu instid0(VALU_DEP_2) | instskip(SKIP_4) | instid1(VALU_DEP_2)
	v_add_co_ci_u32_e32 v1, vcc_lo, s3, v1, vcc_lo
	global_load_b64 v[5:6], v[0:1], off
	s_waitcnt vmcnt(0)
	v_fmac_f32_e32 v3, v8, v5
	v_fmac_f32_e32 v4, v9, v5
	v_fma_f32 v3, -v9, v6, v3
	s_delay_alu instid0(VALU_DEP_2)
	v_fmac_f32_e32 v4, v8, v6
	global_store_b64 v[0:1], v[3:4], off
	s_nop 0
	s_sendmsg sendmsg(MSG_DEALLOC_VGPRS)
	s_endpgm
	.section	.rodata,"a",@progbits
	.p2align	6, 0x0
	.amdhsa_kernel _ZN9rocsparseL20bsrxmvn_17_32_kernelILj20E21rocsparse_complex_numIfEiiS2_S2_S2_EEvT2_20rocsparse_direction_NS_24const_host_device_scalarIT0_EES3_PKS3_PKT1_SC_S9_PKT3_PKT4_S7_PT5_21rocsparse_index_base_b
		.amdhsa_group_segment_fixed_size 3200
		.amdhsa_private_segment_fixed_size 0
		.amdhsa_kernarg_size 96
		.amdhsa_user_sgpr_count 15
		.amdhsa_user_sgpr_dispatch_ptr 0
		.amdhsa_user_sgpr_queue_ptr 0
		.amdhsa_user_sgpr_kernarg_segment_ptr 1
		.amdhsa_user_sgpr_dispatch_id 0
		.amdhsa_user_sgpr_private_segment_size 0
		.amdhsa_wavefront_size32 1
		.amdhsa_uses_dynamic_stack 0
		.amdhsa_enable_private_segment 0
		.amdhsa_system_sgpr_workgroup_id_x 1
		.amdhsa_system_sgpr_workgroup_id_y 0
		.amdhsa_system_sgpr_workgroup_id_z 0
		.amdhsa_system_sgpr_workgroup_info 0
		.amdhsa_system_vgpr_workitem_id 0
		.amdhsa_next_free_vgpr 17
		.amdhsa_next_free_sgpr 16
		.amdhsa_reserve_vcc 1
		.amdhsa_float_round_mode_32 0
		.amdhsa_float_round_mode_16_64 0
		.amdhsa_float_denorm_mode_32 3
		.amdhsa_float_denorm_mode_16_64 3
		.amdhsa_dx10_clamp 1
		.amdhsa_ieee_mode 1
		.amdhsa_fp16_overflow 0
		.amdhsa_workgroup_processor_mode 1
		.amdhsa_memory_ordered 1
		.amdhsa_forward_progress 0
		.amdhsa_shared_vgpr_count 0
		.amdhsa_exception_fp_ieee_invalid_op 0
		.amdhsa_exception_fp_denorm_src 0
		.amdhsa_exception_fp_ieee_div_zero 0
		.amdhsa_exception_fp_ieee_overflow 0
		.amdhsa_exception_fp_ieee_underflow 0
		.amdhsa_exception_fp_ieee_inexact 0
		.amdhsa_exception_int_div_zero 0
	.end_amdhsa_kernel
	.section	.text._ZN9rocsparseL20bsrxmvn_17_32_kernelILj20E21rocsparse_complex_numIfEiiS2_S2_S2_EEvT2_20rocsparse_direction_NS_24const_host_device_scalarIT0_EES3_PKS3_PKT1_SC_S9_PKT3_PKT4_S7_PT5_21rocsparse_index_base_b,"axG",@progbits,_ZN9rocsparseL20bsrxmvn_17_32_kernelILj20E21rocsparse_complex_numIfEiiS2_S2_S2_EEvT2_20rocsparse_direction_NS_24const_host_device_scalarIT0_EES3_PKS3_PKT1_SC_S9_PKT3_PKT4_S7_PT5_21rocsparse_index_base_b,comdat
.Lfunc_end35:
	.size	_ZN9rocsparseL20bsrxmvn_17_32_kernelILj20E21rocsparse_complex_numIfEiiS2_S2_S2_EEvT2_20rocsparse_direction_NS_24const_host_device_scalarIT0_EES3_PKS3_PKT1_SC_S9_PKT3_PKT4_S7_PT5_21rocsparse_index_base_b, .Lfunc_end35-_ZN9rocsparseL20bsrxmvn_17_32_kernelILj20E21rocsparse_complex_numIfEiiS2_S2_S2_EEvT2_20rocsparse_direction_NS_24const_host_device_scalarIT0_EES3_PKS3_PKT1_SC_S9_PKT3_PKT4_S7_PT5_21rocsparse_index_base_b
                                        ; -- End function
	.section	.AMDGPU.csdata,"",@progbits
; Kernel info:
; codeLenInByte = 1816
; NumSgprs: 18
; NumVgprs: 17
; ScratchSize: 0
; MemoryBound: 0
; FloatMode: 240
; IeeeMode: 1
; LDSByteSize: 3200 bytes/workgroup (compile time only)
; SGPRBlocks: 2
; VGPRBlocks: 2
; NumSGPRsForWavesPerEU: 18
; NumVGPRsForWavesPerEU: 17
; Occupancy: 13
; WaveLimiterHint : 1
; COMPUTE_PGM_RSRC2:SCRATCH_EN: 0
; COMPUTE_PGM_RSRC2:USER_SGPR: 15
; COMPUTE_PGM_RSRC2:TRAP_HANDLER: 0
; COMPUTE_PGM_RSRC2:TGID_X_EN: 1
; COMPUTE_PGM_RSRC2:TGID_Y_EN: 0
; COMPUTE_PGM_RSRC2:TGID_Z_EN: 0
; COMPUTE_PGM_RSRC2:TIDIG_COMP_CNT: 0
	.section	.text._ZN9rocsparseL20bsrxmvn_17_32_kernelILj21E21rocsparse_complex_numIfEiiS2_S2_S2_EEvT2_20rocsparse_direction_NS_24const_host_device_scalarIT0_EES3_PKS3_PKT1_SC_S9_PKT3_PKT4_S7_PT5_21rocsparse_index_base_b,"axG",@progbits,_ZN9rocsparseL20bsrxmvn_17_32_kernelILj21E21rocsparse_complex_numIfEiiS2_S2_S2_EEvT2_20rocsparse_direction_NS_24const_host_device_scalarIT0_EES3_PKS3_PKT1_SC_S9_PKT3_PKT4_S7_PT5_21rocsparse_index_base_b,comdat
	.globl	_ZN9rocsparseL20bsrxmvn_17_32_kernelILj21E21rocsparse_complex_numIfEiiS2_S2_S2_EEvT2_20rocsparse_direction_NS_24const_host_device_scalarIT0_EES3_PKS3_PKT1_SC_S9_PKT3_PKT4_S7_PT5_21rocsparse_index_base_b ; -- Begin function _ZN9rocsparseL20bsrxmvn_17_32_kernelILj21E21rocsparse_complex_numIfEiiS2_S2_S2_EEvT2_20rocsparse_direction_NS_24const_host_device_scalarIT0_EES3_PKS3_PKT1_SC_S9_PKT3_PKT4_S7_PT5_21rocsparse_index_base_b
	.p2align	8
	.type	_ZN9rocsparseL20bsrxmvn_17_32_kernelILj21E21rocsparse_complex_numIfEiiS2_S2_S2_EEvT2_20rocsparse_direction_NS_24const_host_device_scalarIT0_EES3_PKS3_PKT1_SC_S9_PKT3_PKT4_S7_PT5_21rocsparse_index_base_b,@function
_ZN9rocsparseL20bsrxmvn_17_32_kernelILj21E21rocsparse_complex_numIfEiiS2_S2_S2_EEvT2_20rocsparse_direction_NS_24const_host_device_scalarIT0_EES3_PKS3_PKT1_SC_S9_PKT3_PKT4_S7_PT5_21rocsparse_index_base_b: ; @_ZN9rocsparseL20bsrxmvn_17_32_kernelILj21E21rocsparse_complex_numIfEiiS2_S2_S2_EEvT2_20rocsparse_direction_NS_24const_host_device_scalarIT0_EES3_PKS3_PKT1_SC_S9_PKT3_PKT4_S7_PT5_21rocsparse_index_base_b
; %bb.0:
	s_clause 0x2
	s_load_b64 s[10:11], s[0:1], 0x58
	s_load_b64 s[4:5], s[0:1], 0x8
	;; [unrolled: 1-line block ×3, first 2 shown]
	s_mov_b32 s8, s15
	s_waitcnt lgkmcnt(0)
	s_bitcmp1_b32 s11, 0
	v_mov_b32_e32 v10, s4
	s_cselect_b32 s6, -1, 0
	s_delay_alu instid0(SALU_CYCLE_1)
	s_and_b32 vcc_lo, exec_lo, s6
	s_xor_b32 s6, s6, -1
	s_cbranch_vccz .LBB36_15
; %bb.1:
	v_cndmask_b32_e64 v1, 0, 1, s6
	v_mov_b32_e32 v11, s5
	s_and_not1_b32 vcc_lo, exec_lo, s6
	s_cbranch_vccz .LBB36_16
.LBB36_2:
	s_delay_alu instid0(VALU_DEP_2)
	v_cmp_ne_u32_e32 vcc_lo, 1, v1
	v_mov_b32_e32 v8, s2
	s_cbranch_vccz .LBB36_17
.LBB36_3:
	v_cmp_ne_u32_e32 vcc_lo, 1, v1
	v_mov_b32_e32 v9, s3
	s_cbranch_vccnz .LBB36_5
.LBB36_4:
	v_dual_mov_b32 v1, s2 :: v_dual_mov_b32 v2, s3
	flat_load_b32 v9, v[1:2] offset:4
.LBB36_5:
	s_waitcnt vmcnt(0) lgkmcnt(0)
	v_cmp_eq_f32_e32 vcc_lo, 0, v10
	v_cmp_eq_f32_e64 s2, 0, v11
	s_delay_alu instid0(VALU_DEP_1)
	s_and_b32 s4, vcc_lo, s2
	s_mov_b32 s2, -1
	s_and_saveexec_b32 s3, s4
; %bb.6:
	v_cmp_neq_f32_e32 vcc_lo, 1.0, v8
	v_cmp_neq_f32_e64 s2, 0, v9
	s_delay_alu instid0(VALU_DEP_1) | instskip(NEXT) | instid1(SALU_CYCLE_1)
	s_or_b32 s2, vcc_lo, s2
	s_or_not1_b32 s2, s2, exec_lo
; %bb.7:
	s_or_b32 exec_lo, exec_lo, s3
	s_and_saveexec_b32 s3, s2
	s_cbranch_execz .LBB36_44
; %bb.8:
	s_clause 0x1
	s_load_b128 s[4:7], s[0:1], 0x18
	s_load_b64 s[2:3], s[0:1], 0x28
	s_waitcnt lgkmcnt(0)
	s_cmp_eq_u64 s[4:5], 0
	s_cbranch_scc1 .LBB36_10
; %bb.9:
	s_ashr_i32 s9, s8, 31
	s_delay_alu instid0(SALU_CYCLE_1) | instskip(NEXT) | instid1(SALU_CYCLE_1)
	s_lshl_b64 s[8:9], s[8:9], 2
	s_add_u32 s4, s4, s8
	s_addc_u32 s5, s5, s9
	s_load_b32 s4, s[4:5], 0x0
	s_waitcnt lgkmcnt(0)
	s_sub_i32 s8, s4, s10
.LBB36_10:
	s_load_b32 s4, s[0:1], 0x4
	v_mul_u32_u24_e32 v1, 0xc31, v0
	v_mov_b32_e32 v2, 0
	v_lshlrev_b32_e32 v12, 3, v0
	s_delay_alu instid0(VALU_DEP_3) | instskip(NEXT) | instid1(VALU_DEP_1)
	v_lshrrev_b32_e32 v3, 16, v1
	v_mul_lo_u16 v1, v3, 21
	s_delay_alu instid0(VALU_DEP_1)
	v_sub_nc_u16 v13, v0, v1
	v_mov_b32_e32 v1, 0
	s_waitcnt lgkmcnt(0)
	s_cmp_eq_u32 s4, 1
	s_cselect_b32 vcc_lo, -1, 0
	s_cmp_lg_u32 s4, 1
	s_cselect_b32 s11, -1, 0
	s_ashr_i32 s9, s8, 31
	s_delay_alu instid0(SALU_CYCLE_1) | instskip(NEXT) | instid1(SALU_CYCLE_1)
	s_lshl_b64 s[4:5], s[8:9], 2
	s_add_u32 s6, s6, s4
	s_addc_u32 s7, s7, s5
	s_add_u32 s9, s6, 4
	s_addc_u32 s12, s7, 0
	;; [unrolled: 2-line block ×3, first 2 shown]
	s_cmp_eq_u64 s[2:3], 0
	s_cselect_b32 s3, s12, s5
	s_cselect_b32 s2, s9, s4
	s_load_b32 s12, s[6:7], 0x0
	s_load_b32 s9, s[2:3], 0x0
	s_load_b64 s[2:3], s[0:1], 0x50
	s_waitcnt lgkmcnt(0)
	s_cmp_ge_i32 s12, s9
	s_cbranch_scc1 .LBB36_18
; %bb.11:
	v_mul_lo_u16 v1, v3, 25
	s_clause 0x1
	s_load_b128 s[4:7], s[0:1], 0x30
	s_load_b64 s[0:1], s[0:1], 0x40
	v_and_b32_e32 v5, 0xffff, v13
	s_sub_i32 s12, s12, s10
	v_lshrrev_b16 v1, 9, v1
	s_mul_i32 s14, s12, 0xdc8
	s_sub_i32 s9, s9, s10
	s_mul_hi_i32 s13, s12, 0xdc8
	s_delay_alu instid0(VALU_DEP_1) | instskip(NEXT) | instid1(VALU_DEP_1)
	v_mul_lo_u16 v1, v1, 21
	v_sub_nc_u16 v1, v3, v1
	s_delay_alu instid0(VALU_DEP_1)
	v_and_b32_e32 v1, 0xff, v1
	v_and_b32_e32 v2, 0xffff, v0
	s_waitcnt lgkmcnt(0)
	s_add_u32 s6, s6, s14
	s_addc_u32 s7, s7, s13
	v_cndmask_b32_e32 v5, v5, v1, vcc_lo
	v_mul_u32_u24_e32 v6, 0x253, v2
	v_mov_b32_e32 v2, 0
	v_lshlrev_b32_e32 v4, 3, v0
	s_delay_alu instid0(VALU_DEP_3) | instskip(NEXT) | instid1(VALU_DEP_3)
	v_lshrrev_b32_e32 v14, 18, v6
	v_mov_b32_e32 v1, v2
	s_delay_alu instid0(VALU_DEP_3) | instskip(NEXT) | instid1(VALU_DEP_1)
	v_add_co_u32 v3, s6, s6, v4
	v_add_co_ci_u32_e64 v4, null, s7, 0, s6
	s_set_inst_prefetch_distance 0x1
	s_branch .LBB36_13
	.p2align	6
.LBB36_12:                              ;   in Loop: Header=BB36_13 Depth=1
	s_or_b32 exec_lo, exec_lo, s6
	s_add_i32 s12, s12, 1
	s_delay_alu instid0(SALU_CYCLE_1)
	s_cmp_lt_i32 s12, s9
	s_cbranch_scc0 .LBB36_18
.LBB36_13:                              ; =>This Inner Loop Header: Depth=1
	v_add_nc_u32_e32 v6, s12, v14
	s_mov_b32 s6, exec_lo
	s_delay_alu instid0(VALU_DEP_1)
	v_cmpx_gt_i32_e64 s9, v6
	s_cbranch_execz .LBB36_12
; %bb.14:                               ;   in Loop: Header=BB36_13 Depth=1
	v_ashrrev_i32_e32 v7, 31, v6
	s_delay_alu instid0(VALU_DEP_1) | instskip(NEXT) | instid1(VALU_DEP_1)
	v_lshlrev_b64 v[6:7], 2, v[6:7]
	v_add_co_u32 v6, vcc_lo, s4, v6
	s_delay_alu instid0(VALU_DEP_2) | instskip(SKIP_3) | instid1(VALU_DEP_1)
	v_add_co_ci_u32_e32 v7, vcc_lo, s5, v7, vcc_lo
	global_load_b32 v6, v[6:7], off
	s_waitcnt vmcnt(0)
	v_subrev_nc_u32_e32 v15, s10, v6
	v_mad_u64_u32 v[6:7], null, v15, 21, v[5:6]
	s_delay_alu instid0(VALU_DEP_1) | instskip(NEXT) | instid1(VALU_DEP_1)
	v_ashrrev_i32_e32 v7, 31, v6
	v_lshlrev_b64 v[6:7], 3, v[6:7]
	s_delay_alu instid0(VALU_DEP_1) | instskip(NEXT) | instid1(VALU_DEP_2)
	v_add_co_u32 v6, vcc_lo, s0, v6
	v_add_co_ci_u32_e32 v7, vcc_lo, s1, v7, vcc_lo
	global_load_b64 v[15:16], v[3:4], off
	global_load_b64 v[6:7], v[6:7], off
	v_add_co_u32 v3, vcc_lo, 0xdc8, v3
	v_add_co_ci_u32_e32 v4, vcc_lo, 0, v4, vcc_lo
	s_waitcnt vmcnt(0)
	v_fmac_f32_e32 v1, v15, v6
	v_fmac_f32_e32 v2, v16, v6
	s_delay_alu instid0(VALU_DEP_2) | instskip(NEXT) | instid1(VALU_DEP_2)
	v_fma_f32 v1, -v16, v7, v1
	v_fmac_f32_e32 v2, v15, v7
	s_branch .LBB36_12
.LBB36_15:
	v_dual_mov_b32 v1, s4 :: v_dual_mov_b32 v2, s5
	flat_load_b32 v10, v[1:2]
	v_cndmask_b32_e64 v1, 0, 1, s6
	v_mov_b32_e32 v11, s5
	s_and_not1_b32 vcc_lo, exec_lo, s6
	s_cbranch_vccnz .LBB36_2
.LBB36_16:
	v_dual_mov_b32 v2, s4 :: v_dual_mov_b32 v3, s5
	flat_load_b32 v11, v[2:3] offset:4
	v_cmp_ne_u32_e32 vcc_lo, 1, v1
	v_mov_b32_e32 v8, s2
	s_cbranch_vccnz .LBB36_3
.LBB36_17:
	v_dual_mov_b32 v2, s2 :: v_dual_mov_b32 v3, s3
	flat_load_b32 v8, v[2:3]
	v_cmp_ne_u32_e32 vcc_lo, 1, v1
	v_mov_b32_e32 v9, s3
	s_cbranch_vccz .LBB36_4
	s_branch .LBB36_5
.LBB36_18:
	s_set_inst_prefetch_distance 0x2
	s_and_b32 vcc_lo, exec_lo, s11
	ds_store_b64 v12, v[1:2]
	s_waitcnt lgkmcnt(0)
	s_barrier
	buffer_gl0_inv
	s_cbranch_vccz .LBB36_30
; %bb.19:
	s_mov_b32 s0, exec_lo
	v_cmpx_gt_u16_e32 5, v13
	s_cbranch_execz .LBB36_21
; %bb.20:
	ds_load_2addr_b64 v[3:6], v12 offset1:16
	s_waitcnt lgkmcnt(0)
	v_dual_add_f32 v3, v5, v3 :: v_dual_add_f32 v4, v6, v4
	ds_store_b64 v12, v[3:4]
.LBB36_21:
	s_or_b32 exec_lo, exec_lo, s0
	s_delay_alu instid0(SALU_CYCLE_1)
	s_mov_b32 s0, exec_lo
	s_waitcnt lgkmcnt(0)
	s_barrier
	buffer_gl0_inv
	v_cmpx_gt_u16_e32 8, v13
	s_cbranch_execz .LBB36_23
; %bb.22:
	ds_load_2addr_b64 v[3:6], v12 offset1:8
	s_waitcnt lgkmcnt(0)
	v_dual_add_f32 v3, v5, v3 :: v_dual_add_f32 v4, v6, v4
	ds_store_b64 v12, v[3:4]
.LBB36_23:
	s_or_b32 exec_lo, exec_lo, s0
	s_delay_alu instid0(SALU_CYCLE_1)
	s_mov_b32 s0, exec_lo
	s_waitcnt lgkmcnt(0)
	s_barrier
	buffer_gl0_inv
	;; [unrolled: 14-line block ×3, first 2 shown]
	v_cmpx_gt_u16_e32 2, v13
	s_cbranch_execz .LBB36_27
; %bb.26:
	ds_load_2addr_b64 v[3:6], v12 offset1:2
	s_waitcnt lgkmcnt(0)
	v_dual_add_f32 v3, v5, v3 :: v_dual_add_f32 v4, v6, v4
	ds_store_b64 v12, v[3:4]
.LBB36_27:
	s_or_b32 exec_lo, exec_lo, s0
	s_mov_b32 s1, 0
	s_mov_b32 s0, 0
	s_mov_b32 s4, exec_lo
	s_waitcnt lgkmcnt(0)
	s_barrier
	buffer_gl0_inv
                                        ; implicit-def: $vgpr4
                                        ; implicit-def: $vgpr3
	v_cmpx_gt_u32_e32 21, v0
	s_xor_b32 s4, exec_lo, s4
; %bb.28:
	v_mul_u32_u24_e32 v3, 21, v0
	s_mov_b32 s0, exec_lo
	s_delay_alu instid0(VALU_DEP_1)
	v_lshlrev_b32_e32 v4, 3, v3
	v_mad_u32_u24 v3, v0, 21, 1
; %bb.29:
	s_or_b32 exec_lo, exec_lo, s4
	s_delay_alu instid0(SALU_CYCLE_1)
	s_and_b32 vcc_lo, exec_lo, s1
	s_cbranch_vccnz .LBB36_31
	s_branch .LBB36_42
.LBB36_30:
	s_mov_b32 s0, 0
                                        ; implicit-def: $vgpr4
                                        ; implicit-def: $vgpr3
	s_cbranch_execz .LBB36_42
.LBB36_31:
	s_mov_b32 s1, exec_lo
	v_cmpx_gt_u32_e32 0x69, v0
	s_cbranch_execz .LBB36_33
; %bb.32:
	ds_load_b64 v[3:4], v12 offset:2688
	ds_load_b64 v[5:6], v12
	s_waitcnt lgkmcnt(0)
	v_dual_add_f32 v3, v3, v5 :: v_dual_add_f32 v4, v4, v6
	ds_store_b64 v12, v[3:4]
.LBB36_33:
	s_or_b32 exec_lo, exec_lo, s1
	s_delay_alu instid0(SALU_CYCLE_1)
	s_mov_b32 s1, exec_lo
	s_waitcnt lgkmcnt(0)
	s_barrier
	buffer_gl0_inv
	v_cmpx_gt_u32_e32 0xa8, v0
	s_cbranch_execz .LBB36_35
; %bb.34:
	ds_load_2addr_b64 v[3:6], v12 offset1:168
	s_waitcnt lgkmcnt(0)
	v_dual_add_f32 v3, v5, v3 :: v_dual_add_f32 v4, v6, v4
	ds_store_b64 v12, v[3:4]
.LBB36_35:
	s_or_b32 exec_lo, exec_lo, s1
	s_delay_alu instid0(SALU_CYCLE_1)
	s_mov_b32 s1, exec_lo
	s_waitcnt lgkmcnt(0)
	s_barrier
	buffer_gl0_inv
	v_cmpx_gt_u32_e32 0x54, v0
	s_cbranch_execz .LBB36_37
; %bb.36:
	ds_load_2addr_b64 v[3:6], v12 offset1:84
	s_waitcnt lgkmcnt(0)
	v_dual_add_f32 v3, v5, v3 :: v_dual_add_f32 v4, v6, v4
	ds_store_b64 v12, v[3:4]
.LBB36_37:
	s_or_b32 exec_lo, exec_lo, s1
	s_delay_alu instid0(SALU_CYCLE_1)
	s_mov_b32 s1, exec_lo
	s_waitcnt lgkmcnt(0)
	s_barrier
	buffer_gl0_inv
	v_cmpx_gt_u32_e32 42, v0
	s_cbranch_execz .LBB36_39
; %bb.38:
	ds_load_2addr_b64 v[3:6], v12 offset1:42
	s_waitcnt lgkmcnt(0)
	v_dual_add_f32 v3, v5, v3 :: v_dual_add_f32 v4, v6, v4
	ds_store_b64 v12, v[3:4]
.LBB36_39:
	s_or_b32 exec_lo, exec_lo, s1
	s_delay_alu instid0(SALU_CYCLE_1)
	s_mov_b32 s1, exec_lo
	s_waitcnt lgkmcnt(0)
	buffer_gl0_inv
                                        ; implicit-def: $vgpr3
	v_cmpx_gt_u32_e32 21, v0
; %bb.40:
	v_add_nc_u32_e32 v3, 21, v0
	s_or_b32 s0, s0, exec_lo
                                        ; implicit-def: $vgpr2
; %bb.41:
	s_or_b32 exec_lo, exec_lo, s1
	v_mov_b32_e32 v4, v12
.LBB36_42:
	s_and_saveexec_b32 s1, s0
	s_cbranch_execnz .LBB36_45
; %bb.43:
	s_or_b32 exec_lo, exec_lo, s1
	v_cmp_gt_u32_e32 vcc_lo, 21, v0
	s_and_b32 exec_lo, exec_lo, vcc_lo
	s_cbranch_execnz .LBB36_46
.LBB36_44:
	s_nop 0
	s_sendmsg sendmsg(MSG_DEALLOC_VGPRS)
	s_endpgm
.LBB36_45:
	v_lshlrev_b32_e32 v3, 3, v3
	ds_load_2addr_b32 v[1:2], v4 offset1:1
	ds_load_b64 v[3:4], v3
	s_waitcnt lgkmcnt(0)
	v_dual_add_f32 v2, v4, v2 :: v_dual_add_f32 v1, v3, v1
	s_or_b32 exec_lo, exec_lo, s1
	v_cmp_gt_u32_e32 vcc_lo, 21, v0
	s_and_b32 exec_lo, exec_lo, vcc_lo
	s_cbranch_execz .LBB36_44
.LBB36_46:
	v_mul_f32_e64 v3, v2, -v11
	v_mul_f32_e32 v4, v2, v10
	v_cmp_eq_f32_e32 vcc_lo, 0, v8
	v_cmp_eq_f32_e64 s0, 0, v9
	s_delay_alu instid0(VALU_DEP_4) | instskip(NEXT) | instid1(VALU_DEP_4)
	v_fmac_f32_e32 v3, v10, v1
	v_fmac_f32_e32 v4, v11, v1
	s_delay_alu instid0(VALU_DEP_3) | instskip(NEXT) | instid1(SALU_CYCLE_1)
	s_and_b32 s0, vcc_lo, s0
	s_and_saveexec_b32 s1, s0
	s_delay_alu instid0(SALU_CYCLE_1)
	s_xor_b32 s0, exec_lo, s1
	s_cbranch_execz .LBB36_48
; %bb.47:
	v_mad_u64_u32 v[1:2], null, s8, 21, v[0:1]
	v_mov_b32_e32 v2, 0
                                        ; implicit-def: $vgpr8
                                        ; implicit-def: $vgpr9
	s_delay_alu instid0(VALU_DEP_1) | instskip(NEXT) | instid1(VALU_DEP_1)
	v_lshlrev_b64 v[0:1], 3, v[1:2]
	v_add_co_u32 v0, vcc_lo, s2, v0
	s_delay_alu instid0(VALU_DEP_2)
	v_add_co_ci_u32_e32 v1, vcc_lo, s3, v1, vcc_lo
	global_store_b64 v[0:1], v[3:4], off
                                        ; implicit-def: $vgpr0
                                        ; implicit-def: $vgpr3
.LBB36_48:
	s_and_not1_saveexec_b32 s0, s0
	s_cbranch_execz .LBB36_44
; %bb.49:
	v_mad_u64_u32 v[1:2], null, s8, 21, v[0:1]
	v_mov_b32_e32 v2, 0
	s_delay_alu instid0(VALU_DEP_1) | instskip(NEXT) | instid1(VALU_DEP_1)
	v_lshlrev_b64 v[0:1], 3, v[1:2]
	v_add_co_u32 v0, vcc_lo, s2, v0
	s_delay_alu instid0(VALU_DEP_2) | instskip(SKIP_4) | instid1(VALU_DEP_2)
	v_add_co_ci_u32_e32 v1, vcc_lo, s3, v1, vcc_lo
	global_load_b64 v[5:6], v[0:1], off
	s_waitcnt vmcnt(0)
	v_fmac_f32_e32 v3, v8, v5
	v_fmac_f32_e32 v4, v9, v5
	v_fma_f32 v3, -v9, v6, v3
	s_delay_alu instid0(VALU_DEP_2)
	v_fmac_f32_e32 v4, v8, v6
	global_store_b64 v[0:1], v[3:4], off
	s_nop 0
	s_sendmsg sendmsg(MSG_DEALLOC_VGPRS)
	s_endpgm
	.section	.rodata,"a",@progbits
	.p2align	6, 0x0
	.amdhsa_kernel _ZN9rocsparseL20bsrxmvn_17_32_kernelILj21E21rocsparse_complex_numIfEiiS2_S2_S2_EEvT2_20rocsparse_direction_NS_24const_host_device_scalarIT0_EES3_PKS3_PKT1_SC_S9_PKT3_PKT4_S7_PT5_21rocsparse_index_base_b
		.amdhsa_group_segment_fixed_size 3528
		.amdhsa_private_segment_fixed_size 0
		.amdhsa_kernarg_size 96
		.amdhsa_user_sgpr_count 15
		.amdhsa_user_sgpr_dispatch_ptr 0
		.amdhsa_user_sgpr_queue_ptr 0
		.amdhsa_user_sgpr_kernarg_segment_ptr 1
		.amdhsa_user_sgpr_dispatch_id 0
		.amdhsa_user_sgpr_private_segment_size 0
		.amdhsa_wavefront_size32 1
		.amdhsa_uses_dynamic_stack 0
		.amdhsa_enable_private_segment 0
		.amdhsa_system_sgpr_workgroup_id_x 1
		.amdhsa_system_sgpr_workgroup_id_y 0
		.amdhsa_system_sgpr_workgroup_id_z 0
		.amdhsa_system_sgpr_workgroup_info 0
		.amdhsa_system_vgpr_workitem_id 0
		.amdhsa_next_free_vgpr 17
		.amdhsa_next_free_sgpr 16
		.amdhsa_reserve_vcc 1
		.amdhsa_float_round_mode_32 0
		.amdhsa_float_round_mode_16_64 0
		.amdhsa_float_denorm_mode_32 3
		.amdhsa_float_denorm_mode_16_64 3
		.amdhsa_dx10_clamp 1
		.amdhsa_ieee_mode 1
		.amdhsa_fp16_overflow 0
		.amdhsa_workgroup_processor_mode 1
		.amdhsa_memory_ordered 1
		.amdhsa_forward_progress 0
		.amdhsa_shared_vgpr_count 0
		.amdhsa_exception_fp_ieee_invalid_op 0
		.amdhsa_exception_fp_denorm_src 0
		.amdhsa_exception_fp_ieee_div_zero 0
		.amdhsa_exception_fp_ieee_overflow 0
		.amdhsa_exception_fp_ieee_underflow 0
		.amdhsa_exception_fp_ieee_inexact 0
		.amdhsa_exception_int_div_zero 0
	.end_amdhsa_kernel
	.section	.text._ZN9rocsparseL20bsrxmvn_17_32_kernelILj21E21rocsparse_complex_numIfEiiS2_S2_S2_EEvT2_20rocsparse_direction_NS_24const_host_device_scalarIT0_EES3_PKS3_PKT1_SC_S9_PKT3_PKT4_S7_PT5_21rocsparse_index_base_b,"axG",@progbits,_ZN9rocsparseL20bsrxmvn_17_32_kernelILj21E21rocsparse_complex_numIfEiiS2_S2_S2_EEvT2_20rocsparse_direction_NS_24const_host_device_scalarIT0_EES3_PKS3_PKT1_SC_S9_PKT3_PKT4_S7_PT5_21rocsparse_index_base_b,comdat
.Lfunc_end36:
	.size	_ZN9rocsparseL20bsrxmvn_17_32_kernelILj21E21rocsparse_complex_numIfEiiS2_S2_S2_EEvT2_20rocsparse_direction_NS_24const_host_device_scalarIT0_EES3_PKS3_PKT1_SC_S9_PKT3_PKT4_S7_PT5_21rocsparse_index_base_b, .Lfunc_end36-_ZN9rocsparseL20bsrxmvn_17_32_kernelILj21E21rocsparse_complex_numIfEiiS2_S2_S2_EEvT2_20rocsparse_direction_NS_24const_host_device_scalarIT0_EES3_PKS3_PKT1_SC_S9_PKT3_PKT4_S7_PT5_21rocsparse_index_base_b
                                        ; -- End function
	.section	.AMDGPU.csdata,"",@progbits
; Kernel info:
; codeLenInByte = 1848
; NumSgprs: 18
; NumVgprs: 17
; ScratchSize: 0
; MemoryBound: 0
; FloatMode: 240
; IeeeMode: 1
; LDSByteSize: 3528 bytes/workgroup (compile time only)
; SGPRBlocks: 2
; VGPRBlocks: 2
; NumSGPRsForWavesPerEU: 18
; NumVGPRsForWavesPerEU: 17
; Occupancy: 14
; WaveLimiterHint : 1
; COMPUTE_PGM_RSRC2:SCRATCH_EN: 0
; COMPUTE_PGM_RSRC2:USER_SGPR: 15
; COMPUTE_PGM_RSRC2:TRAP_HANDLER: 0
; COMPUTE_PGM_RSRC2:TGID_X_EN: 1
; COMPUTE_PGM_RSRC2:TGID_Y_EN: 0
; COMPUTE_PGM_RSRC2:TGID_Z_EN: 0
; COMPUTE_PGM_RSRC2:TIDIG_COMP_CNT: 0
	.section	.text._ZN9rocsparseL20bsrxmvn_17_32_kernelILj22E21rocsparse_complex_numIfEiiS2_S2_S2_EEvT2_20rocsparse_direction_NS_24const_host_device_scalarIT0_EES3_PKS3_PKT1_SC_S9_PKT3_PKT4_S7_PT5_21rocsparse_index_base_b,"axG",@progbits,_ZN9rocsparseL20bsrxmvn_17_32_kernelILj22E21rocsparse_complex_numIfEiiS2_S2_S2_EEvT2_20rocsparse_direction_NS_24const_host_device_scalarIT0_EES3_PKS3_PKT1_SC_S9_PKT3_PKT4_S7_PT5_21rocsparse_index_base_b,comdat
	.globl	_ZN9rocsparseL20bsrxmvn_17_32_kernelILj22E21rocsparse_complex_numIfEiiS2_S2_S2_EEvT2_20rocsparse_direction_NS_24const_host_device_scalarIT0_EES3_PKS3_PKT1_SC_S9_PKT3_PKT4_S7_PT5_21rocsparse_index_base_b ; -- Begin function _ZN9rocsparseL20bsrxmvn_17_32_kernelILj22E21rocsparse_complex_numIfEiiS2_S2_S2_EEvT2_20rocsparse_direction_NS_24const_host_device_scalarIT0_EES3_PKS3_PKT1_SC_S9_PKT3_PKT4_S7_PT5_21rocsparse_index_base_b
	.p2align	8
	.type	_ZN9rocsparseL20bsrxmvn_17_32_kernelILj22E21rocsparse_complex_numIfEiiS2_S2_S2_EEvT2_20rocsparse_direction_NS_24const_host_device_scalarIT0_EES3_PKS3_PKT1_SC_S9_PKT3_PKT4_S7_PT5_21rocsparse_index_base_b,@function
_ZN9rocsparseL20bsrxmvn_17_32_kernelILj22E21rocsparse_complex_numIfEiiS2_S2_S2_EEvT2_20rocsparse_direction_NS_24const_host_device_scalarIT0_EES3_PKS3_PKT1_SC_S9_PKT3_PKT4_S7_PT5_21rocsparse_index_base_b: ; @_ZN9rocsparseL20bsrxmvn_17_32_kernelILj22E21rocsparse_complex_numIfEiiS2_S2_S2_EEvT2_20rocsparse_direction_NS_24const_host_device_scalarIT0_EES3_PKS3_PKT1_SC_S9_PKT3_PKT4_S7_PT5_21rocsparse_index_base_b
; %bb.0:
	s_clause 0x2
	s_load_b64 s[10:11], s[0:1], 0x58
	s_load_b64 s[4:5], s[0:1], 0x8
	;; [unrolled: 1-line block ×3, first 2 shown]
	s_mov_b32 s8, s15
	s_waitcnt lgkmcnt(0)
	s_bitcmp1_b32 s11, 0
	v_mov_b32_e32 v10, s4
	s_cselect_b32 s6, -1, 0
	s_delay_alu instid0(SALU_CYCLE_1)
	s_and_b32 vcc_lo, exec_lo, s6
	s_xor_b32 s6, s6, -1
	s_cbranch_vccz .LBB37_15
; %bb.1:
	v_cndmask_b32_e64 v1, 0, 1, s6
	v_mov_b32_e32 v11, s5
	s_and_not1_b32 vcc_lo, exec_lo, s6
	s_cbranch_vccz .LBB37_16
.LBB37_2:
	s_delay_alu instid0(VALU_DEP_2)
	v_cmp_ne_u32_e32 vcc_lo, 1, v1
	v_mov_b32_e32 v8, s2
	s_cbranch_vccz .LBB37_17
.LBB37_3:
	v_cmp_ne_u32_e32 vcc_lo, 1, v1
	v_mov_b32_e32 v9, s3
	s_cbranch_vccnz .LBB37_5
.LBB37_4:
	v_dual_mov_b32 v1, s2 :: v_dual_mov_b32 v2, s3
	flat_load_b32 v9, v[1:2] offset:4
.LBB37_5:
	s_waitcnt vmcnt(0) lgkmcnt(0)
	v_cmp_eq_f32_e32 vcc_lo, 0, v10
	v_cmp_eq_f32_e64 s2, 0, v11
	s_delay_alu instid0(VALU_DEP_1)
	s_and_b32 s4, vcc_lo, s2
	s_mov_b32 s2, -1
	s_and_saveexec_b32 s3, s4
; %bb.6:
	v_cmp_neq_f32_e32 vcc_lo, 1.0, v8
	v_cmp_neq_f32_e64 s2, 0, v9
	s_delay_alu instid0(VALU_DEP_1) | instskip(NEXT) | instid1(SALU_CYCLE_1)
	s_or_b32 s2, vcc_lo, s2
	s_or_not1_b32 s2, s2, exec_lo
; %bb.7:
	s_or_b32 exec_lo, exec_lo, s3
	s_and_saveexec_b32 s3, s2
	s_cbranch_execz .LBB37_44
; %bb.8:
	s_clause 0x1
	s_load_b128 s[4:7], s[0:1], 0x18
	s_load_b64 s[2:3], s[0:1], 0x28
	s_waitcnt lgkmcnt(0)
	s_cmp_eq_u64 s[4:5], 0
	s_cbranch_scc1 .LBB37_10
; %bb.9:
	s_ashr_i32 s9, s8, 31
	s_delay_alu instid0(SALU_CYCLE_1) | instskip(NEXT) | instid1(SALU_CYCLE_1)
	s_lshl_b64 s[8:9], s[8:9], 2
	s_add_u32 s4, s4, s8
	s_addc_u32 s5, s5, s9
	s_load_b32 s4, s[4:5], 0x0
	s_waitcnt lgkmcnt(0)
	s_sub_i32 s8, s4, s10
.LBB37_10:
	s_load_b32 s4, s[0:1], 0x4
	v_mul_u32_u24_e32 v1, 0xba3, v0
	v_mov_b32_e32 v2, 0
	v_lshlrev_b32_e32 v12, 3, v0
	s_delay_alu instid0(VALU_DEP_3) | instskip(NEXT) | instid1(VALU_DEP_1)
	v_lshrrev_b32_e32 v3, 16, v1
	v_mul_lo_u16 v1, v3, 22
	s_delay_alu instid0(VALU_DEP_1)
	v_sub_nc_u16 v13, v0, v1
	v_mov_b32_e32 v1, 0
	s_waitcnt lgkmcnt(0)
	s_cmp_eq_u32 s4, 1
	s_cselect_b32 vcc_lo, -1, 0
	s_cmp_lg_u32 s4, 1
	s_cselect_b32 s11, -1, 0
	s_ashr_i32 s9, s8, 31
	s_delay_alu instid0(SALU_CYCLE_1) | instskip(NEXT) | instid1(SALU_CYCLE_1)
	s_lshl_b64 s[4:5], s[8:9], 2
	s_add_u32 s6, s6, s4
	s_addc_u32 s7, s7, s5
	s_add_u32 s9, s6, 4
	s_addc_u32 s12, s7, 0
	;; [unrolled: 2-line block ×3, first 2 shown]
	s_cmp_eq_u64 s[2:3], 0
	s_cselect_b32 s3, s12, s5
	s_cselect_b32 s2, s9, s4
	s_load_b32 s12, s[6:7], 0x0
	s_load_b32 s9, s[2:3], 0x0
	s_load_b64 s[2:3], s[0:1], 0x50
	s_waitcnt lgkmcnt(0)
	s_cmp_ge_i32 s12, s9
	s_cbranch_scc1 .LBB37_18
; %bb.11:
	v_mul_lo_u16 v1, v3, 12
	s_clause 0x1
	s_load_b128 s[4:7], s[0:1], 0x30
	s_load_b64 s[0:1], s[0:1], 0x40
	v_and_b32_e32 v5, 0xffff, v13
	s_sub_i32 s12, s12, s10
	v_lshrrev_b16 v1, 8, v1
	s_mul_i32 s14, s12, 0xf20
	s_sub_i32 s9, s9, s10
	s_mul_hi_i32 s13, s12, 0xf20
	s_delay_alu instid0(VALU_DEP_1) | instskip(NEXT) | instid1(VALU_DEP_1)
	v_mul_lo_u16 v1, v1, 22
	v_sub_nc_u16 v1, v3, v1
	s_delay_alu instid0(VALU_DEP_1)
	v_and_b32_e32 v1, 0xff, v1
	v_and_b32_e32 v2, 0xffff, v0
	s_waitcnt lgkmcnt(0)
	s_add_u32 s6, s6, s14
	s_addc_u32 s7, s7, s13
	v_cndmask_b32_e32 v5, v5, v1, vcc_lo
	v_mul_u32_u24_e32 v6, 0x10f, v2
	v_mov_b32_e32 v2, 0
	v_lshlrev_b32_e32 v4, 3, v0
	s_delay_alu instid0(VALU_DEP_3) | instskip(NEXT) | instid1(VALU_DEP_3)
	v_lshrrev_b32_e32 v14, 17, v6
	v_mov_b32_e32 v1, v2
	s_delay_alu instid0(VALU_DEP_3) | instskip(NEXT) | instid1(VALU_DEP_1)
	v_add_co_u32 v3, s6, s6, v4
	v_add_co_ci_u32_e64 v4, null, s7, 0, s6
	s_set_inst_prefetch_distance 0x1
	s_branch .LBB37_13
	.p2align	6
.LBB37_12:                              ;   in Loop: Header=BB37_13 Depth=1
	s_or_b32 exec_lo, exec_lo, s6
	s_add_i32 s12, s12, 1
	s_delay_alu instid0(SALU_CYCLE_1)
	s_cmp_lt_i32 s12, s9
	s_cbranch_scc0 .LBB37_18
.LBB37_13:                              ; =>This Inner Loop Header: Depth=1
	v_add_nc_u32_e32 v6, s12, v14
	s_mov_b32 s6, exec_lo
	s_delay_alu instid0(VALU_DEP_1)
	v_cmpx_gt_i32_e64 s9, v6
	s_cbranch_execz .LBB37_12
; %bb.14:                               ;   in Loop: Header=BB37_13 Depth=1
	v_ashrrev_i32_e32 v7, 31, v6
	s_delay_alu instid0(VALU_DEP_1) | instskip(NEXT) | instid1(VALU_DEP_1)
	v_lshlrev_b64 v[6:7], 2, v[6:7]
	v_add_co_u32 v6, vcc_lo, s4, v6
	s_delay_alu instid0(VALU_DEP_2) | instskip(SKIP_3) | instid1(VALU_DEP_1)
	v_add_co_ci_u32_e32 v7, vcc_lo, s5, v7, vcc_lo
	global_load_b32 v6, v[6:7], off
	s_waitcnt vmcnt(0)
	v_subrev_nc_u32_e32 v15, s10, v6
	v_mad_u64_u32 v[6:7], null, v15, 22, v[5:6]
	s_delay_alu instid0(VALU_DEP_1) | instskip(NEXT) | instid1(VALU_DEP_1)
	v_ashrrev_i32_e32 v7, 31, v6
	v_lshlrev_b64 v[6:7], 3, v[6:7]
	s_delay_alu instid0(VALU_DEP_1) | instskip(NEXT) | instid1(VALU_DEP_2)
	v_add_co_u32 v6, vcc_lo, s0, v6
	v_add_co_ci_u32_e32 v7, vcc_lo, s1, v7, vcc_lo
	global_load_b64 v[15:16], v[3:4], off
	global_load_b64 v[6:7], v[6:7], off
	v_add_co_u32 v3, vcc_lo, 0xf20, v3
	v_add_co_ci_u32_e32 v4, vcc_lo, 0, v4, vcc_lo
	s_waitcnt vmcnt(0)
	v_fmac_f32_e32 v1, v15, v6
	v_fmac_f32_e32 v2, v16, v6
	s_delay_alu instid0(VALU_DEP_2) | instskip(NEXT) | instid1(VALU_DEP_2)
	v_fma_f32 v1, -v16, v7, v1
	v_fmac_f32_e32 v2, v15, v7
	s_branch .LBB37_12
.LBB37_15:
	v_dual_mov_b32 v1, s4 :: v_dual_mov_b32 v2, s5
	flat_load_b32 v10, v[1:2]
	v_cndmask_b32_e64 v1, 0, 1, s6
	v_mov_b32_e32 v11, s5
	s_and_not1_b32 vcc_lo, exec_lo, s6
	s_cbranch_vccnz .LBB37_2
.LBB37_16:
	v_dual_mov_b32 v2, s4 :: v_dual_mov_b32 v3, s5
	flat_load_b32 v11, v[2:3] offset:4
	v_cmp_ne_u32_e32 vcc_lo, 1, v1
	v_mov_b32_e32 v8, s2
	s_cbranch_vccnz .LBB37_3
.LBB37_17:
	v_dual_mov_b32 v2, s2 :: v_dual_mov_b32 v3, s3
	flat_load_b32 v8, v[2:3]
	v_cmp_ne_u32_e32 vcc_lo, 1, v1
	v_mov_b32_e32 v9, s3
	s_cbranch_vccz .LBB37_4
	s_branch .LBB37_5
.LBB37_18:
	s_set_inst_prefetch_distance 0x2
	s_and_b32 vcc_lo, exec_lo, s11
	ds_store_b64 v12, v[1:2]
	s_waitcnt lgkmcnt(0)
	s_barrier
	buffer_gl0_inv
	s_cbranch_vccz .LBB37_30
; %bb.19:
	s_mov_b32 s0, exec_lo
	v_cmpx_gt_u16_e32 6, v13
	s_cbranch_execz .LBB37_21
; %bb.20:
	ds_load_2addr_b64 v[3:6], v12 offset1:16
	s_waitcnt lgkmcnt(0)
	v_dual_add_f32 v3, v5, v3 :: v_dual_add_f32 v4, v6, v4
	ds_store_b64 v12, v[3:4]
.LBB37_21:
	s_or_b32 exec_lo, exec_lo, s0
	s_delay_alu instid0(SALU_CYCLE_1)
	s_mov_b32 s0, exec_lo
	s_waitcnt lgkmcnt(0)
	s_barrier
	buffer_gl0_inv
	v_cmpx_gt_u16_e32 8, v13
	s_cbranch_execz .LBB37_23
; %bb.22:
	ds_load_2addr_b64 v[3:6], v12 offset1:8
	s_waitcnt lgkmcnt(0)
	v_dual_add_f32 v3, v5, v3 :: v_dual_add_f32 v4, v6, v4
	ds_store_b64 v12, v[3:4]
.LBB37_23:
	s_or_b32 exec_lo, exec_lo, s0
	s_delay_alu instid0(SALU_CYCLE_1)
	s_mov_b32 s0, exec_lo
	s_waitcnt lgkmcnt(0)
	s_barrier
	buffer_gl0_inv
	;; [unrolled: 14-line block ×3, first 2 shown]
	v_cmpx_gt_u16_e32 2, v13
	s_cbranch_execz .LBB37_27
; %bb.26:
	ds_load_2addr_b64 v[3:6], v12 offset1:2
	s_waitcnt lgkmcnt(0)
	v_dual_add_f32 v3, v5, v3 :: v_dual_add_f32 v4, v6, v4
	ds_store_b64 v12, v[3:4]
.LBB37_27:
	s_or_b32 exec_lo, exec_lo, s0
	s_mov_b32 s1, 0
	s_mov_b32 s0, 0
	s_mov_b32 s4, exec_lo
	s_waitcnt lgkmcnt(0)
	s_barrier
	buffer_gl0_inv
                                        ; implicit-def: $vgpr4
                                        ; implicit-def: $vgpr3
	v_cmpx_gt_u32_e32 22, v0
	s_xor_b32 s4, exec_lo, s4
; %bb.28:
	v_mul_u32_u24_e32 v3, 22, v0
	s_mov_b32 s0, exec_lo
	s_delay_alu instid0(VALU_DEP_1)
	v_lshlrev_b32_e32 v4, 3, v3
	v_or_b32_e32 v3, 1, v3
; %bb.29:
	s_or_b32 exec_lo, exec_lo, s4
	s_delay_alu instid0(SALU_CYCLE_1)
	s_and_b32 vcc_lo, exec_lo, s1
	s_cbranch_vccnz .LBB37_31
	s_branch .LBB37_42
.LBB37_30:
	s_mov_b32 s0, 0
                                        ; implicit-def: $vgpr4
                                        ; implicit-def: $vgpr3
	s_cbranch_execz .LBB37_42
.LBB37_31:
	s_mov_b32 s1, exec_lo
	v_cmpx_gt_u32_e32 0x84, v0
	s_cbranch_execz .LBB37_33
; %bb.32:
	ds_load_b64 v[3:4], v12 offset:2816
	ds_load_b64 v[5:6], v12
	s_waitcnt lgkmcnt(0)
	v_dual_add_f32 v3, v3, v5 :: v_dual_add_f32 v4, v4, v6
	ds_store_b64 v12, v[3:4]
.LBB37_33:
	s_or_b32 exec_lo, exec_lo, s1
	s_delay_alu instid0(SALU_CYCLE_1)
	s_mov_b32 s1, exec_lo
	s_waitcnt lgkmcnt(0)
	s_barrier
	buffer_gl0_inv
	v_cmpx_gt_u32_e32 0xb0, v0
	s_cbranch_execz .LBB37_35
; %bb.34:
	ds_load_2addr_b64 v[3:6], v12 offset1:176
	s_waitcnt lgkmcnt(0)
	v_dual_add_f32 v3, v5, v3 :: v_dual_add_f32 v4, v6, v4
	ds_store_b64 v12, v[3:4]
.LBB37_35:
	s_or_b32 exec_lo, exec_lo, s1
	s_delay_alu instid0(SALU_CYCLE_1)
	s_mov_b32 s1, exec_lo
	s_waitcnt lgkmcnt(0)
	s_barrier
	buffer_gl0_inv
	v_cmpx_gt_u32_e32 0x58, v0
	s_cbranch_execz .LBB37_37
; %bb.36:
	ds_load_2addr_b64 v[3:6], v12 offset1:88
	s_waitcnt lgkmcnt(0)
	v_dual_add_f32 v3, v5, v3 :: v_dual_add_f32 v4, v6, v4
	ds_store_b64 v12, v[3:4]
.LBB37_37:
	;; [unrolled: 14-line block ×3, first 2 shown]
	s_or_b32 exec_lo, exec_lo, s1
	s_delay_alu instid0(SALU_CYCLE_1)
	s_mov_b32 s1, exec_lo
	s_waitcnt lgkmcnt(0)
	buffer_gl0_inv
                                        ; implicit-def: $vgpr3
	v_cmpx_gt_u32_e32 22, v0
; %bb.40:
	v_add_nc_u32_e32 v3, 22, v0
	s_or_b32 s0, s0, exec_lo
                                        ; implicit-def: $vgpr2
; %bb.41:
	s_or_b32 exec_lo, exec_lo, s1
	v_mov_b32_e32 v4, v12
.LBB37_42:
	s_and_saveexec_b32 s1, s0
	s_cbranch_execnz .LBB37_45
; %bb.43:
	s_or_b32 exec_lo, exec_lo, s1
	v_cmp_gt_u32_e32 vcc_lo, 22, v0
	s_and_b32 exec_lo, exec_lo, vcc_lo
	s_cbranch_execnz .LBB37_46
.LBB37_44:
	s_nop 0
	s_sendmsg sendmsg(MSG_DEALLOC_VGPRS)
	s_endpgm
.LBB37_45:
	v_lshlrev_b32_e32 v3, 3, v3
	ds_load_2addr_b32 v[1:2], v4 offset1:1
	ds_load_b64 v[3:4], v3
	s_waitcnt lgkmcnt(0)
	v_dual_add_f32 v2, v4, v2 :: v_dual_add_f32 v1, v3, v1
	s_or_b32 exec_lo, exec_lo, s1
	v_cmp_gt_u32_e32 vcc_lo, 22, v0
	s_and_b32 exec_lo, exec_lo, vcc_lo
	s_cbranch_execz .LBB37_44
.LBB37_46:
	v_mul_f32_e64 v3, v2, -v11
	v_mul_f32_e32 v4, v2, v10
	v_cmp_eq_f32_e32 vcc_lo, 0, v8
	v_cmp_eq_f32_e64 s0, 0, v9
	s_delay_alu instid0(VALU_DEP_4) | instskip(NEXT) | instid1(VALU_DEP_4)
	v_fmac_f32_e32 v3, v10, v1
	v_fmac_f32_e32 v4, v11, v1
	s_delay_alu instid0(VALU_DEP_3) | instskip(NEXT) | instid1(SALU_CYCLE_1)
	s_and_b32 s0, vcc_lo, s0
	s_and_saveexec_b32 s1, s0
	s_delay_alu instid0(SALU_CYCLE_1)
	s_xor_b32 s0, exec_lo, s1
	s_cbranch_execz .LBB37_48
; %bb.47:
	v_mad_u64_u32 v[1:2], null, s8, 22, v[0:1]
	v_mov_b32_e32 v2, 0
                                        ; implicit-def: $vgpr8
                                        ; implicit-def: $vgpr9
	s_delay_alu instid0(VALU_DEP_1) | instskip(NEXT) | instid1(VALU_DEP_1)
	v_lshlrev_b64 v[0:1], 3, v[1:2]
	v_add_co_u32 v0, vcc_lo, s2, v0
	s_delay_alu instid0(VALU_DEP_2)
	v_add_co_ci_u32_e32 v1, vcc_lo, s3, v1, vcc_lo
	global_store_b64 v[0:1], v[3:4], off
                                        ; implicit-def: $vgpr0
                                        ; implicit-def: $vgpr3
.LBB37_48:
	s_and_not1_saveexec_b32 s0, s0
	s_cbranch_execz .LBB37_44
; %bb.49:
	v_mad_u64_u32 v[1:2], null, s8, 22, v[0:1]
	v_mov_b32_e32 v2, 0
	s_delay_alu instid0(VALU_DEP_1) | instskip(NEXT) | instid1(VALU_DEP_1)
	v_lshlrev_b64 v[0:1], 3, v[1:2]
	v_add_co_u32 v0, vcc_lo, s2, v0
	s_delay_alu instid0(VALU_DEP_2) | instskip(SKIP_4) | instid1(VALU_DEP_2)
	v_add_co_ci_u32_e32 v1, vcc_lo, s3, v1, vcc_lo
	global_load_b64 v[5:6], v[0:1], off
	s_waitcnt vmcnt(0)
	v_fmac_f32_e32 v3, v8, v5
	v_fmac_f32_e32 v4, v9, v5
	v_fma_f32 v3, -v9, v6, v3
	s_delay_alu instid0(VALU_DEP_2)
	v_fmac_f32_e32 v4, v8, v6
	global_store_b64 v[0:1], v[3:4], off
	s_nop 0
	s_sendmsg sendmsg(MSG_DEALLOC_VGPRS)
	s_endpgm
	.section	.rodata,"a",@progbits
	.p2align	6, 0x0
	.amdhsa_kernel _ZN9rocsparseL20bsrxmvn_17_32_kernelILj22E21rocsparse_complex_numIfEiiS2_S2_S2_EEvT2_20rocsparse_direction_NS_24const_host_device_scalarIT0_EES3_PKS3_PKT1_SC_S9_PKT3_PKT4_S7_PT5_21rocsparse_index_base_b
		.amdhsa_group_segment_fixed_size 3872
		.amdhsa_private_segment_fixed_size 0
		.amdhsa_kernarg_size 96
		.amdhsa_user_sgpr_count 15
		.amdhsa_user_sgpr_dispatch_ptr 0
		.amdhsa_user_sgpr_queue_ptr 0
		.amdhsa_user_sgpr_kernarg_segment_ptr 1
		.amdhsa_user_sgpr_dispatch_id 0
		.amdhsa_user_sgpr_private_segment_size 0
		.amdhsa_wavefront_size32 1
		.amdhsa_uses_dynamic_stack 0
		.amdhsa_enable_private_segment 0
		.amdhsa_system_sgpr_workgroup_id_x 1
		.amdhsa_system_sgpr_workgroup_id_y 0
		.amdhsa_system_sgpr_workgroup_id_z 0
		.amdhsa_system_sgpr_workgroup_info 0
		.amdhsa_system_vgpr_workitem_id 0
		.amdhsa_next_free_vgpr 17
		.amdhsa_next_free_sgpr 16
		.amdhsa_reserve_vcc 1
		.amdhsa_float_round_mode_32 0
		.amdhsa_float_round_mode_16_64 0
		.amdhsa_float_denorm_mode_32 3
		.amdhsa_float_denorm_mode_16_64 3
		.amdhsa_dx10_clamp 1
		.amdhsa_ieee_mode 1
		.amdhsa_fp16_overflow 0
		.amdhsa_workgroup_processor_mode 1
		.amdhsa_memory_ordered 1
		.amdhsa_forward_progress 0
		.amdhsa_shared_vgpr_count 0
		.amdhsa_exception_fp_ieee_invalid_op 0
		.amdhsa_exception_fp_denorm_src 0
		.amdhsa_exception_fp_ieee_div_zero 0
		.amdhsa_exception_fp_ieee_overflow 0
		.amdhsa_exception_fp_ieee_underflow 0
		.amdhsa_exception_fp_ieee_inexact 0
		.amdhsa_exception_int_div_zero 0
	.end_amdhsa_kernel
	.section	.text._ZN9rocsparseL20bsrxmvn_17_32_kernelILj22E21rocsparse_complex_numIfEiiS2_S2_S2_EEvT2_20rocsparse_direction_NS_24const_host_device_scalarIT0_EES3_PKS3_PKT1_SC_S9_PKT3_PKT4_S7_PT5_21rocsparse_index_base_b,"axG",@progbits,_ZN9rocsparseL20bsrxmvn_17_32_kernelILj22E21rocsparse_complex_numIfEiiS2_S2_S2_EEvT2_20rocsparse_direction_NS_24const_host_device_scalarIT0_EES3_PKS3_PKT1_SC_S9_PKT3_PKT4_S7_PT5_21rocsparse_index_base_b,comdat
.Lfunc_end37:
	.size	_ZN9rocsparseL20bsrxmvn_17_32_kernelILj22E21rocsparse_complex_numIfEiiS2_S2_S2_EEvT2_20rocsparse_direction_NS_24const_host_device_scalarIT0_EES3_PKS3_PKT1_SC_S9_PKT3_PKT4_S7_PT5_21rocsparse_index_base_b, .Lfunc_end37-_ZN9rocsparseL20bsrxmvn_17_32_kernelILj22E21rocsparse_complex_numIfEiiS2_S2_S2_EEvT2_20rocsparse_direction_NS_24const_host_device_scalarIT0_EES3_PKS3_PKT1_SC_S9_PKT3_PKT4_S7_PT5_21rocsparse_index_base_b
                                        ; -- End function
	.section	.AMDGPU.csdata,"",@progbits
; Kernel info:
; codeLenInByte = 1844
; NumSgprs: 18
; NumVgprs: 17
; ScratchSize: 0
; MemoryBound: 0
; FloatMode: 240
; IeeeMode: 1
; LDSByteSize: 3872 bytes/workgroup (compile time only)
; SGPRBlocks: 2
; VGPRBlocks: 2
; NumSGPRsForWavesPerEU: 18
; NumVGPRsForWavesPerEU: 17
; Occupancy: 16
; WaveLimiterHint : 1
; COMPUTE_PGM_RSRC2:SCRATCH_EN: 0
; COMPUTE_PGM_RSRC2:USER_SGPR: 15
; COMPUTE_PGM_RSRC2:TRAP_HANDLER: 0
; COMPUTE_PGM_RSRC2:TGID_X_EN: 1
; COMPUTE_PGM_RSRC2:TGID_Y_EN: 0
; COMPUTE_PGM_RSRC2:TGID_Z_EN: 0
; COMPUTE_PGM_RSRC2:TIDIG_COMP_CNT: 0
	.section	.text._ZN9rocsparseL20bsrxmvn_17_32_kernelILj23E21rocsparse_complex_numIfEiiS2_S2_S2_EEvT2_20rocsparse_direction_NS_24const_host_device_scalarIT0_EES3_PKS3_PKT1_SC_S9_PKT3_PKT4_S7_PT5_21rocsparse_index_base_b,"axG",@progbits,_ZN9rocsparseL20bsrxmvn_17_32_kernelILj23E21rocsparse_complex_numIfEiiS2_S2_S2_EEvT2_20rocsparse_direction_NS_24const_host_device_scalarIT0_EES3_PKS3_PKT1_SC_S9_PKT3_PKT4_S7_PT5_21rocsparse_index_base_b,comdat
	.globl	_ZN9rocsparseL20bsrxmvn_17_32_kernelILj23E21rocsparse_complex_numIfEiiS2_S2_S2_EEvT2_20rocsparse_direction_NS_24const_host_device_scalarIT0_EES3_PKS3_PKT1_SC_S9_PKT3_PKT4_S7_PT5_21rocsparse_index_base_b ; -- Begin function _ZN9rocsparseL20bsrxmvn_17_32_kernelILj23E21rocsparse_complex_numIfEiiS2_S2_S2_EEvT2_20rocsparse_direction_NS_24const_host_device_scalarIT0_EES3_PKS3_PKT1_SC_S9_PKT3_PKT4_S7_PT5_21rocsparse_index_base_b
	.p2align	8
	.type	_ZN9rocsparseL20bsrxmvn_17_32_kernelILj23E21rocsparse_complex_numIfEiiS2_S2_S2_EEvT2_20rocsparse_direction_NS_24const_host_device_scalarIT0_EES3_PKS3_PKT1_SC_S9_PKT3_PKT4_S7_PT5_21rocsparse_index_base_b,@function
_ZN9rocsparseL20bsrxmvn_17_32_kernelILj23E21rocsparse_complex_numIfEiiS2_S2_S2_EEvT2_20rocsparse_direction_NS_24const_host_device_scalarIT0_EES3_PKS3_PKT1_SC_S9_PKT3_PKT4_S7_PT5_21rocsparse_index_base_b: ; @_ZN9rocsparseL20bsrxmvn_17_32_kernelILj23E21rocsparse_complex_numIfEiiS2_S2_S2_EEvT2_20rocsparse_direction_NS_24const_host_device_scalarIT0_EES3_PKS3_PKT1_SC_S9_PKT3_PKT4_S7_PT5_21rocsparse_index_base_b
; %bb.0:
	s_clause 0x2
	s_load_b64 s[10:11], s[0:1], 0x58
	s_load_b64 s[4:5], s[0:1], 0x8
	;; [unrolled: 1-line block ×3, first 2 shown]
	s_mov_b32 s8, s15
	s_waitcnt lgkmcnt(0)
	s_bitcmp1_b32 s11, 0
	v_mov_b32_e32 v10, s4
	s_cselect_b32 s6, -1, 0
	s_delay_alu instid0(SALU_CYCLE_1)
	s_and_b32 vcc_lo, exec_lo, s6
	s_xor_b32 s6, s6, -1
	s_cbranch_vccz .LBB38_15
; %bb.1:
	v_cndmask_b32_e64 v1, 0, 1, s6
	v_mov_b32_e32 v11, s5
	s_and_not1_b32 vcc_lo, exec_lo, s6
	s_cbranch_vccz .LBB38_16
.LBB38_2:
	s_delay_alu instid0(VALU_DEP_2)
	v_cmp_ne_u32_e32 vcc_lo, 1, v1
	v_mov_b32_e32 v8, s2
	s_cbranch_vccz .LBB38_17
.LBB38_3:
	v_cmp_ne_u32_e32 vcc_lo, 1, v1
	v_mov_b32_e32 v9, s3
	s_cbranch_vccnz .LBB38_5
.LBB38_4:
	v_dual_mov_b32 v1, s2 :: v_dual_mov_b32 v2, s3
	flat_load_b32 v9, v[1:2] offset:4
.LBB38_5:
	s_waitcnt vmcnt(0) lgkmcnt(0)
	v_cmp_eq_f32_e32 vcc_lo, 0, v10
	v_cmp_eq_f32_e64 s2, 0, v11
	s_delay_alu instid0(VALU_DEP_1)
	s_and_b32 s4, vcc_lo, s2
	s_mov_b32 s2, -1
	s_and_saveexec_b32 s3, s4
; %bb.6:
	v_cmp_neq_f32_e32 vcc_lo, 1.0, v8
	v_cmp_neq_f32_e64 s2, 0, v9
	s_delay_alu instid0(VALU_DEP_1) | instskip(NEXT) | instid1(SALU_CYCLE_1)
	s_or_b32 s2, vcc_lo, s2
	s_or_not1_b32 s2, s2, exec_lo
; %bb.7:
	s_or_b32 exec_lo, exec_lo, s3
	s_and_saveexec_b32 s3, s2
	s_cbranch_execz .LBB38_44
; %bb.8:
	s_clause 0x1
	s_load_b128 s[4:7], s[0:1], 0x18
	s_load_b64 s[2:3], s[0:1], 0x28
	s_waitcnt lgkmcnt(0)
	s_cmp_eq_u64 s[4:5], 0
	s_cbranch_scc1 .LBB38_10
; %bb.9:
	s_ashr_i32 s9, s8, 31
	s_delay_alu instid0(SALU_CYCLE_1) | instskip(NEXT) | instid1(SALU_CYCLE_1)
	s_lshl_b64 s[8:9], s[8:9], 2
	s_add_u32 s4, s4, s8
	s_addc_u32 s5, s5, s9
	s_load_b32 s4, s[4:5], 0x0
	s_waitcnt lgkmcnt(0)
	s_sub_i32 s8, s4, s10
.LBB38_10:
	s_load_b32 s4, s[0:1], 0x4
	v_mul_u32_u24_e32 v1, 0xb22, v0
	v_mov_b32_e32 v2, 0
	v_lshlrev_b32_e32 v12, 3, v0
	s_delay_alu instid0(VALU_DEP_3) | instskip(NEXT) | instid1(VALU_DEP_1)
	v_lshrrev_b32_e32 v3, 16, v1
	v_mul_lo_u16 v1, v3, 23
	s_delay_alu instid0(VALU_DEP_1)
	v_sub_nc_u16 v13, v0, v1
	v_mov_b32_e32 v1, 0
	s_waitcnt lgkmcnt(0)
	s_cmp_eq_u32 s4, 1
	s_cselect_b32 vcc_lo, -1, 0
	s_cmp_lg_u32 s4, 1
	s_cselect_b32 s11, -1, 0
	s_ashr_i32 s9, s8, 31
	s_delay_alu instid0(SALU_CYCLE_1) | instskip(NEXT) | instid1(SALU_CYCLE_1)
	s_lshl_b64 s[4:5], s[8:9], 2
	s_add_u32 s6, s6, s4
	s_addc_u32 s7, s7, s5
	s_add_u32 s9, s6, 4
	s_addc_u32 s12, s7, 0
	;; [unrolled: 2-line block ×3, first 2 shown]
	s_cmp_eq_u64 s[2:3], 0
	s_cselect_b32 s3, s12, s5
	s_cselect_b32 s2, s9, s4
	s_load_b32 s9, s[6:7], 0x0
	s_load_b32 s14, s[2:3], 0x0
	s_load_b64 s[2:3], s[0:1], 0x50
	s_waitcnt lgkmcnt(0)
	s_cmp_ge_i32 s9, s14
	s_cbranch_scc1 .LBB38_18
; %bb.11:
	s_clause 0x1
	s_load_b128 s[4:7], s[0:1], 0x30
	s_load_b64 s[12:13], s[0:1], 0x40
	v_and_b32_e32 v1, 0xffff, v3
	v_cmp_gt_u32_e64 s0, 0x211, v0
	s_sub_i32 s9, s9, s10
	v_and_b32_e32 v3, 0xffff, v13
	s_sub_i32 s1, s14, s10
	v_subrev_nc_u32_e32 v2, 23, v1
	s_mul_i32 s14, s9, 0x1088
	s_delay_alu instid0(VALU_DEP_1) | instskip(SKIP_2) | instid1(VALU_DEP_3)
	v_cndmask_b32_e64 v1, v2, v1, s0
	v_mov_b32_e32 v2, 0
	v_cmp_lt_u32_e64 s0, 0x210, v0
	v_dual_cndmask_b32 v3, v3, v1 :: v_dual_lshlrev_b32 v4, 3, v0
	s_delay_alu instid0(VALU_DEP_3) | instskip(NEXT) | instid1(VALU_DEP_3)
	v_mov_b32_e32 v1, v2
	v_cndmask_b32_e64 v14, 0, 1, s0
	s_mul_hi_i32 s0, s9, 0x1088
	s_waitcnt lgkmcnt(0)
	s_add_u32 s6, s6, s14
	s_addc_u32 s0, s7, s0
	v_add_co_u32 v4, s6, s6, v4
	s_delay_alu instid0(VALU_DEP_1)
	v_add_co_ci_u32_e64 v5, null, s0, 0, s6
	s_set_inst_prefetch_distance 0x1
	s_branch .LBB38_13
	.p2align	6
.LBB38_12:                              ;   in Loop: Header=BB38_13 Depth=1
	s_or_b32 exec_lo, exec_lo, s0
	s_add_i32 s9, s9, 1
	s_delay_alu instid0(SALU_CYCLE_1)
	s_cmp_lt_i32 s9, s1
	s_cbranch_scc0 .LBB38_18
.LBB38_13:                              ; =>This Inner Loop Header: Depth=1
	v_add_nc_u32_e32 v6, s9, v14
	s_mov_b32 s0, exec_lo
	s_delay_alu instid0(VALU_DEP_1)
	v_cmpx_gt_i32_e64 s1, v6
	s_cbranch_execz .LBB38_12
; %bb.14:                               ;   in Loop: Header=BB38_13 Depth=1
	v_ashrrev_i32_e32 v7, 31, v6
	s_delay_alu instid0(VALU_DEP_1) | instskip(NEXT) | instid1(VALU_DEP_1)
	v_lshlrev_b64 v[6:7], 2, v[6:7]
	v_add_co_u32 v6, vcc_lo, s4, v6
	s_delay_alu instid0(VALU_DEP_2) | instskip(SKIP_3) | instid1(VALU_DEP_1)
	v_add_co_ci_u32_e32 v7, vcc_lo, s5, v7, vcc_lo
	global_load_b32 v6, v[6:7], off
	s_waitcnt vmcnt(0)
	v_subrev_nc_u32_e32 v15, s10, v6
	v_mad_u64_u32 v[6:7], null, v15, 23, v[3:4]
	s_delay_alu instid0(VALU_DEP_1) | instskip(NEXT) | instid1(VALU_DEP_1)
	v_ashrrev_i32_e32 v7, 31, v6
	v_lshlrev_b64 v[6:7], 3, v[6:7]
	s_delay_alu instid0(VALU_DEP_1) | instskip(NEXT) | instid1(VALU_DEP_2)
	v_add_co_u32 v6, vcc_lo, s12, v6
	v_add_co_ci_u32_e32 v7, vcc_lo, s13, v7, vcc_lo
	global_load_b64 v[15:16], v[4:5], off
	global_load_b64 v[6:7], v[6:7], off
	v_add_co_u32 v4, vcc_lo, 0x1088, v4
	v_add_co_ci_u32_e32 v5, vcc_lo, 0, v5, vcc_lo
	s_waitcnt vmcnt(0)
	v_fmac_f32_e32 v1, v15, v6
	v_fmac_f32_e32 v2, v16, v6
	s_delay_alu instid0(VALU_DEP_2) | instskip(NEXT) | instid1(VALU_DEP_2)
	v_fma_f32 v1, -v16, v7, v1
	v_fmac_f32_e32 v2, v15, v7
	s_branch .LBB38_12
.LBB38_15:
	v_dual_mov_b32 v1, s4 :: v_dual_mov_b32 v2, s5
	flat_load_b32 v10, v[1:2]
	v_cndmask_b32_e64 v1, 0, 1, s6
	v_mov_b32_e32 v11, s5
	s_and_not1_b32 vcc_lo, exec_lo, s6
	s_cbranch_vccnz .LBB38_2
.LBB38_16:
	v_dual_mov_b32 v2, s4 :: v_dual_mov_b32 v3, s5
	flat_load_b32 v11, v[2:3] offset:4
	v_cmp_ne_u32_e32 vcc_lo, 1, v1
	v_mov_b32_e32 v8, s2
	s_cbranch_vccnz .LBB38_3
.LBB38_17:
	v_dual_mov_b32 v2, s2 :: v_dual_mov_b32 v3, s3
	flat_load_b32 v8, v[2:3]
	v_cmp_ne_u32_e32 vcc_lo, 1, v1
	v_mov_b32_e32 v9, s3
	s_cbranch_vccz .LBB38_4
	s_branch .LBB38_5
.LBB38_18:
	s_set_inst_prefetch_distance 0x2
	s_and_b32 vcc_lo, exec_lo, s11
	ds_store_b64 v12, v[1:2]
	s_waitcnt lgkmcnt(0)
	s_barrier
	buffer_gl0_inv
	s_cbranch_vccz .LBB38_30
; %bb.19:
	s_mov_b32 s0, exec_lo
	v_cmpx_gt_u16_e32 7, v13
	s_cbranch_execz .LBB38_21
; %bb.20:
	ds_load_2addr_b64 v[3:6], v12 offset1:16
	s_waitcnt lgkmcnt(0)
	v_dual_add_f32 v3, v5, v3 :: v_dual_add_f32 v4, v6, v4
	ds_store_b64 v12, v[3:4]
.LBB38_21:
	s_or_b32 exec_lo, exec_lo, s0
	s_delay_alu instid0(SALU_CYCLE_1)
	s_mov_b32 s0, exec_lo
	s_waitcnt lgkmcnt(0)
	s_barrier
	buffer_gl0_inv
	v_cmpx_gt_u16_e32 8, v13
	s_cbranch_execz .LBB38_23
; %bb.22:
	ds_load_2addr_b64 v[3:6], v12 offset1:8
	s_waitcnt lgkmcnt(0)
	v_dual_add_f32 v3, v5, v3 :: v_dual_add_f32 v4, v6, v4
	ds_store_b64 v12, v[3:4]
.LBB38_23:
	s_or_b32 exec_lo, exec_lo, s0
	s_delay_alu instid0(SALU_CYCLE_1)
	s_mov_b32 s0, exec_lo
	s_waitcnt lgkmcnt(0)
	s_barrier
	buffer_gl0_inv
	;; [unrolled: 14-line block ×3, first 2 shown]
	v_cmpx_gt_u16_e32 2, v13
	s_cbranch_execz .LBB38_27
; %bb.26:
	ds_load_2addr_b64 v[3:6], v12 offset1:2
	s_waitcnt lgkmcnt(0)
	v_dual_add_f32 v3, v5, v3 :: v_dual_add_f32 v4, v6, v4
	ds_store_b64 v12, v[3:4]
.LBB38_27:
	s_or_b32 exec_lo, exec_lo, s0
	s_mov_b32 s1, 0
	s_mov_b32 s0, 0
	s_mov_b32 s4, exec_lo
	s_waitcnt lgkmcnt(0)
	s_barrier
	buffer_gl0_inv
                                        ; implicit-def: $vgpr4
                                        ; implicit-def: $vgpr3
	v_cmpx_gt_u32_e32 23, v0
	s_xor_b32 s4, exec_lo, s4
; %bb.28:
	v_mul_u32_u24_e32 v3, 23, v0
	s_mov_b32 s0, exec_lo
	s_delay_alu instid0(VALU_DEP_1)
	v_lshlrev_b32_e32 v4, 3, v3
	v_mad_u32_u24 v3, v0, 23, 1
; %bb.29:
	s_or_b32 exec_lo, exec_lo, s4
	s_delay_alu instid0(SALU_CYCLE_1)
	s_and_b32 vcc_lo, exec_lo, s1
	s_cbranch_vccnz .LBB38_31
	s_branch .LBB38_42
.LBB38_30:
	s_mov_b32 s0, 0
                                        ; implicit-def: $vgpr4
                                        ; implicit-def: $vgpr3
	s_cbranch_execz .LBB38_42
.LBB38_31:
	s_mov_b32 s1, exec_lo
	v_cmpx_gt_u32_e32 0xa1, v0
	s_cbranch_execz .LBB38_33
; %bb.32:
	ds_load_b64 v[3:4], v12 offset:2944
	ds_load_b64 v[5:6], v12
	s_waitcnt lgkmcnt(0)
	v_dual_add_f32 v3, v3, v5 :: v_dual_add_f32 v4, v4, v6
	ds_store_b64 v12, v[3:4]
.LBB38_33:
	s_or_b32 exec_lo, exec_lo, s1
	s_delay_alu instid0(SALU_CYCLE_1)
	s_mov_b32 s1, exec_lo
	s_waitcnt lgkmcnt(0)
	s_barrier
	buffer_gl0_inv
	v_cmpx_gt_u32_e32 0xb8, v0
	s_cbranch_execz .LBB38_35
; %bb.34:
	ds_load_2addr_b64 v[3:6], v12 offset1:184
	s_waitcnt lgkmcnt(0)
	v_dual_add_f32 v3, v5, v3 :: v_dual_add_f32 v4, v6, v4
	ds_store_b64 v12, v[3:4]
.LBB38_35:
	s_or_b32 exec_lo, exec_lo, s1
	s_delay_alu instid0(SALU_CYCLE_1)
	s_mov_b32 s1, exec_lo
	s_waitcnt lgkmcnt(0)
	s_barrier
	buffer_gl0_inv
	v_cmpx_gt_u32_e32 0x5c, v0
	s_cbranch_execz .LBB38_37
; %bb.36:
	ds_load_2addr_b64 v[3:6], v12 offset1:92
	s_waitcnt lgkmcnt(0)
	v_dual_add_f32 v3, v5, v3 :: v_dual_add_f32 v4, v6, v4
	ds_store_b64 v12, v[3:4]
.LBB38_37:
	s_or_b32 exec_lo, exec_lo, s1
	s_delay_alu instid0(SALU_CYCLE_1)
	s_mov_b32 s1, exec_lo
	s_waitcnt lgkmcnt(0)
	s_barrier
	buffer_gl0_inv
	v_cmpx_gt_u32_e32 46, v0
	s_cbranch_execz .LBB38_39
; %bb.38:
	ds_load_2addr_b64 v[3:6], v12 offset1:46
	s_waitcnt lgkmcnt(0)
	v_dual_add_f32 v3, v5, v3 :: v_dual_add_f32 v4, v6, v4
	ds_store_b64 v12, v[3:4]
.LBB38_39:
	s_or_b32 exec_lo, exec_lo, s1
	s_delay_alu instid0(SALU_CYCLE_1)
	s_mov_b32 s1, exec_lo
	s_waitcnt lgkmcnt(0)
	buffer_gl0_inv
                                        ; implicit-def: $vgpr3
	v_cmpx_gt_u32_e32 23, v0
; %bb.40:
	v_add_nc_u32_e32 v3, 23, v0
	s_or_b32 s0, s0, exec_lo
                                        ; implicit-def: $vgpr2
; %bb.41:
	s_or_b32 exec_lo, exec_lo, s1
	v_mov_b32_e32 v4, v12
.LBB38_42:
	s_and_saveexec_b32 s1, s0
	s_cbranch_execnz .LBB38_45
; %bb.43:
	s_or_b32 exec_lo, exec_lo, s1
	v_cmp_gt_u32_e32 vcc_lo, 23, v0
	s_and_b32 exec_lo, exec_lo, vcc_lo
	s_cbranch_execnz .LBB38_46
.LBB38_44:
	s_nop 0
	s_sendmsg sendmsg(MSG_DEALLOC_VGPRS)
	s_endpgm
.LBB38_45:
	v_lshlrev_b32_e32 v3, 3, v3
	ds_load_2addr_b32 v[1:2], v4 offset1:1
	ds_load_b64 v[3:4], v3
	s_waitcnt lgkmcnt(0)
	v_dual_add_f32 v2, v4, v2 :: v_dual_add_f32 v1, v3, v1
	s_or_b32 exec_lo, exec_lo, s1
	v_cmp_gt_u32_e32 vcc_lo, 23, v0
	s_and_b32 exec_lo, exec_lo, vcc_lo
	s_cbranch_execz .LBB38_44
.LBB38_46:
	v_mul_f32_e64 v3, v2, -v11
	v_mul_f32_e32 v4, v2, v10
	v_cmp_eq_f32_e32 vcc_lo, 0, v8
	v_cmp_eq_f32_e64 s0, 0, v9
	s_delay_alu instid0(VALU_DEP_4) | instskip(NEXT) | instid1(VALU_DEP_4)
	v_fmac_f32_e32 v3, v10, v1
	v_fmac_f32_e32 v4, v11, v1
	s_delay_alu instid0(VALU_DEP_3) | instskip(NEXT) | instid1(SALU_CYCLE_1)
	s_and_b32 s0, vcc_lo, s0
	s_and_saveexec_b32 s1, s0
	s_delay_alu instid0(SALU_CYCLE_1)
	s_xor_b32 s0, exec_lo, s1
	s_cbranch_execz .LBB38_48
; %bb.47:
	v_mad_u64_u32 v[1:2], null, s8, 23, v[0:1]
	v_mov_b32_e32 v2, 0
                                        ; implicit-def: $vgpr8
                                        ; implicit-def: $vgpr9
	s_delay_alu instid0(VALU_DEP_1) | instskip(NEXT) | instid1(VALU_DEP_1)
	v_lshlrev_b64 v[0:1], 3, v[1:2]
	v_add_co_u32 v0, vcc_lo, s2, v0
	s_delay_alu instid0(VALU_DEP_2)
	v_add_co_ci_u32_e32 v1, vcc_lo, s3, v1, vcc_lo
	global_store_b64 v[0:1], v[3:4], off
                                        ; implicit-def: $vgpr0
                                        ; implicit-def: $vgpr3
.LBB38_48:
	s_and_not1_saveexec_b32 s0, s0
	s_cbranch_execz .LBB38_44
; %bb.49:
	v_mad_u64_u32 v[1:2], null, s8, 23, v[0:1]
	v_mov_b32_e32 v2, 0
	s_delay_alu instid0(VALU_DEP_1) | instskip(NEXT) | instid1(VALU_DEP_1)
	v_lshlrev_b64 v[0:1], 3, v[1:2]
	v_add_co_u32 v0, vcc_lo, s2, v0
	s_delay_alu instid0(VALU_DEP_2) | instskip(SKIP_4) | instid1(VALU_DEP_2)
	v_add_co_ci_u32_e32 v1, vcc_lo, s3, v1, vcc_lo
	global_load_b64 v[5:6], v[0:1], off
	s_waitcnt vmcnt(0)
	v_fmac_f32_e32 v3, v8, v5
	v_fmac_f32_e32 v4, v9, v5
	v_fma_f32 v3, -v9, v6, v3
	s_delay_alu instid0(VALU_DEP_2)
	v_fmac_f32_e32 v4, v8, v6
	global_store_b64 v[0:1], v[3:4], off
	s_nop 0
	s_sendmsg sendmsg(MSG_DEALLOC_VGPRS)
	s_endpgm
	.section	.rodata,"a",@progbits
	.p2align	6, 0x0
	.amdhsa_kernel _ZN9rocsparseL20bsrxmvn_17_32_kernelILj23E21rocsparse_complex_numIfEiiS2_S2_S2_EEvT2_20rocsparse_direction_NS_24const_host_device_scalarIT0_EES3_PKS3_PKT1_SC_S9_PKT3_PKT4_S7_PT5_21rocsparse_index_base_b
		.amdhsa_group_segment_fixed_size 4232
		.amdhsa_private_segment_fixed_size 0
		.amdhsa_kernarg_size 96
		.amdhsa_user_sgpr_count 15
		.amdhsa_user_sgpr_dispatch_ptr 0
		.amdhsa_user_sgpr_queue_ptr 0
		.amdhsa_user_sgpr_kernarg_segment_ptr 1
		.amdhsa_user_sgpr_dispatch_id 0
		.amdhsa_user_sgpr_private_segment_size 0
		.amdhsa_wavefront_size32 1
		.amdhsa_uses_dynamic_stack 0
		.amdhsa_enable_private_segment 0
		.amdhsa_system_sgpr_workgroup_id_x 1
		.amdhsa_system_sgpr_workgroup_id_y 0
		.amdhsa_system_sgpr_workgroup_id_z 0
		.amdhsa_system_sgpr_workgroup_info 0
		.amdhsa_system_vgpr_workitem_id 0
		.amdhsa_next_free_vgpr 17
		.amdhsa_next_free_sgpr 16
		.amdhsa_reserve_vcc 1
		.amdhsa_float_round_mode_32 0
		.amdhsa_float_round_mode_16_64 0
		.amdhsa_float_denorm_mode_32 3
		.amdhsa_float_denorm_mode_16_64 3
		.amdhsa_dx10_clamp 1
		.amdhsa_ieee_mode 1
		.amdhsa_fp16_overflow 0
		.amdhsa_workgroup_processor_mode 1
		.amdhsa_memory_ordered 1
		.amdhsa_forward_progress 0
		.amdhsa_shared_vgpr_count 0
		.amdhsa_exception_fp_ieee_invalid_op 0
		.amdhsa_exception_fp_denorm_src 0
		.amdhsa_exception_fp_ieee_div_zero 0
		.amdhsa_exception_fp_ieee_overflow 0
		.amdhsa_exception_fp_ieee_underflow 0
		.amdhsa_exception_fp_ieee_inexact 0
		.amdhsa_exception_int_div_zero 0
	.end_amdhsa_kernel
	.section	.text._ZN9rocsparseL20bsrxmvn_17_32_kernelILj23E21rocsparse_complex_numIfEiiS2_S2_S2_EEvT2_20rocsparse_direction_NS_24const_host_device_scalarIT0_EES3_PKS3_PKT1_SC_S9_PKT3_PKT4_S7_PT5_21rocsparse_index_base_b,"axG",@progbits,_ZN9rocsparseL20bsrxmvn_17_32_kernelILj23E21rocsparse_complex_numIfEiiS2_S2_S2_EEvT2_20rocsparse_direction_NS_24const_host_device_scalarIT0_EES3_PKS3_PKT1_SC_S9_PKT3_PKT4_S7_PT5_21rocsparse_index_base_b,comdat
.Lfunc_end38:
	.size	_ZN9rocsparseL20bsrxmvn_17_32_kernelILj23E21rocsparse_complex_numIfEiiS2_S2_S2_EEvT2_20rocsparse_direction_NS_24const_host_device_scalarIT0_EES3_PKS3_PKT1_SC_S9_PKT3_PKT4_S7_PT5_21rocsparse_index_base_b, .Lfunc_end38-_ZN9rocsparseL20bsrxmvn_17_32_kernelILj23E21rocsparse_complex_numIfEiiS2_S2_S2_EEvT2_20rocsparse_direction_NS_24const_host_device_scalarIT0_EES3_PKS3_PKT1_SC_S9_PKT3_PKT4_S7_PT5_21rocsparse_index_base_b
                                        ; -- End function
	.section	.AMDGPU.csdata,"",@progbits
; Kernel info:
; codeLenInByte = 1836
; NumSgprs: 18
; NumVgprs: 17
; ScratchSize: 0
; MemoryBound: 0
; FloatMode: 240
; IeeeMode: 1
; LDSByteSize: 4232 bytes/workgroup (compile time only)
; SGPRBlocks: 2
; VGPRBlocks: 2
; NumSGPRsForWavesPerEU: 18
; NumVGPRsForWavesPerEU: 17
; Occupancy: 13
; WaveLimiterHint : 1
; COMPUTE_PGM_RSRC2:SCRATCH_EN: 0
; COMPUTE_PGM_RSRC2:USER_SGPR: 15
; COMPUTE_PGM_RSRC2:TRAP_HANDLER: 0
; COMPUTE_PGM_RSRC2:TGID_X_EN: 1
; COMPUTE_PGM_RSRC2:TGID_Y_EN: 0
; COMPUTE_PGM_RSRC2:TGID_Z_EN: 0
; COMPUTE_PGM_RSRC2:TIDIG_COMP_CNT: 0
	.section	.text._ZN9rocsparseL20bsrxmvn_17_32_kernelILj24E21rocsparse_complex_numIfEiiS2_S2_S2_EEvT2_20rocsparse_direction_NS_24const_host_device_scalarIT0_EES3_PKS3_PKT1_SC_S9_PKT3_PKT4_S7_PT5_21rocsparse_index_base_b,"axG",@progbits,_ZN9rocsparseL20bsrxmvn_17_32_kernelILj24E21rocsparse_complex_numIfEiiS2_S2_S2_EEvT2_20rocsparse_direction_NS_24const_host_device_scalarIT0_EES3_PKS3_PKT1_SC_S9_PKT3_PKT4_S7_PT5_21rocsparse_index_base_b,comdat
	.globl	_ZN9rocsparseL20bsrxmvn_17_32_kernelILj24E21rocsparse_complex_numIfEiiS2_S2_S2_EEvT2_20rocsparse_direction_NS_24const_host_device_scalarIT0_EES3_PKS3_PKT1_SC_S9_PKT3_PKT4_S7_PT5_21rocsparse_index_base_b ; -- Begin function _ZN9rocsparseL20bsrxmvn_17_32_kernelILj24E21rocsparse_complex_numIfEiiS2_S2_S2_EEvT2_20rocsparse_direction_NS_24const_host_device_scalarIT0_EES3_PKS3_PKT1_SC_S9_PKT3_PKT4_S7_PT5_21rocsparse_index_base_b
	.p2align	8
	.type	_ZN9rocsparseL20bsrxmvn_17_32_kernelILj24E21rocsparse_complex_numIfEiiS2_S2_S2_EEvT2_20rocsparse_direction_NS_24const_host_device_scalarIT0_EES3_PKS3_PKT1_SC_S9_PKT3_PKT4_S7_PT5_21rocsparse_index_base_b,@function
_ZN9rocsparseL20bsrxmvn_17_32_kernelILj24E21rocsparse_complex_numIfEiiS2_S2_S2_EEvT2_20rocsparse_direction_NS_24const_host_device_scalarIT0_EES3_PKS3_PKT1_SC_S9_PKT3_PKT4_S7_PT5_21rocsparse_index_base_b: ; @_ZN9rocsparseL20bsrxmvn_17_32_kernelILj24E21rocsparse_complex_numIfEiiS2_S2_S2_EEvT2_20rocsparse_direction_NS_24const_host_device_scalarIT0_EES3_PKS3_PKT1_SC_S9_PKT3_PKT4_S7_PT5_21rocsparse_index_base_b
; %bb.0:
	s_clause 0x2
	s_load_b64 s[10:11], s[0:1], 0x58
	s_load_b64 s[4:5], s[0:1], 0x8
	;; [unrolled: 1-line block ×3, first 2 shown]
	s_mov_b32 s8, s15
	s_waitcnt lgkmcnt(0)
	s_bitcmp1_b32 s11, 0
	v_mov_b32_e32 v10, s4
	s_cselect_b32 s6, -1, 0
	s_delay_alu instid0(SALU_CYCLE_1)
	s_and_b32 vcc_lo, exec_lo, s6
	s_xor_b32 s6, s6, -1
	s_cbranch_vccz .LBB39_15
; %bb.1:
	v_cndmask_b32_e64 v1, 0, 1, s6
	v_mov_b32_e32 v11, s5
	s_and_not1_b32 vcc_lo, exec_lo, s6
	s_cbranch_vccz .LBB39_16
.LBB39_2:
	s_delay_alu instid0(VALU_DEP_2)
	v_cmp_ne_u32_e32 vcc_lo, 1, v1
	v_mov_b32_e32 v8, s2
	s_cbranch_vccz .LBB39_17
.LBB39_3:
	v_cmp_ne_u32_e32 vcc_lo, 1, v1
	v_mov_b32_e32 v9, s3
	s_cbranch_vccnz .LBB39_5
.LBB39_4:
	v_dual_mov_b32 v1, s2 :: v_dual_mov_b32 v2, s3
	flat_load_b32 v9, v[1:2] offset:4
.LBB39_5:
	s_waitcnt vmcnt(0) lgkmcnt(0)
	v_cmp_eq_f32_e32 vcc_lo, 0, v10
	v_cmp_eq_f32_e64 s2, 0, v11
	s_delay_alu instid0(VALU_DEP_1)
	s_and_b32 s4, vcc_lo, s2
	s_mov_b32 s2, -1
	s_and_saveexec_b32 s3, s4
; %bb.6:
	v_cmp_neq_f32_e32 vcc_lo, 1.0, v8
	v_cmp_neq_f32_e64 s2, 0, v9
	s_delay_alu instid0(VALU_DEP_1) | instskip(NEXT) | instid1(SALU_CYCLE_1)
	s_or_b32 s2, vcc_lo, s2
	s_or_not1_b32 s2, s2, exec_lo
; %bb.7:
	s_or_b32 exec_lo, exec_lo, s3
	s_and_saveexec_b32 s3, s2
	s_cbranch_execz .LBB39_44
; %bb.8:
	s_clause 0x1
	s_load_b128 s[4:7], s[0:1], 0x18
	s_load_b64 s[2:3], s[0:1], 0x28
	s_waitcnt lgkmcnt(0)
	s_cmp_eq_u64 s[4:5], 0
	s_cbranch_scc1 .LBB39_10
; %bb.9:
	s_ashr_i32 s9, s8, 31
	s_delay_alu instid0(SALU_CYCLE_1) | instskip(NEXT) | instid1(SALU_CYCLE_1)
	s_lshl_b64 s[8:9], s[8:9], 2
	s_add_u32 s4, s4, s8
	s_addc_u32 s5, s5, s9
	s_load_b32 s4, s[4:5], 0x0
	s_waitcnt lgkmcnt(0)
	s_sub_i32 s8, s4, s10
.LBB39_10:
	s_load_b32 s4, s[0:1], 0x4
	v_mul_u32_u24_e32 v1, 0xaab, v0
	v_mov_b32_e32 v2, 0
	v_lshlrev_b32_e32 v12, 3, v0
	s_delay_alu instid0(VALU_DEP_3) | instskip(NEXT) | instid1(VALU_DEP_1)
	v_lshrrev_b32_e32 v3, 16, v1
	v_mul_lo_u16 v1, v3, 24
	s_delay_alu instid0(VALU_DEP_1)
	v_sub_nc_u16 v13, v0, v1
	v_mov_b32_e32 v1, 0
	s_waitcnt lgkmcnt(0)
	s_cmp_eq_u32 s4, 1
	s_cselect_b32 vcc_lo, -1, 0
	s_cmp_lg_u32 s4, 1
	s_cselect_b32 s11, -1, 0
	s_ashr_i32 s9, s8, 31
	s_delay_alu instid0(SALU_CYCLE_1) | instskip(NEXT) | instid1(SALU_CYCLE_1)
	s_lshl_b64 s[4:5], s[8:9], 2
	s_add_u32 s6, s6, s4
	s_addc_u32 s7, s7, s5
	s_add_u32 s9, s6, 4
	s_addc_u32 s12, s7, 0
	;; [unrolled: 2-line block ×3, first 2 shown]
	s_cmp_eq_u64 s[2:3], 0
	s_cselect_b32 s3, s12, s5
	s_cselect_b32 s2, s9, s4
	s_load_b32 s9, s[6:7], 0x0
	s_load_b32 s14, s[2:3], 0x0
	s_load_b64 s[2:3], s[0:1], 0x50
	s_waitcnt lgkmcnt(0)
	s_cmp_ge_i32 s9, s14
	s_cbranch_scc1 .LBB39_18
; %bb.11:
	s_clause 0x1
	s_load_b128 s[4:7], s[0:1], 0x30
	s_load_b64 s[12:13], s[0:1], 0x40
	v_and_b32_e32 v1, 0xffff, v3
	v_cmp_gt_u32_e64 s0, 0x240, v0
	s_sub_i32 s9, s9, s10
	v_and_b32_e32 v3, 0xffff, v13
	s_sub_i32 s1, s14, s10
	v_subrev_nc_u32_e32 v2, 24, v1
	s_mul_i32 s14, s9, 0x1200
	s_delay_alu instid0(VALU_DEP_1) | instskip(SKIP_2) | instid1(VALU_DEP_3)
	v_cndmask_b32_e64 v1, v2, v1, s0
	v_mov_b32_e32 v2, 0
	v_cmp_lt_u32_e64 s0, 0x23f, v0
	v_dual_cndmask_b32 v3, v3, v1 :: v_dual_lshlrev_b32 v4, 3, v0
	s_delay_alu instid0(VALU_DEP_3) | instskip(NEXT) | instid1(VALU_DEP_3)
	v_mov_b32_e32 v1, v2
	v_cndmask_b32_e64 v14, 0, 1, s0
	s_mul_hi_i32 s0, s9, 0x1200
	s_waitcnt lgkmcnt(0)
	s_add_u32 s6, s6, s14
	s_addc_u32 s0, s7, s0
	v_add_co_u32 v4, s6, s6, v4
	s_delay_alu instid0(VALU_DEP_1)
	v_add_co_ci_u32_e64 v5, null, s0, 0, s6
	s_set_inst_prefetch_distance 0x1
	s_branch .LBB39_13
	.p2align	6
.LBB39_12:                              ;   in Loop: Header=BB39_13 Depth=1
	s_or_b32 exec_lo, exec_lo, s0
	s_add_i32 s9, s9, 1
	s_delay_alu instid0(SALU_CYCLE_1)
	s_cmp_lt_i32 s9, s1
	s_cbranch_scc0 .LBB39_18
.LBB39_13:                              ; =>This Inner Loop Header: Depth=1
	v_add_nc_u32_e32 v6, s9, v14
	s_mov_b32 s0, exec_lo
	s_delay_alu instid0(VALU_DEP_1)
	v_cmpx_gt_i32_e64 s1, v6
	s_cbranch_execz .LBB39_12
; %bb.14:                               ;   in Loop: Header=BB39_13 Depth=1
	v_ashrrev_i32_e32 v7, 31, v6
	s_delay_alu instid0(VALU_DEP_1) | instskip(NEXT) | instid1(VALU_DEP_1)
	v_lshlrev_b64 v[6:7], 2, v[6:7]
	v_add_co_u32 v6, vcc_lo, s4, v6
	s_delay_alu instid0(VALU_DEP_2) | instskip(SKIP_3) | instid1(VALU_DEP_1)
	v_add_co_ci_u32_e32 v7, vcc_lo, s5, v7, vcc_lo
	global_load_b32 v6, v[6:7], off
	s_waitcnt vmcnt(0)
	v_subrev_nc_u32_e32 v15, s10, v6
	v_mad_u64_u32 v[6:7], null, v15, 24, v[3:4]
	s_delay_alu instid0(VALU_DEP_1) | instskip(NEXT) | instid1(VALU_DEP_1)
	v_ashrrev_i32_e32 v7, 31, v6
	v_lshlrev_b64 v[6:7], 3, v[6:7]
	s_delay_alu instid0(VALU_DEP_1) | instskip(NEXT) | instid1(VALU_DEP_2)
	v_add_co_u32 v6, vcc_lo, s12, v6
	v_add_co_ci_u32_e32 v7, vcc_lo, s13, v7, vcc_lo
	global_load_b64 v[15:16], v[4:5], off
	global_load_b64 v[6:7], v[6:7], off
	v_add_co_u32 v4, vcc_lo, 0x1200, v4
	v_add_co_ci_u32_e32 v5, vcc_lo, 0, v5, vcc_lo
	s_waitcnt vmcnt(0)
	v_fmac_f32_e32 v1, v15, v6
	v_fmac_f32_e32 v2, v16, v6
	s_delay_alu instid0(VALU_DEP_2) | instskip(NEXT) | instid1(VALU_DEP_2)
	v_fma_f32 v1, -v16, v7, v1
	v_fmac_f32_e32 v2, v15, v7
	s_branch .LBB39_12
.LBB39_15:
	v_dual_mov_b32 v1, s4 :: v_dual_mov_b32 v2, s5
	flat_load_b32 v10, v[1:2]
	v_cndmask_b32_e64 v1, 0, 1, s6
	v_mov_b32_e32 v11, s5
	s_and_not1_b32 vcc_lo, exec_lo, s6
	s_cbranch_vccnz .LBB39_2
.LBB39_16:
	v_dual_mov_b32 v2, s4 :: v_dual_mov_b32 v3, s5
	flat_load_b32 v11, v[2:3] offset:4
	v_cmp_ne_u32_e32 vcc_lo, 1, v1
	v_mov_b32_e32 v8, s2
	s_cbranch_vccnz .LBB39_3
.LBB39_17:
	v_dual_mov_b32 v2, s2 :: v_dual_mov_b32 v3, s3
	flat_load_b32 v8, v[2:3]
	v_cmp_ne_u32_e32 vcc_lo, 1, v1
	v_mov_b32_e32 v9, s3
	s_cbranch_vccz .LBB39_4
	s_branch .LBB39_5
.LBB39_18:
	s_set_inst_prefetch_distance 0x2
	s_and_b32 vcc_lo, exec_lo, s11
	ds_store_b64 v12, v[1:2]
	s_waitcnt lgkmcnt(0)
	s_barrier
	buffer_gl0_inv
	s_cbranch_vccz .LBB39_30
; %bb.19:
	v_cmp_gt_u16_e32 vcc_lo, 8, v13
	s_and_saveexec_b32 s0, vcc_lo
	s_cbranch_execz .LBB39_21
; %bb.20:
	ds_load_2addr_b64 v[3:6], v12 offset1:16
	s_waitcnt lgkmcnt(0)
	v_dual_add_f32 v3, v5, v3 :: v_dual_add_f32 v4, v6, v4
	ds_store_b64 v12, v[3:4]
.LBB39_21:
	s_or_b32 exec_lo, exec_lo, s0
	s_waitcnt lgkmcnt(0)
	s_barrier
	buffer_gl0_inv
	s_and_saveexec_b32 s0, vcc_lo
	s_cbranch_execz .LBB39_23
; %bb.22:
	ds_load_2addr_b64 v[3:6], v12 offset1:8
	s_waitcnt lgkmcnt(0)
	v_dual_add_f32 v3, v5, v3 :: v_dual_add_f32 v4, v6, v4
	ds_store_b64 v12, v[3:4]
.LBB39_23:
	s_or_b32 exec_lo, exec_lo, s0
	s_delay_alu instid0(SALU_CYCLE_1)
	s_mov_b32 s0, exec_lo
	s_waitcnt lgkmcnt(0)
	s_barrier
	buffer_gl0_inv
	v_cmpx_gt_u16_e32 4, v13
	s_cbranch_execz .LBB39_25
; %bb.24:
	ds_load_2addr_b64 v[3:6], v12 offset1:4
	s_waitcnt lgkmcnt(0)
	v_dual_add_f32 v3, v5, v3 :: v_dual_add_f32 v4, v6, v4
	ds_store_b64 v12, v[3:4]
.LBB39_25:
	s_or_b32 exec_lo, exec_lo, s0
	s_delay_alu instid0(SALU_CYCLE_1)
	s_mov_b32 s0, exec_lo
	s_waitcnt lgkmcnt(0)
	s_barrier
	buffer_gl0_inv
	v_cmpx_gt_u16_e32 2, v13
	s_cbranch_execz .LBB39_27
; %bb.26:
	ds_load_2addr_b64 v[3:6], v12 offset1:2
	s_waitcnt lgkmcnt(0)
	v_dual_add_f32 v3, v5, v3 :: v_dual_add_f32 v4, v6, v4
	ds_store_b64 v12, v[3:4]
.LBB39_27:
	s_or_b32 exec_lo, exec_lo, s0
	s_mov_b32 s1, 0
	s_mov_b32 s0, 0
	s_mov_b32 s4, exec_lo
	s_waitcnt lgkmcnt(0)
	s_barrier
	buffer_gl0_inv
                                        ; implicit-def: $vgpr4
                                        ; implicit-def: $vgpr3
	v_cmpx_gt_u32_e32 24, v0
	s_xor_b32 s4, exec_lo, s4
; %bb.28:
	v_mul_u32_u24_e32 v3, 24, v0
	s_mov_b32 s0, exec_lo
	s_delay_alu instid0(VALU_DEP_1)
	v_lshlrev_b32_e32 v4, 3, v3
	v_or_b32_e32 v3, 1, v3
; %bb.29:
	s_or_b32 exec_lo, exec_lo, s4
	s_delay_alu instid0(SALU_CYCLE_1)
	s_and_b32 vcc_lo, exec_lo, s1
	s_cbranch_vccnz .LBB39_31
	s_branch .LBB39_42
.LBB39_30:
	s_mov_b32 s0, 0
                                        ; implicit-def: $vgpr4
                                        ; implicit-def: $vgpr3
	s_cbranch_execz .LBB39_42
.LBB39_31:
	v_cmp_gt_u32_e32 vcc_lo, 0xc0, v0
	s_and_saveexec_b32 s1, vcc_lo
	s_cbranch_execz .LBB39_33
; %bb.32:
	ds_load_2addr_stride64_b64 v[3:6], v12 offset1:6
	s_waitcnt lgkmcnt(0)
	v_dual_add_f32 v3, v5, v3 :: v_dual_add_f32 v4, v6, v4
	ds_store_b64 v12, v[3:4]
.LBB39_33:
	s_or_b32 exec_lo, exec_lo, s1
	s_waitcnt lgkmcnt(0)
	s_barrier
	buffer_gl0_inv
	s_and_saveexec_b32 s1, vcc_lo
	s_cbranch_execz .LBB39_35
; %bb.34:
	ds_load_2addr_stride64_b64 v[3:6], v12 offset1:3
	s_waitcnt lgkmcnt(0)
	v_dual_add_f32 v3, v5, v3 :: v_dual_add_f32 v4, v6, v4
	ds_store_b64 v12, v[3:4]
.LBB39_35:
	s_or_b32 exec_lo, exec_lo, s1
	s_delay_alu instid0(SALU_CYCLE_1)
	s_mov_b32 s1, exec_lo
	s_waitcnt lgkmcnt(0)
	s_barrier
	buffer_gl0_inv
	v_cmpx_gt_u32_e32 0x60, v0
	s_cbranch_execz .LBB39_37
; %bb.36:
	ds_load_2addr_b64 v[3:6], v12 offset1:96
	s_waitcnt lgkmcnt(0)
	v_dual_add_f32 v3, v5, v3 :: v_dual_add_f32 v4, v6, v4
	ds_store_b64 v12, v[3:4]
.LBB39_37:
	s_or_b32 exec_lo, exec_lo, s1
	s_delay_alu instid0(SALU_CYCLE_1)
	s_mov_b32 s1, exec_lo
	s_waitcnt lgkmcnt(0)
	s_barrier
	buffer_gl0_inv
	v_cmpx_gt_u32_e32 48, v0
	s_cbranch_execz .LBB39_39
; %bb.38:
	ds_load_2addr_b64 v[3:6], v12 offset1:48
	s_waitcnt lgkmcnt(0)
	v_dual_add_f32 v3, v5, v3 :: v_dual_add_f32 v4, v6, v4
	ds_store_b64 v12, v[3:4]
.LBB39_39:
	s_or_b32 exec_lo, exec_lo, s1
	s_delay_alu instid0(SALU_CYCLE_1)
	s_mov_b32 s1, exec_lo
	s_waitcnt lgkmcnt(0)
	buffer_gl0_inv
                                        ; implicit-def: $vgpr3
	v_cmpx_gt_u32_e32 24, v0
; %bb.40:
	v_add_nc_u32_e32 v3, 24, v0
	s_or_b32 s0, s0, exec_lo
                                        ; implicit-def: $vgpr2
; %bb.41:
	s_or_b32 exec_lo, exec_lo, s1
	v_mov_b32_e32 v4, v12
.LBB39_42:
	s_and_saveexec_b32 s1, s0
	s_cbranch_execnz .LBB39_45
; %bb.43:
	s_or_b32 exec_lo, exec_lo, s1
	v_cmp_gt_u32_e32 vcc_lo, 24, v0
	s_and_b32 exec_lo, exec_lo, vcc_lo
	s_cbranch_execnz .LBB39_46
.LBB39_44:
	s_nop 0
	s_sendmsg sendmsg(MSG_DEALLOC_VGPRS)
	s_endpgm
.LBB39_45:
	v_lshlrev_b32_e32 v3, 3, v3
	ds_load_2addr_b32 v[1:2], v4 offset1:1
	ds_load_b64 v[3:4], v3
	s_waitcnt lgkmcnt(0)
	v_dual_add_f32 v2, v4, v2 :: v_dual_add_f32 v1, v3, v1
	s_or_b32 exec_lo, exec_lo, s1
	v_cmp_gt_u32_e32 vcc_lo, 24, v0
	s_and_b32 exec_lo, exec_lo, vcc_lo
	s_cbranch_execz .LBB39_44
.LBB39_46:
	v_mul_f32_e64 v3, v2, -v11
	v_mul_f32_e32 v4, v2, v10
	v_cmp_eq_f32_e32 vcc_lo, 0, v8
	v_cmp_eq_f32_e64 s0, 0, v9
	s_delay_alu instid0(VALU_DEP_4) | instskip(NEXT) | instid1(VALU_DEP_4)
	v_fmac_f32_e32 v3, v10, v1
	v_fmac_f32_e32 v4, v11, v1
	s_delay_alu instid0(VALU_DEP_3) | instskip(NEXT) | instid1(SALU_CYCLE_1)
	s_and_b32 s0, vcc_lo, s0
	s_and_saveexec_b32 s1, s0
	s_delay_alu instid0(SALU_CYCLE_1)
	s_xor_b32 s0, exec_lo, s1
	s_cbranch_execz .LBB39_48
; %bb.47:
	v_mad_u64_u32 v[1:2], null, s8, 24, v[0:1]
	v_mov_b32_e32 v2, 0
                                        ; implicit-def: $vgpr8
                                        ; implicit-def: $vgpr9
	s_delay_alu instid0(VALU_DEP_1) | instskip(NEXT) | instid1(VALU_DEP_1)
	v_lshlrev_b64 v[0:1], 3, v[1:2]
	v_add_co_u32 v0, vcc_lo, s2, v0
	s_delay_alu instid0(VALU_DEP_2)
	v_add_co_ci_u32_e32 v1, vcc_lo, s3, v1, vcc_lo
	global_store_b64 v[0:1], v[3:4], off
                                        ; implicit-def: $vgpr0
                                        ; implicit-def: $vgpr3
.LBB39_48:
	s_and_not1_saveexec_b32 s0, s0
	s_cbranch_execz .LBB39_44
; %bb.49:
	v_mad_u64_u32 v[1:2], null, s8, 24, v[0:1]
	v_mov_b32_e32 v2, 0
	s_delay_alu instid0(VALU_DEP_1) | instskip(NEXT) | instid1(VALU_DEP_1)
	v_lshlrev_b64 v[0:1], 3, v[1:2]
	v_add_co_u32 v0, vcc_lo, s2, v0
	s_delay_alu instid0(VALU_DEP_2) | instskip(SKIP_4) | instid1(VALU_DEP_2)
	v_add_co_ci_u32_e32 v1, vcc_lo, s3, v1, vcc_lo
	global_load_b64 v[5:6], v[0:1], off
	s_waitcnt vmcnt(0)
	v_fmac_f32_e32 v3, v8, v5
	v_fmac_f32_e32 v4, v9, v5
	v_fma_f32 v3, -v9, v6, v3
	s_delay_alu instid0(VALU_DEP_2)
	v_fmac_f32_e32 v4, v8, v6
	global_store_b64 v[0:1], v[3:4], off
	s_nop 0
	s_sendmsg sendmsg(MSG_DEALLOC_VGPRS)
	s_endpgm
	.section	.rodata,"a",@progbits
	.p2align	6, 0x0
	.amdhsa_kernel _ZN9rocsparseL20bsrxmvn_17_32_kernelILj24E21rocsparse_complex_numIfEiiS2_S2_S2_EEvT2_20rocsparse_direction_NS_24const_host_device_scalarIT0_EES3_PKS3_PKT1_SC_S9_PKT3_PKT4_S7_PT5_21rocsparse_index_base_b
		.amdhsa_group_segment_fixed_size 4608
		.amdhsa_private_segment_fixed_size 0
		.amdhsa_kernarg_size 96
		.amdhsa_user_sgpr_count 15
		.amdhsa_user_sgpr_dispatch_ptr 0
		.amdhsa_user_sgpr_queue_ptr 0
		.amdhsa_user_sgpr_kernarg_segment_ptr 1
		.amdhsa_user_sgpr_dispatch_id 0
		.amdhsa_user_sgpr_private_segment_size 0
		.amdhsa_wavefront_size32 1
		.amdhsa_uses_dynamic_stack 0
		.amdhsa_enable_private_segment 0
		.amdhsa_system_sgpr_workgroup_id_x 1
		.amdhsa_system_sgpr_workgroup_id_y 0
		.amdhsa_system_sgpr_workgroup_id_z 0
		.amdhsa_system_sgpr_workgroup_info 0
		.amdhsa_system_vgpr_workitem_id 0
		.amdhsa_next_free_vgpr 17
		.amdhsa_next_free_sgpr 16
		.amdhsa_reserve_vcc 1
		.amdhsa_float_round_mode_32 0
		.amdhsa_float_round_mode_16_64 0
		.amdhsa_float_denorm_mode_32 3
		.amdhsa_float_denorm_mode_16_64 3
		.amdhsa_dx10_clamp 1
		.amdhsa_ieee_mode 1
		.amdhsa_fp16_overflow 0
		.amdhsa_workgroup_processor_mode 1
		.amdhsa_memory_ordered 1
		.amdhsa_forward_progress 0
		.amdhsa_shared_vgpr_count 0
		.amdhsa_exception_fp_ieee_invalid_op 0
		.amdhsa_exception_fp_denorm_src 0
		.amdhsa_exception_fp_ieee_div_zero 0
		.amdhsa_exception_fp_ieee_overflow 0
		.amdhsa_exception_fp_ieee_underflow 0
		.amdhsa_exception_fp_ieee_inexact 0
		.amdhsa_exception_int_div_zero 0
	.end_amdhsa_kernel
	.section	.text._ZN9rocsparseL20bsrxmvn_17_32_kernelILj24E21rocsparse_complex_numIfEiiS2_S2_S2_EEvT2_20rocsparse_direction_NS_24const_host_device_scalarIT0_EES3_PKS3_PKT1_SC_S9_PKT3_PKT4_S7_PT5_21rocsparse_index_base_b,"axG",@progbits,_ZN9rocsparseL20bsrxmvn_17_32_kernelILj24E21rocsparse_complex_numIfEiiS2_S2_S2_EEvT2_20rocsparse_direction_NS_24const_host_device_scalarIT0_EES3_PKS3_PKT1_SC_S9_PKT3_PKT4_S7_PT5_21rocsparse_index_base_b,comdat
.Lfunc_end39:
	.size	_ZN9rocsparseL20bsrxmvn_17_32_kernelILj24E21rocsparse_complex_numIfEiiS2_S2_S2_EEvT2_20rocsparse_direction_NS_24const_host_device_scalarIT0_EES3_PKS3_PKT1_SC_S9_PKT3_PKT4_S7_PT5_21rocsparse_index_base_b, .Lfunc_end39-_ZN9rocsparseL20bsrxmvn_17_32_kernelILj24E21rocsparse_complex_numIfEiiS2_S2_S2_EEvT2_20rocsparse_direction_NS_24const_host_device_scalarIT0_EES3_PKS3_PKT1_SC_S9_PKT3_PKT4_S7_PT5_21rocsparse_index_base_b
                                        ; -- End function
	.section	.AMDGPU.csdata,"",@progbits
; Kernel info:
; codeLenInByte = 1804
; NumSgprs: 18
; NumVgprs: 17
; ScratchSize: 0
; MemoryBound: 0
; FloatMode: 240
; IeeeMode: 1
; LDSByteSize: 4608 bytes/workgroup (compile time only)
; SGPRBlocks: 2
; VGPRBlocks: 2
; NumSGPRsForWavesPerEU: 18
; NumVGPRsForWavesPerEU: 17
; Occupancy: 14
; WaveLimiterHint : 1
; COMPUTE_PGM_RSRC2:SCRATCH_EN: 0
; COMPUTE_PGM_RSRC2:USER_SGPR: 15
; COMPUTE_PGM_RSRC2:TRAP_HANDLER: 0
; COMPUTE_PGM_RSRC2:TGID_X_EN: 1
; COMPUTE_PGM_RSRC2:TGID_Y_EN: 0
; COMPUTE_PGM_RSRC2:TGID_Z_EN: 0
; COMPUTE_PGM_RSRC2:TIDIG_COMP_CNT: 0
	.section	.text._ZN9rocsparseL20bsrxmvn_17_32_kernelILj25E21rocsparse_complex_numIfEiiS2_S2_S2_EEvT2_20rocsparse_direction_NS_24const_host_device_scalarIT0_EES3_PKS3_PKT1_SC_S9_PKT3_PKT4_S7_PT5_21rocsparse_index_base_b,"axG",@progbits,_ZN9rocsparseL20bsrxmvn_17_32_kernelILj25E21rocsparse_complex_numIfEiiS2_S2_S2_EEvT2_20rocsparse_direction_NS_24const_host_device_scalarIT0_EES3_PKS3_PKT1_SC_S9_PKT3_PKT4_S7_PT5_21rocsparse_index_base_b,comdat
	.globl	_ZN9rocsparseL20bsrxmvn_17_32_kernelILj25E21rocsparse_complex_numIfEiiS2_S2_S2_EEvT2_20rocsparse_direction_NS_24const_host_device_scalarIT0_EES3_PKS3_PKT1_SC_S9_PKT3_PKT4_S7_PT5_21rocsparse_index_base_b ; -- Begin function _ZN9rocsparseL20bsrxmvn_17_32_kernelILj25E21rocsparse_complex_numIfEiiS2_S2_S2_EEvT2_20rocsparse_direction_NS_24const_host_device_scalarIT0_EES3_PKS3_PKT1_SC_S9_PKT3_PKT4_S7_PT5_21rocsparse_index_base_b
	.p2align	8
	.type	_ZN9rocsparseL20bsrxmvn_17_32_kernelILj25E21rocsparse_complex_numIfEiiS2_S2_S2_EEvT2_20rocsparse_direction_NS_24const_host_device_scalarIT0_EES3_PKS3_PKT1_SC_S9_PKT3_PKT4_S7_PT5_21rocsparse_index_base_b,@function
_ZN9rocsparseL20bsrxmvn_17_32_kernelILj25E21rocsparse_complex_numIfEiiS2_S2_S2_EEvT2_20rocsparse_direction_NS_24const_host_device_scalarIT0_EES3_PKS3_PKT1_SC_S9_PKT3_PKT4_S7_PT5_21rocsparse_index_base_b: ; @_ZN9rocsparseL20bsrxmvn_17_32_kernelILj25E21rocsparse_complex_numIfEiiS2_S2_S2_EEvT2_20rocsparse_direction_NS_24const_host_device_scalarIT0_EES3_PKS3_PKT1_SC_S9_PKT3_PKT4_S7_PT5_21rocsparse_index_base_b
; %bb.0:
	s_clause 0x2
	s_load_b64 s[10:11], s[0:1], 0x58
	s_load_b64 s[4:5], s[0:1], 0x8
	;; [unrolled: 1-line block ×3, first 2 shown]
	s_mov_b32 s8, s15
	s_waitcnt lgkmcnt(0)
	s_bitcmp1_b32 s11, 0
	v_mov_b32_e32 v10, s4
	s_cselect_b32 s6, -1, 0
	s_delay_alu instid0(SALU_CYCLE_1)
	s_and_b32 vcc_lo, exec_lo, s6
	s_xor_b32 s6, s6, -1
	s_cbranch_vccz .LBB40_15
; %bb.1:
	v_cndmask_b32_e64 v1, 0, 1, s6
	v_mov_b32_e32 v11, s5
	s_and_not1_b32 vcc_lo, exec_lo, s6
	s_cbranch_vccz .LBB40_16
.LBB40_2:
	s_delay_alu instid0(VALU_DEP_2)
	v_cmp_ne_u32_e32 vcc_lo, 1, v1
	v_mov_b32_e32 v8, s2
	s_cbranch_vccz .LBB40_17
.LBB40_3:
	v_cmp_ne_u32_e32 vcc_lo, 1, v1
	v_mov_b32_e32 v9, s3
	s_cbranch_vccnz .LBB40_5
.LBB40_4:
	v_dual_mov_b32 v1, s2 :: v_dual_mov_b32 v2, s3
	flat_load_b32 v9, v[1:2] offset:4
.LBB40_5:
	s_waitcnt vmcnt(0) lgkmcnt(0)
	v_cmp_eq_f32_e32 vcc_lo, 0, v10
	v_cmp_eq_f32_e64 s2, 0, v11
	s_delay_alu instid0(VALU_DEP_1)
	s_and_b32 s4, vcc_lo, s2
	s_mov_b32 s2, -1
	s_and_saveexec_b32 s3, s4
; %bb.6:
	v_cmp_neq_f32_e32 vcc_lo, 1.0, v8
	v_cmp_neq_f32_e64 s2, 0, v9
	s_delay_alu instid0(VALU_DEP_1) | instskip(NEXT) | instid1(SALU_CYCLE_1)
	s_or_b32 s2, vcc_lo, s2
	s_or_not1_b32 s2, s2, exec_lo
; %bb.7:
	s_or_b32 exec_lo, exec_lo, s3
	s_and_saveexec_b32 s3, s2
	s_cbranch_execz .LBB40_44
; %bb.8:
	s_clause 0x1
	s_load_b128 s[4:7], s[0:1], 0x18
	s_load_b64 s[2:3], s[0:1], 0x28
	s_waitcnt lgkmcnt(0)
	s_cmp_eq_u64 s[4:5], 0
	s_cbranch_scc1 .LBB40_10
; %bb.9:
	s_ashr_i32 s9, s8, 31
	s_delay_alu instid0(SALU_CYCLE_1) | instskip(NEXT) | instid1(SALU_CYCLE_1)
	s_lshl_b64 s[8:9], s[8:9], 2
	s_add_u32 s4, s4, s8
	s_addc_u32 s5, s5, s9
	s_load_b32 s4, s[4:5], 0x0
	s_waitcnt lgkmcnt(0)
	s_sub_i32 s8, s4, s10
.LBB40_10:
	s_load_b32 s4, s[0:1], 0x4
	v_mul_u32_u24_e32 v1, 0xa3e, v0
	v_mov_b32_e32 v2, 0
	v_lshlrev_b32_e32 v12, 3, v0
	s_delay_alu instid0(VALU_DEP_3) | instskip(NEXT) | instid1(VALU_DEP_1)
	v_lshrrev_b32_e32 v3, 16, v1
	v_mul_lo_u16 v1, v3, 25
	s_delay_alu instid0(VALU_DEP_1)
	v_sub_nc_u16 v13, v0, v1
	v_mov_b32_e32 v1, 0
	s_waitcnt lgkmcnt(0)
	s_cmp_eq_u32 s4, 1
	s_cselect_b32 vcc_lo, -1, 0
	s_cmp_lg_u32 s4, 1
	s_cselect_b32 s11, -1, 0
	s_ashr_i32 s9, s8, 31
	s_delay_alu instid0(SALU_CYCLE_1) | instskip(NEXT) | instid1(SALU_CYCLE_1)
	s_lshl_b64 s[4:5], s[8:9], 2
	s_add_u32 s6, s6, s4
	s_addc_u32 s7, s7, s5
	s_add_u32 s9, s6, 4
	s_addc_u32 s12, s7, 0
	;; [unrolled: 2-line block ×3, first 2 shown]
	s_cmp_eq_u64 s[2:3], 0
	s_cselect_b32 s3, s12, s5
	s_cselect_b32 s2, s9, s4
	s_load_b32 s9, s[6:7], 0x0
	s_load_b32 s14, s[2:3], 0x0
	s_load_b64 s[2:3], s[0:1], 0x50
	s_waitcnt lgkmcnt(0)
	s_cmp_ge_i32 s9, s14
	s_cbranch_scc1 .LBB40_18
; %bb.11:
	s_clause 0x1
	s_load_b128 s[4:7], s[0:1], 0x30
	s_load_b64 s[12:13], s[0:1], 0x40
	v_and_b32_e32 v1, 0xffff, v3
	v_cmp_gt_u32_e64 s0, 0x271, v0
	s_sub_i32 s9, s9, s10
	v_and_b32_e32 v3, 0xffff, v13
	s_sub_i32 s1, s14, s10
	v_subrev_nc_u32_e32 v2, 25, v1
	s_mul_i32 s14, s9, 0x1388
	s_delay_alu instid0(VALU_DEP_1) | instskip(SKIP_2) | instid1(VALU_DEP_3)
	v_cndmask_b32_e64 v1, v2, v1, s0
	v_mov_b32_e32 v2, 0
	v_cmp_lt_u32_e64 s0, 0x270, v0
	v_dual_cndmask_b32 v3, v3, v1 :: v_dual_lshlrev_b32 v4, 3, v0
	s_delay_alu instid0(VALU_DEP_3) | instskip(NEXT) | instid1(VALU_DEP_3)
	v_mov_b32_e32 v1, v2
	v_cndmask_b32_e64 v14, 0, 1, s0
	s_mul_hi_i32 s0, s9, 0x1388
	s_waitcnt lgkmcnt(0)
	s_add_u32 s6, s6, s14
	s_addc_u32 s0, s7, s0
	v_add_co_u32 v4, s6, s6, v4
	s_delay_alu instid0(VALU_DEP_1)
	v_add_co_ci_u32_e64 v5, null, s0, 0, s6
	s_set_inst_prefetch_distance 0x1
	s_branch .LBB40_13
	.p2align	6
.LBB40_12:                              ;   in Loop: Header=BB40_13 Depth=1
	s_or_b32 exec_lo, exec_lo, s0
	s_add_i32 s9, s9, 1
	s_delay_alu instid0(SALU_CYCLE_1)
	s_cmp_lt_i32 s9, s1
	s_cbranch_scc0 .LBB40_18
.LBB40_13:                              ; =>This Inner Loop Header: Depth=1
	v_add_nc_u32_e32 v6, s9, v14
	s_mov_b32 s0, exec_lo
	s_delay_alu instid0(VALU_DEP_1)
	v_cmpx_gt_i32_e64 s1, v6
	s_cbranch_execz .LBB40_12
; %bb.14:                               ;   in Loop: Header=BB40_13 Depth=1
	v_ashrrev_i32_e32 v7, 31, v6
	s_delay_alu instid0(VALU_DEP_1) | instskip(NEXT) | instid1(VALU_DEP_1)
	v_lshlrev_b64 v[6:7], 2, v[6:7]
	v_add_co_u32 v6, vcc_lo, s4, v6
	s_delay_alu instid0(VALU_DEP_2) | instskip(SKIP_3) | instid1(VALU_DEP_1)
	v_add_co_ci_u32_e32 v7, vcc_lo, s5, v7, vcc_lo
	global_load_b32 v6, v[6:7], off
	s_waitcnt vmcnt(0)
	v_subrev_nc_u32_e32 v15, s10, v6
	v_mad_u64_u32 v[6:7], null, v15, 25, v[3:4]
	s_delay_alu instid0(VALU_DEP_1) | instskip(NEXT) | instid1(VALU_DEP_1)
	v_ashrrev_i32_e32 v7, 31, v6
	v_lshlrev_b64 v[6:7], 3, v[6:7]
	s_delay_alu instid0(VALU_DEP_1) | instskip(NEXT) | instid1(VALU_DEP_2)
	v_add_co_u32 v6, vcc_lo, s12, v6
	v_add_co_ci_u32_e32 v7, vcc_lo, s13, v7, vcc_lo
	global_load_b64 v[15:16], v[4:5], off
	global_load_b64 v[6:7], v[6:7], off
	v_add_co_u32 v4, vcc_lo, 0x1388, v4
	v_add_co_ci_u32_e32 v5, vcc_lo, 0, v5, vcc_lo
	s_waitcnt vmcnt(0)
	v_fmac_f32_e32 v1, v15, v6
	v_fmac_f32_e32 v2, v16, v6
	s_delay_alu instid0(VALU_DEP_2) | instskip(NEXT) | instid1(VALU_DEP_2)
	v_fma_f32 v1, -v16, v7, v1
	v_fmac_f32_e32 v2, v15, v7
	s_branch .LBB40_12
.LBB40_15:
	v_dual_mov_b32 v1, s4 :: v_dual_mov_b32 v2, s5
	flat_load_b32 v10, v[1:2]
	v_cndmask_b32_e64 v1, 0, 1, s6
	v_mov_b32_e32 v11, s5
	s_and_not1_b32 vcc_lo, exec_lo, s6
	s_cbranch_vccnz .LBB40_2
.LBB40_16:
	v_dual_mov_b32 v2, s4 :: v_dual_mov_b32 v3, s5
	flat_load_b32 v11, v[2:3] offset:4
	v_cmp_ne_u32_e32 vcc_lo, 1, v1
	v_mov_b32_e32 v8, s2
	s_cbranch_vccnz .LBB40_3
.LBB40_17:
	v_dual_mov_b32 v2, s2 :: v_dual_mov_b32 v3, s3
	flat_load_b32 v8, v[2:3]
	v_cmp_ne_u32_e32 vcc_lo, 1, v1
	v_mov_b32_e32 v9, s3
	s_cbranch_vccz .LBB40_4
	s_branch .LBB40_5
.LBB40_18:
	s_set_inst_prefetch_distance 0x2
	s_and_b32 vcc_lo, exec_lo, s11
	ds_store_b64 v12, v[1:2]
	s_waitcnt lgkmcnt(0)
	s_barrier
	buffer_gl0_inv
	s_cbranch_vccz .LBB40_30
; %bb.19:
	s_mov_b32 s0, exec_lo
	v_cmpx_gt_u16_e32 9, v13
	s_cbranch_execz .LBB40_21
; %bb.20:
	ds_load_2addr_b64 v[3:6], v12 offset1:16
	s_waitcnt lgkmcnt(0)
	v_dual_add_f32 v3, v5, v3 :: v_dual_add_f32 v4, v6, v4
	ds_store_b64 v12, v[3:4]
.LBB40_21:
	s_or_b32 exec_lo, exec_lo, s0
	s_delay_alu instid0(SALU_CYCLE_1)
	s_mov_b32 s0, exec_lo
	s_waitcnt lgkmcnt(0)
	s_barrier
	buffer_gl0_inv
	v_cmpx_gt_u16_e32 8, v13
	s_cbranch_execz .LBB40_23
; %bb.22:
	ds_load_2addr_b64 v[3:6], v12 offset1:8
	s_waitcnt lgkmcnt(0)
	v_dual_add_f32 v3, v5, v3 :: v_dual_add_f32 v4, v6, v4
	ds_store_b64 v12, v[3:4]
.LBB40_23:
	s_or_b32 exec_lo, exec_lo, s0
	s_delay_alu instid0(SALU_CYCLE_1)
	s_mov_b32 s0, exec_lo
	s_waitcnt lgkmcnt(0)
	s_barrier
	buffer_gl0_inv
	;; [unrolled: 14-line block ×3, first 2 shown]
	v_cmpx_gt_u16_e32 2, v13
	s_cbranch_execz .LBB40_27
; %bb.26:
	ds_load_2addr_b64 v[3:6], v12 offset1:2
	s_waitcnt lgkmcnt(0)
	v_dual_add_f32 v3, v5, v3 :: v_dual_add_f32 v4, v6, v4
	ds_store_b64 v12, v[3:4]
.LBB40_27:
	s_or_b32 exec_lo, exec_lo, s0
	s_mov_b32 s1, 0
	s_mov_b32 s0, 0
	s_mov_b32 s4, exec_lo
	s_waitcnt lgkmcnt(0)
	s_barrier
	buffer_gl0_inv
                                        ; implicit-def: $vgpr4
                                        ; implicit-def: $vgpr3
	v_cmpx_gt_u32_e32 25, v0
	s_xor_b32 s4, exec_lo, s4
; %bb.28:
	v_mul_u32_u24_e32 v3, 25, v0
	s_mov_b32 s0, exec_lo
	s_delay_alu instid0(VALU_DEP_1)
	v_lshlrev_b32_e32 v4, 3, v3
	v_mad_u32_u24 v3, v0, 25, 1
; %bb.29:
	s_or_b32 exec_lo, exec_lo, s4
	s_delay_alu instid0(SALU_CYCLE_1)
	s_and_b32 vcc_lo, exec_lo, s1
	s_cbranch_vccnz .LBB40_31
	s_branch .LBB40_42
.LBB40_30:
	s_mov_b32 s0, 0
                                        ; implicit-def: $vgpr4
                                        ; implicit-def: $vgpr3
	s_cbranch_execz .LBB40_42
.LBB40_31:
	s_mov_b32 s1, exec_lo
	v_cmpx_gt_u32_e32 0xe1, v0
	s_cbranch_execz .LBB40_33
; %bb.32:
	ds_load_b64 v[3:4], v12 offset:3200
	ds_load_b64 v[5:6], v12
	s_waitcnt lgkmcnt(0)
	v_dual_add_f32 v3, v3, v5 :: v_dual_add_f32 v4, v4, v6
	ds_store_b64 v12, v[3:4]
.LBB40_33:
	s_or_b32 exec_lo, exec_lo, s1
	s_delay_alu instid0(SALU_CYCLE_1)
	s_mov_b32 s1, exec_lo
	s_waitcnt lgkmcnt(0)
	s_barrier
	buffer_gl0_inv
	v_cmpx_gt_u32_e32 0xc8, v0
	s_cbranch_execz .LBB40_35
; %bb.34:
	ds_load_2addr_b64 v[3:6], v12 offset1:200
	s_waitcnt lgkmcnt(0)
	v_dual_add_f32 v3, v5, v3 :: v_dual_add_f32 v4, v6, v4
	ds_store_b64 v12, v[3:4]
.LBB40_35:
	s_or_b32 exec_lo, exec_lo, s1
	s_delay_alu instid0(SALU_CYCLE_1)
	s_mov_b32 s1, exec_lo
	s_waitcnt lgkmcnt(0)
	s_barrier
	buffer_gl0_inv
	v_cmpx_gt_u32_e32 0x64, v0
	s_cbranch_execz .LBB40_37
; %bb.36:
	ds_load_2addr_b64 v[3:6], v12 offset1:100
	s_waitcnt lgkmcnt(0)
	v_dual_add_f32 v3, v5, v3 :: v_dual_add_f32 v4, v6, v4
	ds_store_b64 v12, v[3:4]
.LBB40_37:
	;; [unrolled: 14-line block ×3, first 2 shown]
	s_or_b32 exec_lo, exec_lo, s1
	s_delay_alu instid0(SALU_CYCLE_1)
	s_mov_b32 s1, exec_lo
	s_waitcnt lgkmcnt(0)
	buffer_gl0_inv
                                        ; implicit-def: $vgpr3
	v_cmpx_gt_u32_e32 25, v0
; %bb.40:
	v_add_nc_u32_e32 v3, 25, v0
	s_or_b32 s0, s0, exec_lo
                                        ; implicit-def: $vgpr2
; %bb.41:
	s_or_b32 exec_lo, exec_lo, s1
	v_mov_b32_e32 v4, v12
.LBB40_42:
	s_and_saveexec_b32 s1, s0
	s_cbranch_execnz .LBB40_45
; %bb.43:
	s_or_b32 exec_lo, exec_lo, s1
	v_cmp_gt_u32_e32 vcc_lo, 25, v0
	s_and_b32 exec_lo, exec_lo, vcc_lo
	s_cbranch_execnz .LBB40_46
.LBB40_44:
	s_nop 0
	s_sendmsg sendmsg(MSG_DEALLOC_VGPRS)
	s_endpgm
.LBB40_45:
	v_lshlrev_b32_e32 v3, 3, v3
	ds_load_2addr_b32 v[1:2], v4 offset1:1
	ds_load_b64 v[3:4], v3
	s_waitcnt lgkmcnt(0)
	v_dual_add_f32 v2, v4, v2 :: v_dual_add_f32 v1, v3, v1
	s_or_b32 exec_lo, exec_lo, s1
	v_cmp_gt_u32_e32 vcc_lo, 25, v0
	s_and_b32 exec_lo, exec_lo, vcc_lo
	s_cbranch_execz .LBB40_44
.LBB40_46:
	v_mul_f32_e64 v3, v2, -v11
	v_mul_f32_e32 v4, v2, v10
	v_cmp_eq_f32_e32 vcc_lo, 0, v8
	v_cmp_eq_f32_e64 s0, 0, v9
	s_delay_alu instid0(VALU_DEP_4) | instskip(NEXT) | instid1(VALU_DEP_4)
	v_fmac_f32_e32 v3, v10, v1
	v_fmac_f32_e32 v4, v11, v1
	s_delay_alu instid0(VALU_DEP_3) | instskip(NEXT) | instid1(SALU_CYCLE_1)
	s_and_b32 s0, vcc_lo, s0
	s_and_saveexec_b32 s1, s0
	s_delay_alu instid0(SALU_CYCLE_1)
	s_xor_b32 s0, exec_lo, s1
	s_cbranch_execz .LBB40_48
; %bb.47:
	v_mad_u64_u32 v[1:2], null, s8, 25, v[0:1]
	v_mov_b32_e32 v2, 0
                                        ; implicit-def: $vgpr8
                                        ; implicit-def: $vgpr9
	s_delay_alu instid0(VALU_DEP_1) | instskip(NEXT) | instid1(VALU_DEP_1)
	v_lshlrev_b64 v[0:1], 3, v[1:2]
	v_add_co_u32 v0, vcc_lo, s2, v0
	s_delay_alu instid0(VALU_DEP_2)
	v_add_co_ci_u32_e32 v1, vcc_lo, s3, v1, vcc_lo
	global_store_b64 v[0:1], v[3:4], off
                                        ; implicit-def: $vgpr0
                                        ; implicit-def: $vgpr3
.LBB40_48:
	s_and_not1_saveexec_b32 s0, s0
	s_cbranch_execz .LBB40_44
; %bb.49:
	v_mad_u64_u32 v[1:2], null, s8, 25, v[0:1]
	v_mov_b32_e32 v2, 0
	s_delay_alu instid0(VALU_DEP_1) | instskip(NEXT) | instid1(VALU_DEP_1)
	v_lshlrev_b64 v[0:1], 3, v[1:2]
	v_add_co_u32 v0, vcc_lo, s2, v0
	s_delay_alu instid0(VALU_DEP_2) | instskip(SKIP_4) | instid1(VALU_DEP_2)
	v_add_co_ci_u32_e32 v1, vcc_lo, s3, v1, vcc_lo
	global_load_b64 v[5:6], v[0:1], off
	s_waitcnt vmcnt(0)
	v_fmac_f32_e32 v3, v8, v5
	v_fmac_f32_e32 v4, v9, v5
	v_fma_f32 v3, -v9, v6, v3
	s_delay_alu instid0(VALU_DEP_2)
	v_fmac_f32_e32 v4, v8, v6
	global_store_b64 v[0:1], v[3:4], off
	s_nop 0
	s_sendmsg sendmsg(MSG_DEALLOC_VGPRS)
	s_endpgm
	.section	.rodata,"a",@progbits
	.p2align	6, 0x0
	.amdhsa_kernel _ZN9rocsparseL20bsrxmvn_17_32_kernelILj25E21rocsparse_complex_numIfEiiS2_S2_S2_EEvT2_20rocsparse_direction_NS_24const_host_device_scalarIT0_EES3_PKS3_PKT1_SC_S9_PKT3_PKT4_S7_PT5_21rocsparse_index_base_b
		.amdhsa_group_segment_fixed_size 5000
		.amdhsa_private_segment_fixed_size 0
		.amdhsa_kernarg_size 96
		.amdhsa_user_sgpr_count 15
		.amdhsa_user_sgpr_dispatch_ptr 0
		.amdhsa_user_sgpr_queue_ptr 0
		.amdhsa_user_sgpr_kernarg_segment_ptr 1
		.amdhsa_user_sgpr_dispatch_id 0
		.amdhsa_user_sgpr_private_segment_size 0
		.amdhsa_wavefront_size32 1
		.amdhsa_uses_dynamic_stack 0
		.amdhsa_enable_private_segment 0
		.amdhsa_system_sgpr_workgroup_id_x 1
		.amdhsa_system_sgpr_workgroup_id_y 0
		.amdhsa_system_sgpr_workgroup_id_z 0
		.amdhsa_system_sgpr_workgroup_info 0
		.amdhsa_system_vgpr_workitem_id 0
		.amdhsa_next_free_vgpr 17
		.amdhsa_next_free_sgpr 16
		.amdhsa_reserve_vcc 1
		.amdhsa_float_round_mode_32 0
		.amdhsa_float_round_mode_16_64 0
		.amdhsa_float_denorm_mode_32 3
		.amdhsa_float_denorm_mode_16_64 3
		.amdhsa_dx10_clamp 1
		.amdhsa_ieee_mode 1
		.amdhsa_fp16_overflow 0
		.amdhsa_workgroup_processor_mode 1
		.amdhsa_memory_ordered 1
		.amdhsa_forward_progress 0
		.amdhsa_shared_vgpr_count 0
		.amdhsa_exception_fp_ieee_invalid_op 0
		.amdhsa_exception_fp_denorm_src 0
		.amdhsa_exception_fp_ieee_div_zero 0
		.amdhsa_exception_fp_ieee_overflow 0
		.amdhsa_exception_fp_ieee_underflow 0
		.amdhsa_exception_fp_ieee_inexact 0
		.amdhsa_exception_int_div_zero 0
	.end_amdhsa_kernel
	.section	.text._ZN9rocsparseL20bsrxmvn_17_32_kernelILj25E21rocsparse_complex_numIfEiiS2_S2_S2_EEvT2_20rocsparse_direction_NS_24const_host_device_scalarIT0_EES3_PKS3_PKT1_SC_S9_PKT3_PKT4_S7_PT5_21rocsparse_index_base_b,"axG",@progbits,_ZN9rocsparseL20bsrxmvn_17_32_kernelILj25E21rocsparse_complex_numIfEiiS2_S2_S2_EEvT2_20rocsparse_direction_NS_24const_host_device_scalarIT0_EES3_PKS3_PKT1_SC_S9_PKT3_PKT4_S7_PT5_21rocsparse_index_base_b,comdat
.Lfunc_end40:
	.size	_ZN9rocsparseL20bsrxmvn_17_32_kernelILj25E21rocsparse_complex_numIfEiiS2_S2_S2_EEvT2_20rocsparse_direction_NS_24const_host_device_scalarIT0_EES3_PKS3_PKT1_SC_S9_PKT3_PKT4_S7_PT5_21rocsparse_index_base_b, .Lfunc_end40-_ZN9rocsparseL20bsrxmvn_17_32_kernelILj25E21rocsparse_complex_numIfEiiS2_S2_S2_EEvT2_20rocsparse_direction_NS_24const_host_device_scalarIT0_EES3_PKS3_PKT1_SC_S9_PKT3_PKT4_S7_PT5_21rocsparse_index_base_b
                                        ; -- End function
	.section	.AMDGPU.csdata,"",@progbits
; Kernel info:
; codeLenInByte = 1836
; NumSgprs: 18
; NumVgprs: 17
; ScratchSize: 0
; MemoryBound: 0
; FloatMode: 240
; IeeeMode: 1
; LDSByteSize: 5000 bytes/workgroup (compile time only)
; SGPRBlocks: 2
; VGPRBlocks: 2
; NumSGPRsForWavesPerEU: 18
; NumVGPRsForWavesPerEU: 17
; Occupancy: 15
; WaveLimiterHint : 1
; COMPUTE_PGM_RSRC2:SCRATCH_EN: 0
; COMPUTE_PGM_RSRC2:USER_SGPR: 15
; COMPUTE_PGM_RSRC2:TRAP_HANDLER: 0
; COMPUTE_PGM_RSRC2:TGID_X_EN: 1
; COMPUTE_PGM_RSRC2:TGID_Y_EN: 0
; COMPUTE_PGM_RSRC2:TGID_Z_EN: 0
; COMPUTE_PGM_RSRC2:TIDIG_COMP_CNT: 0
	.section	.text._ZN9rocsparseL20bsrxmvn_17_32_kernelILj26E21rocsparse_complex_numIfEiiS2_S2_S2_EEvT2_20rocsparse_direction_NS_24const_host_device_scalarIT0_EES3_PKS3_PKT1_SC_S9_PKT3_PKT4_S7_PT5_21rocsparse_index_base_b,"axG",@progbits,_ZN9rocsparseL20bsrxmvn_17_32_kernelILj26E21rocsparse_complex_numIfEiiS2_S2_S2_EEvT2_20rocsparse_direction_NS_24const_host_device_scalarIT0_EES3_PKS3_PKT1_SC_S9_PKT3_PKT4_S7_PT5_21rocsparse_index_base_b,comdat
	.globl	_ZN9rocsparseL20bsrxmvn_17_32_kernelILj26E21rocsparse_complex_numIfEiiS2_S2_S2_EEvT2_20rocsparse_direction_NS_24const_host_device_scalarIT0_EES3_PKS3_PKT1_SC_S9_PKT3_PKT4_S7_PT5_21rocsparse_index_base_b ; -- Begin function _ZN9rocsparseL20bsrxmvn_17_32_kernelILj26E21rocsparse_complex_numIfEiiS2_S2_S2_EEvT2_20rocsparse_direction_NS_24const_host_device_scalarIT0_EES3_PKS3_PKT1_SC_S9_PKT3_PKT4_S7_PT5_21rocsparse_index_base_b
	.p2align	8
	.type	_ZN9rocsparseL20bsrxmvn_17_32_kernelILj26E21rocsparse_complex_numIfEiiS2_S2_S2_EEvT2_20rocsparse_direction_NS_24const_host_device_scalarIT0_EES3_PKS3_PKT1_SC_S9_PKT3_PKT4_S7_PT5_21rocsparse_index_base_b,@function
_ZN9rocsparseL20bsrxmvn_17_32_kernelILj26E21rocsparse_complex_numIfEiiS2_S2_S2_EEvT2_20rocsparse_direction_NS_24const_host_device_scalarIT0_EES3_PKS3_PKT1_SC_S9_PKT3_PKT4_S7_PT5_21rocsparse_index_base_b: ; @_ZN9rocsparseL20bsrxmvn_17_32_kernelILj26E21rocsparse_complex_numIfEiiS2_S2_S2_EEvT2_20rocsparse_direction_NS_24const_host_device_scalarIT0_EES3_PKS3_PKT1_SC_S9_PKT3_PKT4_S7_PT5_21rocsparse_index_base_b
; %bb.0:
	s_clause 0x2
	s_load_b64 s[10:11], s[0:1], 0x58
	s_load_b64 s[4:5], s[0:1], 0x8
	;; [unrolled: 1-line block ×3, first 2 shown]
	s_mov_b32 s8, s15
	s_waitcnt lgkmcnt(0)
	s_bitcmp1_b32 s11, 0
	v_mov_b32_e32 v10, s4
	s_cselect_b32 s6, -1, 0
	s_delay_alu instid0(SALU_CYCLE_1)
	s_and_b32 vcc_lo, exec_lo, s6
	s_xor_b32 s6, s6, -1
	s_cbranch_vccz .LBB41_15
; %bb.1:
	v_cndmask_b32_e64 v1, 0, 1, s6
	v_mov_b32_e32 v11, s5
	s_and_not1_b32 vcc_lo, exec_lo, s6
	s_cbranch_vccz .LBB41_16
.LBB41_2:
	s_delay_alu instid0(VALU_DEP_2)
	v_cmp_ne_u32_e32 vcc_lo, 1, v1
	v_mov_b32_e32 v8, s2
	s_cbranch_vccz .LBB41_17
.LBB41_3:
	v_cmp_ne_u32_e32 vcc_lo, 1, v1
	v_mov_b32_e32 v9, s3
	s_cbranch_vccnz .LBB41_5
.LBB41_4:
	v_dual_mov_b32 v1, s2 :: v_dual_mov_b32 v2, s3
	flat_load_b32 v9, v[1:2] offset:4
.LBB41_5:
	s_waitcnt vmcnt(0) lgkmcnt(0)
	v_cmp_eq_f32_e32 vcc_lo, 0, v10
	v_cmp_eq_f32_e64 s2, 0, v11
	s_delay_alu instid0(VALU_DEP_1)
	s_and_b32 s4, vcc_lo, s2
	s_mov_b32 s2, -1
	s_and_saveexec_b32 s3, s4
; %bb.6:
	v_cmp_neq_f32_e32 vcc_lo, 1.0, v8
	v_cmp_neq_f32_e64 s2, 0, v9
	s_delay_alu instid0(VALU_DEP_1) | instskip(NEXT) | instid1(SALU_CYCLE_1)
	s_or_b32 s2, vcc_lo, s2
	s_or_not1_b32 s2, s2, exec_lo
; %bb.7:
	s_or_b32 exec_lo, exec_lo, s3
	s_and_saveexec_b32 s3, s2
	s_cbranch_execz .LBB41_44
; %bb.8:
	s_clause 0x1
	s_load_b128 s[4:7], s[0:1], 0x18
	s_load_b64 s[2:3], s[0:1], 0x28
	s_waitcnt lgkmcnt(0)
	s_cmp_eq_u64 s[4:5], 0
	s_cbranch_scc1 .LBB41_10
; %bb.9:
	s_ashr_i32 s9, s8, 31
	s_delay_alu instid0(SALU_CYCLE_1) | instskip(NEXT) | instid1(SALU_CYCLE_1)
	s_lshl_b64 s[8:9], s[8:9], 2
	s_add_u32 s4, s4, s8
	s_addc_u32 s5, s5, s9
	s_load_b32 s4, s[4:5], 0x0
	s_waitcnt lgkmcnt(0)
	s_sub_i32 s8, s4, s10
.LBB41_10:
	s_load_b32 s4, s[0:1], 0x4
	v_mul_u32_u24_e32 v1, 0x9d9, v0
	v_mov_b32_e32 v2, 0
	v_lshlrev_b32_e32 v12, 3, v0
	s_delay_alu instid0(VALU_DEP_3) | instskip(NEXT) | instid1(VALU_DEP_1)
	v_lshrrev_b32_e32 v3, 16, v1
	v_mul_lo_u16 v1, v3, 26
	s_delay_alu instid0(VALU_DEP_1)
	v_sub_nc_u16 v13, v0, v1
	v_mov_b32_e32 v1, 0
	s_waitcnt lgkmcnt(0)
	s_cmp_eq_u32 s4, 1
	s_cselect_b32 vcc_lo, -1, 0
	s_cmp_lg_u32 s4, 1
	s_cselect_b32 s11, -1, 0
	s_ashr_i32 s9, s8, 31
	s_delay_alu instid0(SALU_CYCLE_1) | instskip(NEXT) | instid1(SALU_CYCLE_1)
	s_lshl_b64 s[4:5], s[8:9], 2
	s_add_u32 s6, s6, s4
	s_addc_u32 s7, s7, s5
	s_add_u32 s9, s6, 4
	s_addc_u32 s12, s7, 0
	;; [unrolled: 2-line block ×3, first 2 shown]
	s_cmp_eq_u64 s[2:3], 0
	s_cselect_b32 s3, s12, s5
	s_cselect_b32 s2, s9, s4
	s_load_b32 s9, s[6:7], 0x0
	s_load_b32 s14, s[2:3], 0x0
	s_load_b64 s[2:3], s[0:1], 0x50
	s_waitcnt lgkmcnt(0)
	s_cmp_ge_i32 s9, s14
	s_cbranch_scc1 .LBB41_18
; %bb.11:
	s_clause 0x1
	s_load_b128 s[4:7], s[0:1], 0x30
	s_load_b64 s[12:13], s[0:1], 0x40
	v_and_b32_e32 v1, 0xffff, v3
	v_cmp_gt_u32_e64 s0, 0x2a4, v0
	s_sub_i32 s9, s9, s10
	v_and_b32_e32 v3, 0xffff, v13
	s_sub_i32 s1, s14, s10
	v_subrev_nc_u32_e32 v2, 26, v1
	s_mul_i32 s14, s9, 0x1520
	s_delay_alu instid0(VALU_DEP_1) | instskip(SKIP_2) | instid1(VALU_DEP_3)
	v_cndmask_b32_e64 v1, v2, v1, s0
	v_mov_b32_e32 v2, 0
	v_cmp_lt_u32_e64 s0, 0x2a3, v0
	v_dual_cndmask_b32 v3, v3, v1 :: v_dual_lshlrev_b32 v4, 3, v0
	s_delay_alu instid0(VALU_DEP_3) | instskip(NEXT) | instid1(VALU_DEP_3)
	v_mov_b32_e32 v1, v2
	v_cndmask_b32_e64 v14, 0, 1, s0
	s_mul_hi_i32 s0, s9, 0x1520
	s_waitcnt lgkmcnt(0)
	s_add_u32 s6, s6, s14
	s_addc_u32 s0, s7, s0
	v_add_co_u32 v4, s6, s6, v4
	s_delay_alu instid0(VALU_DEP_1)
	v_add_co_ci_u32_e64 v5, null, s0, 0, s6
	s_set_inst_prefetch_distance 0x1
	s_branch .LBB41_13
	.p2align	6
.LBB41_12:                              ;   in Loop: Header=BB41_13 Depth=1
	s_or_b32 exec_lo, exec_lo, s0
	s_add_i32 s9, s9, 1
	s_delay_alu instid0(SALU_CYCLE_1)
	s_cmp_lt_i32 s9, s1
	s_cbranch_scc0 .LBB41_18
.LBB41_13:                              ; =>This Inner Loop Header: Depth=1
	v_add_nc_u32_e32 v6, s9, v14
	s_mov_b32 s0, exec_lo
	s_delay_alu instid0(VALU_DEP_1)
	v_cmpx_gt_i32_e64 s1, v6
	s_cbranch_execz .LBB41_12
; %bb.14:                               ;   in Loop: Header=BB41_13 Depth=1
	v_ashrrev_i32_e32 v7, 31, v6
	s_delay_alu instid0(VALU_DEP_1) | instskip(NEXT) | instid1(VALU_DEP_1)
	v_lshlrev_b64 v[6:7], 2, v[6:7]
	v_add_co_u32 v6, vcc_lo, s4, v6
	s_delay_alu instid0(VALU_DEP_2) | instskip(SKIP_3) | instid1(VALU_DEP_1)
	v_add_co_ci_u32_e32 v7, vcc_lo, s5, v7, vcc_lo
	global_load_b32 v6, v[6:7], off
	s_waitcnt vmcnt(0)
	v_subrev_nc_u32_e32 v15, s10, v6
	v_mad_u64_u32 v[6:7], null, v15, 26, v[3:4]
	s_delay_alu instid0(VALU_DEP_1) | instskip(NEXT) | instid1(VALU_DEP_1)
	v_ashrrev_i32_e32 v7, 31, v6
	v_lshlrev_b64 v[6:7], 3, v[6:7]
	s_delay_alu instid0(VALU_DEP_1) | instskip(NEXT) | instid1(VALU_DEP_2)
	v_add_co_u32 v6, vcc_lo, s12, v6
	v_add_co_ci_u32_e32 v7, vcc_lo, s13, v7, vcc_lo
	global_load_b64 v[15:16], v[4:5], off
	global_load_b64 v[6:7], v[6:7], off
	v_add_co_u32 v4, vcc_lo, 0x1520, v4
	v_add_co_ci_u32_e32 v5, vcc_lo, 0, v5, vcc_lo
	s_waitcnt vmcnt(0)
	v_fmac_f32_e32 v1, v15, v6
	v_fmac_f32_e32 v2, v16, v6
	s_delay_alu instid0(VALU_DEP_2) | instskip(NEXT) | instid1(VALU_DEP_2)
	v_fma_f32 v1, -v16, v7, v1
	v_fmac_f32_e32 v2, v15, v7
	s_branch .LBB41_12
.LBB41_15:
	v_dual_mov_b32 v1, s4 :: v_dual_mov_b32 v2, s5
	flat_load_b32 v10, v[1:2]
	v_cndmask_b32_e64 v1, 0, 1, s6
	v_mov_b32_e32 v11, s5
	s_and_not1_b32 vcc_lo, exec_lo, s6
	s_cbranch_vccnz .LBB41_2
.LBB41_16:
	v_dual_mov_b32 v2, s4 :: v_dual_mov_b32 v3, s5
	flat_load_b32 v11, v[2:3] offset:4
	v_cmp_ne_u32_e32 vcc_lo, 1, v1
	v_mov_b32_e32 v8, s2
	s_cbranch_vccnz .LBB41_3
.LBB41_17:
	v_dual_mov_b32 v2, s2 :: v_dual_mov_b32 v3, s3
	flat_load_b32 v8, v[2:3]
	v_cmp_ne_u32_e32 vcc_lo, 1, v1
	v_mov_b32_e32 v9, s3
	s_cbranch_vccz .LBB41_4
	s_branch .LBB41_5
.LBB41_18:
	s_set_inst_prefetch_distance 0x2
	s_and_b32 vcc_lo, exec_lo, s11
	ds_store_b64 v12, v[1:2]
	s_waitcnt lgkmcnt(0)
	s_barrier
	buffer_gl0_inv
	s_cbranch_vccz .LBB41_30
; %bb.19:
	s_mov_b32 s0, exec_lo
	v_cmpx_gt_u16_e32 10, v13
	s_cbranch_execz .LBB41_21
; %bb.20:
	ds_load_2addr_b64 v[3:6], v12 offset1:16
	s_waitcnt lgkmcnt(0)
	v_dual_add_f32 v3, v5, v3 :: v_dual_add_f32 v4, v6, v4
	ds_store_b64 v12, v[3:4]
.LBB41_21:
	s_or_b32 exec_lo, exec_lo, s0
	s_delay_alu instid0(SALU_CYCLE_1)
	s_mov_b32 s0, exec_lo
	s_waitcnt lgkmcnt(0)
	s_barrier
	buffer_gl0_inv
	v_cmpx_gt_u16_e32 8, v13
	s_cbranch_execz .LBB41_23
; %bb.22:
	ds_load_2addr_b64 v[3:6], v12 offset1:8
	s_waitcnt lgkmcnt(0)
	v_dual_add_f32 v3, v5, v3 :: v_dual_add_f32 v4, v6, v4
	ds_store_b64 v12, v[3:4]
.LBB41_23:
	s_or_b32 exec_lo, exec_lo, s0
	s_delay_alu instid0(SALU_CYCLE_1)
	s_mov_b32 s0, exec_lo
	s_waitcnt lgkmcnt(0)
	s_barrier
	buffer_gl0_inv
	;; [unrolled: 14-line block ×3, first 2 shown]
	v_cmpx_gt_u16_e32 2, v13
	s_cbranch_execz .LBB41_27
; %bb.26:
	ds_load_2addr_b64 v[3:6], v12 offset1:2
	s_waitcnt lgkmcnt(0)
	v_dual_add_f32 v3, v5, v3 :: v_dual_add_f32 v4, v6, v4
	ds_store_b64 v12, v[3:4]
.LBB41_27:
	s_or_b32 exec_lo, exec_lo, s0
	s_mov_b32 s1, 0
	s_mov_b32 s0, 0
	s_mov_b32 s4, exec_lo
	s_waitcnt lgkmcnt(0)
	s_barrier
	buffer_gl0_inv
                                        ; implicit-def: $vgpr4
                                        ; implicit-def: $vgpr3
	v_cmpx_gt_u32_e32 26, v0
	s_xor_b32 s4, exec_lo, s4
; %bb.28:
	v_mul_u32_u24_e32 v3, 26, v0
	s_mov_b32 s0, exec_lo
	s_delay_alu instid0(VALU_DEP_1)
	v_lshlrev_b32_e32 v4, 3, v3
	v_or_b32_e32 v3, 1, v3
; %bb.29:
	s_or_b32 exec_lo, exec_lo, s4
	s_delay_alu instid0(SALU_CYCLE_1)
	s_and_b32 vcc_lo, exec_lo, s1
	s_cbranch_vccnz .LBB41_31
	s_branch .LBB41_42
.LBB41_30:
	s_mov_b32 s0, 0
                                        ; implicit-def: $vgpr4
                                        ; implicit-def: $vgpr3
	s_cbranch_execz .LBB41_42
.LBB41_31:
	s_mov_b32 s1, exec_lo
	v_cmpx_gt_u32_e32 0x104, v0
	s_cbranch_execz .LBB41_33
; %bb.32:
	ds_load_b64 v[3:4], v12 offset:3328
	ds_load_b64 v[5:6], v12
	s_waitcnt lgkmcnt(0)
	v_dual_add_f32 v3, v3, v5 :: v_dual_add_f32 v4, v4, v6
	ds_store_b64 v12, v[3:4]
.LBB41_33:
	s_or_b32 exec_lo, exec_lo, s1
	s_delay_alu instid0(SALU_CYCLE_1)
	s_mov_b32 s1, exec_lo
	s_waitcnt lgkmcnt(0)
	s_barrier
	buffer_gl0_inv
	v_cmpx_gt_u32_e32 0xd0, v0
	s_cbranch_execz .LBB41_35
; %bb.34:
	ds_load_2addr_b64 v[3:6], v12 offset1:208
	s_waitcnt lgkmcnt(0)
	v_dual_add_f32 v3, v5, v3 :: v_dual_add_f32 v4, v6, v4
	ds_store_b64 v12, v[3:4]
.LBB41_35:
	s_or_b32 exec_lo, exec_lo, s1
	s_delay_alu instid0(SALU_CYCLE_1)
	s_mov_b32 s1, exec_lo
	s_waitcnt lgkmcnt(0)
	s_barrier
	buffer_gl0_inv
	v_cmpx_gt_u32_e32 0x68, v0
	s_cbranch_execz .LBB41_37
; %bb.36:
	ds_load_2addr_b64 v[3:6], v12 offset1:104
	s_waitcnt lgkmcnt(0)
	v_dual_add_f32 v3, v5, v3 :: v_dual_add_f32 v4, v6, v4
	ds_store_b64 v12, v[3:4]
.LBB41_37:
	;; [unrolled: 14-line block ×3, first 2 shown]
	s_or_b32 exec_lo, exec_lo, s1
	s_delay_alu instid0(SALU_CYCLE_1)
	s_mov_b32 s1, exec_lo
	s_waitcnt lgkmcnt(0)
	buffer_gl0_inv
                                        ; implicit-def: $vgpr3
	v_cmpx_gt_u32_e32 26, v0
; %bb.40:
	v_add_nc_u32_e32 v3, 26, v0
	s_or_b32 s0, s0, exec_lo
                                        ; implicit-def: $vgpr2
; %bb.41:
	s_or_b32 exec_lo, exec_lo, s1
	v_mov_b32_e32 v4, v12
.LBB41_42:
	s_and_saveexec_b32 s1, s0
	s_cbranch_execnz .LBB41_45
; %bb.43:
	s_or_b32 exec_lo, exec_lo, s1
	v_cmp_gt_u32_e32 vcc_lo, 26, v0
	s_and_b32 exec_lo, exec_lo, vcc_lo
	s_cbranch_execnz .LBB41_46
.LBB41_44:
	s_nop 0
	s_sendmsg sendmsg(MSG_DEALLOC_VGPRS)
	s_endpgm
.LBB41_45:
	v_lshlrev_b32_e32 v3, 3, v3
	ds_load_2addr_b32 v[1:2], v4 offset1:1
	ds_load_b64 v[3:4], v3
	s_waitcnt lgkmcnt(0)
	v_dual_add_f32 v2, v4, v2 :: v_dual_add_f32 v1, v3, v1
	s_or_b32 exec_lo, exec_lo, s1
	v_cmp_gt_u32_e32 vcc_lo, 26, v0
	s_and_b32 exec_lo, exec_lo, vcc_lo
	s_cbranch_execz .LBB41_44
.LBB41_46:
	v_mul_f32_e64 v3, v2, -v11
	v_mul_f32_e32 v4, v2, v10
	v_cmp_eq_f32_e32 vcc_lo, 0, v8
	v_cmp_eq_f32_e64 s0, 0, v9
	s_delay_alu instid0(VALU_DEP_4) | instskip(NEXT) | instid1(VALU_DEP_4)
	v_fmac_f32_e32 v3, v10, v1
	v_fmac_f32_e32 v4, v11, v1
	s_delay_alu instid0(VALU_DEP_3) | instskip(NEXT) | instid1(SALU_CYCLE_1)
	s_and_b32 s0, vcc_lo, s0
	s_and_saveexec_b32 s1, s0
	s_delay_alu instid0(SALU_CYCLE_1)
	s_xor_b32 s0, exec_lo, s1
	s_cbranch_execz .LBB41_48
; %bb.47:
	v_mad_u64_u32 v[1:2], null, s8, 26, v[0:1]
	v_mov_b32_e32 v2, 0
                                        ; implicit-def: $vgpr8
                                        ; implicit-def: $vgpr9
	s_delay_alu instid0(VALU_DEP_1) | instskip(NEXT) | instid1(VALU_DEP_1)
	v_lshlrev_b64 v[0:1], 3, v[1:2]
	v_add_co_u32 v0, vcc_lo, s2, v0
	s_delay_alu instid0(VALU_DEP_2)
	v_add_co_ci_u32_e32 v1, vcc_lo, s3, v1, vcc_lo
	global_store_b64 v[0:1], v[3:4], off
                                        ; implicit-def: $vgpr0
                                        ; implicit-def: $vgpr3
.LBB41_48:
	s_and_not1_saveexec_b32 s0, s0
	s_cbranch_execz .LBB41_44
; %bb.49:
	v_mad_u64_u32 v[1:2], null, s8, 26, v[0:1]
	v_mov_b32_e32 v2, 0
	s_delay_alu instid0(VALU_DEP_1) | instskip(NEXT) | instid1(VALU_DEP_1)
	v_lshlrev_b64 v[0:1], 3, v[1:2]
	v_add_co_u32 v0, vcc_lo, s2, v0
	s_delay_alu instid0(VALU_DEP_2) | instskip(SKIP_4) | instid1(VALU_DEP_2)
	v_add_co_ci_u32_e32 v1, vcc_lo, s3, v1, vcc_lo
	global_load_b64 v[5:6], v[0:1], off
	s_waitcnt vmcnt(0)
	v_fmac_f32_e32 v3, v8, v5
	v_fmac_f32_e32 v4, v9, v5
	v_fma_f32 v3, -v9, v6, v3
	s_delay_alu instid0(VALU_DEP_2)
	v_fmac_f32_e32 v4, v8, v6
	global_store_b64 v[0:1], v[3:4], off
	s_nop 0
	s_sendmsg sendmsg(MSG_DEALLOC_VGPRS)
	s_endpgm
	.section	.rodata,"a",@progbits
	.p2align	6, 0x0
	.amdhsa_kernel _ZN9rocsparseL20bsrxmvn_17_32_kernelILj26E21rocsparse_complex_numIfEiiS2_S2_S2_EEvT2_20rocsparse_direction_NS_24const_host_device_scalarIT0_EES3_PKS3_PKT1_SC_S9_PKT3_PKT4_S7_PT5_21rocsparse_index_base_b
		.amdhsa_group_segment_fixed_size 5408
		.amdhsa_private_segment_fixed_size 0
		.amdhsa_kernarg_size 96
		.amdhsa_user_sgpr_count 15
		.amdhsa_user_sgpr_dispatch_ptr 0
		.amdhsa_user_sgpr_queue_ptr 0
		.amdhsa_user_sgpr_kernarg_segment_ptr 1
		.amdhsa_user_sgpr_dispatch_id 0
		.amdhsa_user_sgpr_private_segment_size 0
		.amdhsa_wavefront_size32 1
		.amdhsa_uses_dynamic_stack 0
		.amdhsa_enable_private_segment 0
		.amdhsa_system_sgpr_workgroup_id_x 1
		.amdhsa_system_sgpr_workgroup_id_y 0
		.amdhsa_system_sgpr_workgroup_id_z 0
		.amdhsa_system_sgpr_workgroup_info 0
		.amdhsa_system_vgpr_workitem_id 0
		.amdhsa_next_free_vgpr 17
		.amdhsa_next_free_sgpr 16
		.amdhsa_reserve_vcc 1
		.amdhsa_float_round_mode_32 0
		.amdhsa_float_round_mode_16_64 0
		.amdhsa_float_denorm_mode_32 3
		.amdhsa_float_denorm_mode_16_64 3
		.amdhsa_dx10_clamp 1
		.amdhsa_ieee_mode 1
		.amdhsa_fp16_overflow 0
		.amdhsa_workgroup_processor_mode 1
		.amdhsa_memory_ordered 1
		.amdhsa_forward_progress 0
		.amdhsa_shared_vgpr_count 0
		.amdhsa_exception_fp_ieee_invalid_op 0
		.amdhsa_exception_fp_denorm_src 0
		.amdhsa_exception_fp_ieee_div_zero 0
		.amdhsa_exception_fp_ieee_overflow 0
		.amdhsa_exception_fp_ieee_underflow 0
		.amdhsa_exception_fp_ieee_inexact 0
		.amdhsa_exception_int_div_zero 0
	.end_amdhsa_kernel
	.section	.text._ZN9rocsparseL20bsrxmvn_17_32_kernelILj26E21rocsparse_complex_numIfEiiS2_S2_S2_EEvT2_20rocsparse_direction_NS_24const_host_device_scalarIT0_EES3_PKS3_PKT1_SC_S9_PKT3_PKT4_S7_PT5_21rocsparse_index_base_b,"axG",@progbits,_ZN9rocsparseL20bsrxmvn_17_32_kernelILj26E21rocsparse_complex_numIfEiiS2_S2_S2_EEvT2_20rocsparse_direction_NS_24const_host_device_scalarIT0_EES3_PKS3_PKT1_SC_S9_PKT3_PKT4_S7_PT5_21rocsparse_index_base_b,comdat
.Lfunc_end41:
	.size	_ZN9rocsparseL20bsrxmvn_17_32_kernelILj26E21rocsparse_complex_numIfEiiS2_S2_S2_EEvT2_20rocsparse_direction_NS_24const_host_device_scalarIT0_EES3_PKS3_PKT1_SC_S9_PKT3_PKT4_S7_PT5_21rocsparse_index_base_b, .Lfunc_end41-_ZN9rocsparseL20bsrxmvn_17_32_kernelILj26E21rocsparse_complex_numIfEiiS2_S2_S2_EEvT2_20rocsparse_direction_NS_24const_host_device_scalarIT0_EES3_PKS3_PKT1_SC_S9_PKT3_PKT4_S7_PT5_21rocsparse_index_base_b
                                        ; -- End function
	.section	.AMDGPU.csdata,"",@progbits
; Kernel info:
; codeLenInByte = 1832
; NumSgprs: 18
; NumVgprs: 17
; ScratchSize: 0
; MemoryBound: 0
; FloatMode: 240
; IeeeMode: 1
; LDSByteSize: 5408 bytes/workgroup (compile time only)
; SGPRBlocks: 2
; VGPRBlocks: 2
; NumSGPRsForWavesPerEU: 18
; NumVGPRsForWavesPerEU: 17
; Occupancy: 11
; WaveLimiterHint : 1
; COMPUTE_PGM_RSRC2:SCRATCH_EN: 0
; COMPUTE_PGM_RSRC2:USER_SGPR: 15
; COMPUTE_PGM_RSRC2:TRAP_HANDLER: 0
; COMPUTE_PGM_RSRC2:TGID_X_EN: 1
; COMPUTE_PGM_RSRC2:TGID_Y_EN: 0
; COMPUTE_PGM_RSRC2:TGID_Z_EN: 0
; COMPUTE_PGM_RSRC2:TIDIG_COMP_CNT: 0
	.section	.text._ZN9rocsparseL20bsrxmvn_17_32_kernelILj27E21rocsparse_complex_numIfEiiS2_S2_S2_EEvT2_20rocsparse_direction_NS_24const_host_device_scalarIT0_EES3_PKS3_PKT1_SC_S9_PKT3_PKT4_S7_PT5_21rocsparse_index_base_b,"axG",@progbits,_ZN9rocsparseL20bsrxmvn_17_32_kernelILj27E21rocsparse_complex_numIfEiiS2_S2_S2_EEvT2_20rocsparse_direction_NS_24const_host_device_scalarIT0_EES3_PKS3_PKT1_SC_S9_PKT3_PKT4_S7_PT5_21rocsparse_index_base_b,comdat
	.globl	_ZN9rocsparseL20bsrxmvn_17_32_kernelILj27E21rocsparse_complex_numIfEiiS2_S2_S2_EEvT2_20rocsparse_direction_NS_24const_host_device_scalarIT0_EES3_PKS3_PKT1_SC_S9_PKT3_PKT4_S7_PT5_21rocsparse_index_base_b ; -- Begin function _ZN9rocsparseL20bsrxmvn_17_32_kernelILj27E21rocsparse_complex_numIfEiiS2_S2_S2_EEvT2_20rocsparse_direction_NS_24const_host_device_scalarIT0_EES3_PKS3_PKT1_SC_S9_PKT3_PKT4_S7_PT5_21rocsparse_index_base_b
	.p2align	8
	.type	_ZN9rocsparseL20bsrxmvn_17_32_kernelILj27E21rocsparse_complex_numIfEiiS2_S2_S2_EEvT2_20rocsparse_direction_NS_24const_host_device_scalarIT0_EES3_PKS3_PKT1_SC_S9_PKT3_PKT4_S7_PT5_21rocsparse_index_base_b,@function
_ZN9rocsparseL20bsrxmvn_17_32_kernelILj27E21rocsparse_complex_numIfEiiS2_S2_S2_EEvT2_20rocsparse_direction_NS_24const_host_device_scalarIT0_EES3_PKS3_PKT1_SC_S9_PKT3_PKT4_S7_PT5_21rocsparse_index_base_b: ; @_ZN9rocsparseL20bsrxmvn_17_32_kernelILj27E21rocsparse_complex_numIfEiiS2_S2_S2_EEvT2_20rocsparse_direction_NS_24const_host_device_scalarIT0_EES3_PKS3_PKT1_SC_S9_PKT3_PKT4_S7_PT5_21rocsparse_index_base_b
; %bb.0:
	s_clause 0x2
	s_load_b64 s[10:11], s[0:1], 0x58
	s_load_b64 s[4:5], s[0:1], 0x8
	;; [unrolled: 1-line block ×3, first 2 shown]
	s_mov_b32 s8, s15
	s_waitcnt lgkmcnt(0)
	s_bitcmp1_b32 s11, 0
	v_mov_b32_e32 v10, s4
	s_cselect_b32 s6, -1, 0
	s_delay_alu instid0(SALU_CYCLE_1)
	s_and_b32 vcc_lo, exec_lo, s6
	s_xor_b32 s6, s6, -1
	s_cbranch_vccz .LBB42_15
; %bb.1:
	v_cndmask_b32_e64 v1, 0, 1, s6
	v_mov_b32_e32 v11, s5
	s_and_not1_b32 vcc_lo, exec_lo, s6
	s_cbranch_vccz .LBB42_16
.LBB42_2:
	s_delay_alu instid0(VALU_DEP_2)
	v_cmp_ne_u32_e32 vcc_lo, 1, v1
	v_mov_b32_e32 v8, s2
	s_cbranch_vccz .LBB42_17
.LBB42_3:
	v_cmp_ne_u32_e32 vcc_lo, 1, v1
	v_mov_b32_e32 v9, s3
	s_cbranch_vccnz .LBB42_5
.LBB42_4:
	v_dual_mov_b32 v1, s2 :: v_dual_mov_b32 v2, s3
	flat_load_b32 v9, v[1:2] offset:4
.LBB42_5:
	s_waitcnt vmcnt(0) lgkmcnt(0)
	v_cmp_eq_f32_e32 vcc_lo, 0, v10
	v_cmp_eq_f32_e64 s2, 0, v11
	s_delay_alu instid0(VALU_DEP_1)
	s_and_b32 s4, vcc_lo, s2
	s_mov_b32 s2, -1
	s_and_saveexec_b32 s3, s4
; %bb.6:
	v_cmp_neq_f32_e32 vcc_lo, 1.0, v8
	v_cmp_neq_f32_e64 s2, 0, v9
	s_delay_alu instid0(VALU_DEP_1) | instskip(NEXT) | instid1(SALU_CYCLE_1)
	s_or_b32 s2, vcc_lo, s2
	s_or_not1_b32 s2, s2, exec_lo
; %bb.7:
	s_or_b32 exec_lo, exec_lo, s3
	s_and_saveexec_b32 s3, s2
	s_cbranch_execz .LBB42_44
; %bb.8:
	s_clause 0x1
	s_load_b128 s[4:7], s[0:1], 0x18
	s_load_b64 s[2:3], s[0:1], 0x28
	s_waitcnt lgkmcnt(0)
	s_cmp_eq_u64 s[4:5], 0
	s_cbranch_scc1 .LBB42_10
; %bb.9:
	s_ashr_i32 s9, s8, 31
	s_delay_alu instid0(SALU_CYCLE_1) | instskip(NEXT) | instid1(SALU_CYCLE_1)
	s_lshl_b64 s[8:9], s[8:9], 2
	s_add_u32 s4, s4, s8
	s_addc_u32 s5, s5, s9
	s_load_b32 s4, s[4:5], 0x0
	s_waitcnt lgkmcnt(0)
	s_sub_i32 s8, s4, s10
.LBB42_10:
	s_load_b32 s4, s[0:1], 0x4
	v_mul_u32_u24_e32 v1, 0x97c, v0
	v_mov_b32_e32 v2, 0
	v_lshlrev_b32_e32 v12, 3, v0
	s_delay_alu instid0(VALU_DEP_3) | instskip(NEXT) | instid1(VALU_DEP_1)
	v_lshrrev_b32_e32 v3, 16, v1
	v_mul_lo_u16 v1, v3, 27
	s_delay_alu instid0(VALU_DEP_1)
	v_sub_nc_u16 v13, v0, v1
	v_mov_b32_e32 v1, 0
	s_waitcnt lgkmcnt(0)
	s_cmp_eq_u32 s4, 1
	s_cselect_b32 vcc_lo, -1, 0
	s_cmp_lg_u32 s4, 1
	s_cselect_b32 s11, -1, 0
	s_ashr_i32 s9, s8, 31
	s_delay_alu instid0(SALU_CYCLE_1) | instskip(NEXT) | instid1(SALU_CYCLE_1)
	s_lshl_b64 s[4:5], s[8:9], 2
	s_add_u32 s6, s6, s4
	s_addc_u32 s7, s7, s5
	s_add_u32 s9, s6, 4
	s_addc_u32 s12, s7, 0
	;; [unrolled: 2-line block ×3, first 2 shown]
	s_cmp_eq_u64 s[2:3], 0
	s_cselect_b32 s3, s12, s5
	s_cselect_b32 s2, s9, s4
	s_load_b32 s9, s[6:7], 0x0
	s_load_b32 s14, s[2:3], 0x0
	s_load_b64 s[2:3], s[0:1], 0x50
	s_waitcnt lgkmcnt(0)
	s_cmp_ge_i32 s9, s14
	s_cbranch_scc1 .LBB42_18
; %bb.11:
	s_clause 0x1
	s_load_b128 s[4:7], s[0:1], 0x30
	s_load_b64 s[12:13], s[0:1], 0x40
	v_and_b32_e32 v1, 0xffff, v3
	v_cmp_gt_u32_e64 s0, 0x2d9, v0
	s_sub_i32 s9, s9, s10
	v_and_b32_e32 v3, 0xffff, v13
	s_sub_i32 s1, s14, s10
	v_subrev_nc_u32_e32 v2, 27, v1
	s_mul_i32 s14, s9, 0x16c8
	s_delay_alu instid0(VALU_DEP_1) | instskip(SKIP_2) | instid1(VALU_DEP_3)
	v_cndmask_b32_e64 v1, v2, v1, s0
	v_mov_b32_e32 v2, 0
	v_cmp_lt_u32_e64 s0, 0x2d8, v0
	v_dual_cndmask_b32 v3, v3, v1 :: v_dual_lshlrev_b32 v4, 3, v0
	s_delay_alu instid0(VALU_DEP_3) | instskip(NEXT) | instid1(VALU_DEP_3)
	v_mov_b32_e32 v1, v2
	v_cndmask_b32_e64 v14, 0, 1, s0
	s_mul_hi_i32 s0, s9, 0x16c8
	s_waitcnt lgkmcnt(0)
	s_add_u32 s6, s6, s14
	s_addc_u32 s0, s7, s0
	v_add_co_u32 v4, s6, s6, v4
	s_delay_alu instid0(VALU_DEP_1)
	v_add_co_ci_u32_e64 v5, null, s0, 0, s6
	s_set_inst_prefetch_distance 0x1
	s_branch .LBB42_13
	.p2align	6
.LBB42_12:                              ;   in Loop: Header=BB42_13 Depth=1
	s_or_b32 exec_lo, exec_lo, s0
	s_add_i32 s9, s9, 1
	s_delay_alu instid0(SALU_CYCLE_1)
	s_cmp_lt_i32 s9, s1
	s_cbranch_scc0 .LBB42_18
.LBB42_13:                              ; =>This Inner Loop Header: Depth=1
	v_add_nc_u32_e32 v6, s9, v14
	s_mov_b32 s0, exec_lo
	s_delay_alu instid0(VALU_DEP_1)
	v_cmpx_gt_i32_e64 s1, v6
	s_cbranch_execz .LBB42_12
; %bb.14:                               ;   in Loop: Header=BB42_13 Depth=1
	v_ashrrev_i32_e32 v7, 31, v6
	s_delay_alu instid0(VALU_DEP_1) | instskip(NEXT) | instid1(VALU_DEP_1)
	v_lshlrev_b64 v[6:7], 2, v[6:7]
	v_add_co_u32 v6, vcc_lo, s4, v6
	s_delay_alu instid0(VALU_DEP_2) | instskip(SKIP_3) | instid1(VALU_DEP_1)
	v_add_co_ci_u32_e32 v7, vcc_lo, s5, v7, vcc_lo
	global_load_b32 v6, v[6:7], off
	s_waitcnt vmcnt(0)
	v_subrev_nc_u32_e32 v15, s10, v6
	v_mad_u64_u32 v[6:7], null, v15, 27, v[3:4]
	s_delay_alu instid0(VALU_DEP_1) | instskip(NEXT) | instid1(VALU_DEP_1)
	v_ashrrev_i32_e32 v7, 31, v6
	v_lshlrev_b64 v[6:7], 3, v[6:7]
	s_delay_alu instid0(VALU_DEP_1) | instskip(NEXT) | instid1(VALU_DEP_2)
	v_add_co_u32 v6, vcc_lo, s12, v6
	v_add_co_ci_u32_e32 v7, vcc_lo, s13, v7, vcc_lo
	global_load_b64 v[15:16], v[4:5], off
	global_load_b64 v[6:7], v[6:7], off
	v_add_co_u32 v4, vcc_lo, 0x16c8, v4
	v_add_co_ci_u32_e32 v5, vcc_lo, 0, v5, vcc_lo
	s_waitcnt vmcnt(0)
	v_fmac_f32_e32 v1, v15, v6
	v_fmac_f32_e32 v2, v16, v6
	s_delay_alu instid0(VALU_DEP_2) | instskip(NEXT) | instid1(VALU_DEP_2)
	v_fma_f32 v1, -v16, v7, v1
	v_fmac_f32_e32 v2, v15, v7
	s_branch .LBB42_12
.LBB42_15:
	v_dual_mov_b32 v1, s4 :: v_dual_mov_b32 v2, s5
	flat_load_b32 v10, v[1:2]
	v_cndmask_b32_e64 v1, 0, 1, s6
	v_mov_b32_e32 v11, s5
	s_and_not1_b32 vcc_lo, exec_lo, s6
	s_cbranch_vccnz .LBB42_2
.LBB42_16:
	v_dual_mov_b32 v2, s4 :: v_dual_mov_b32 v3, s5
	flat_load_b32 v11, v[2:3] offset:4
	v_cmp_ne_u32_e32 vcc_lo, 1, v1
	v_mov_b32_e32 v8, s2
	s_cbranch_vccnz .LBB42_3
.LBB42_17:
	v_dual_mov_b32 v2, s2 :: v_dual_mov_b32 v3, s3
	flat_load_b32 v8, v[2:3]
	v_cmp_ne_u32_e32 vcc_lo, 1, v1
	v_mov_b32_e32 v9, s3
	s_cbranch_vccz .LBB42_4
	s_branch .LBB42_5
.LBB42_18:
	s_set_inst_prefetch_distance 0x2
	s_and_b32 vcc_lo, exec_lo, s11
	ds_store_b64 v12, v[1:2]
	s_waitcnt lgkmcnt(0)
	s_barrier
	buffer_gl0_inv
	s_cbranch_vccz .LBB42_30
; %bb.19:
	s_mov_b32 s0, exec_lo
	v_cmpx_gt_u16_e32 11, v13
	s_cbranch_execz .LBB42_21
; %bb.20:
	ds_load_2addr_b64 v[3:6], v12 offset1:16
	s_waitcnt lgkmcnt(0)
	v_dual_add_f32 v3, v5, v3 :: v_dual_add_f32 v4, v6, v4
	ds_store_b64 v12, v[3:4]
.LBB42_21:
	s_or_b32 exec_lo, exec_lo, s0
	s_delay_alu instid0(SALU_CYCLE_1)
	s_mov_b32 s0, exec_lo
	s_waitcnt lgkmcnt(0)
	s_barrier
	buffer_gl0_inv
	v_cmpx_gt_u16_e32 8, v13
	s_cbranch_execz .LBB42_23
; %bb.22:
	ds_load_2addr_b64 v[3:6], v12 offset1:8
	s_waitcnt lgkmcnt(0)
	v_dual_add_f32 v3, v5, v3 :: v_dual_add_f32 v4, v6, v4
	ds_store_b64 v12, v[3:4]
.LBB42_23:
	s_or_b32 exec_lo, exec_lo, s0
	s_delay_alu instid0(SALU_CYCLE_1)
	s_mov_b32 s0, exec_lo
	s_waitcnt lgkmcnt(0)
	s_barrier
	buffer_gl0_inv
	;; [unrolled: 14-line block ×3, first 2 shown]
	v_cmpx_gt_u16_e32 2, v13
	s_cbranch_execz .LBB42_27
; %bb.26:
	ds_load_2addr_b64 v[3:6], v12 offset1:2
	s_waitcnt lgkmcnt(0)
	v_dual_add_f32 v3, v5, v3 :: v_dual_add_f32 v4, v6, v4
	ds_store_b64 v12, v[3:4]
.LBB42_27:
	s_or_b32 exec_lo, exec_lo, s0
	s_mov_b32 s1, 0
	s_mov_b32 s0, 0
	s_mov_b32 s4, exec_lo
	s_waitcnt lgkmcnt(0)
	s_barrier
	buffer_gl0_inv
                                        ; implicit-def: $vgpr4
                                        ; implicit-def: $vgpr3
	v_cmpx_gt_u32_e32 27, v0
	s_xor_b32 s4, exec_lo, s4
; %bb.28:
	v_mul_u32_u24_e32 v3, 27, v0
	s_mov_b32 s0, exec_lo
	s_delay_alu instid0(VALU_DEP_1)
	v_lshlrev_b32_e32 v4, 3, v3
	v_mad_u32_u24 v3, v0, 27, 1
; %bb.29:
	s_or_b32 exec_lo, exec_lo, s4
	s_delay_alu instid0(SALU_CYCLE_1)
	s_and_b32 vcc_lo, exec_lo, s1
	s_cbranch_vccnz .LBB42_31
	s_branch .LBB42_42
.LBB42_30:
	s_mov_b32 s0, 0
                                        ; implicit-def: $vgpr4
                                        ; implicit-def: $vgpr3
	s_cbranch_execz .LBB42_42
.LBB42_31:
	s_mov_b32 s1, exec_lo
	v_cmpx_gt_u32_e32 0x129, v0
	s_cbranch_execz .LBB42_33
; %bb.32:
	ds_load_b64 v[3:4], v12 offset:3456
	ds_load_b64 v[5:6], v12
	s_waitcnt lgkmcnt(0)
	v_dual_add_f32 v3, v3, v5 :: v_dual_add_f32 v4, v4, v6
	ds_store_b64 v12, v[3:4]
.LBB42_33:
	s_or_b32 exec_lo, exec_lo, s1
	s_delay_alu instid0(SALU_CYCLE_1)
	s_mov_b32 s1, exec_lo
	s_waitcnt lgkmcnt(0)
	s_barrier
	buffer_gl0_inv
	v_cmpx_gt_u32_e32 0xd8, v0
	s_cbranch_execz .LBB42_35
; %bb.34:
	ds_load_2addr_b64 v[3:6], v12 offset1:216
	s_waitcnt lgkmcnt(0)
	v_dual_add_f32 v3, v5, v3 :: v_dual_add_f32 v4, v6, v4
	ds_store_b64 v12, v[3:4]
.LBB42_35:
	s_or_b32 exec_lo, exec_lo, s1
	s_delay_alu instid0(SALU_CYCLE_1)
	s_mov_b32 s1, exec_lo
	s_waitcnt lgkmcnt(0)
	s_barrier
	buffer_gl0_inv
	v_cmpx_gt_u32_e32 0x6c, v0
	s_cbranch_execz .LBB42_37
; %bb.36:
	ds_load_2addr_b64 v[3:6], v12 offset1:108
	s_waitcnt lgkmcnt(0)
	v_dual_add_f32 v3, v5, v3 :: v_dual_add_f32 v4, v6, v4
	ds_store_b64 v12, v[3:4]
.LBB42_37:
	;; [unrolled: 14-line block ×3, first 2 shown]
	s_or_b32 exec_lo, exec_lo, s1
	s_delay_alu instid0(SALU_CYCLE_1)
	s_mov_b32 s1, exec_lo
	s_waitcnt lgkmcnt(0)
	buffer_gl0_inv
                                        ; implicit-def: $vgpr3
	v_cmpx_gt_u32_e32 27, v0
; %bb.40:
	v_add_nc_u32_e32 v3, 27, v0
	s_or_b32 s0, s0, exec_lo
                                        ; implicit-def: $vgpr2
; %bb.41:
	s_or_b32 exec_lo, exec_lo, s1
	v_mov_b32_e32 v4, v12
.LBB42_42:
	s_and_saveexec_b32 s1, s0
	s_cbranch_execnz .LBB42_45
; %bb.43:
	s_or_b32 exec_lo, exec_lo, s1
	v_cmp_gt_u32_e32 vcc_lo, 27, v0
	s_and_b32 exec_lo, exec_lo, vcc_lo
	s_cbranch_execnz .LBB42_46
.LBB42_44:
	s_nop 0
	s_sendmsg sendmsg(MSG_DEALLOC_VGPRS)
	s_endpgm
.LBB42_45:
	v_lshlrev_b32_e32 v3, 3, v3
	ds_load_2addr_b32 v[1:2], v4 offset1:1
	ds_load_b64 v[3:4], v3
	s_waitcnt lgkmcnt(0)
	v_dual_add_f32 v2, v4, v2 :: v_dual_add_f32 v1, v3, v1
	s_or_b32 exec_lo, exec_lo, s1
	v_cmp_gt_u32_e32 vcc_lo, 27, v0
	s_and_b32 exec_lo, exec_lo, vcc_lo
	s_cbranch_execz .LBB42_44
.LBB42_46:
	v_mul_f32_e64 v3, v2, -v11
	v_mul_f32_e32 v4, v2, v10
	v_cmp_eq_f32_e32 vcc_lo, 0, v8
	v_cmp_eq_f32_e64 s0, 0, v9
	s_delay_alu instid0(VALU_DEP_4) | instskip(NEXT) | instid1(VALU_DEP_4)
	v_fmac_f32_e32 v3, v10, v1
	v_fmac_f32_e32 v4, v11, v1
	s_delay_alu instid0(VALU_DEP_3) | instskip(NEXT) | instid1(SALU_CYCLE_1)
	s_and_b32 s0, vcc_lo, s0
	s_and_saveexec_b32 s1, s0
	s_delay_alu instid0(SALU_CYCLE_1)
	s_xor_b32 s0, exec_lo, s1
	s_cbranch_execz .LBB42_48
; %bb.47:
	v_mad_u64_u32 v[1:2], null, s8, 27, v[0:1]
	v_mov_b32_e32 v2, 0
                                        ; implicit-def: $vgpr8
                                        ; implicit-def: $vgpr9
	s_delay_alu instid0(VALU_DEP_1) | instskip(NEXT) | instid1(VALU_DEP_1)
	v_lshlrev_b64 v[0:1], 3, v[1:2]
	v_add_co_u32 v0, vcc_lo, s2, v0
	s_delay_alu instid0(VALU_DEP_2)
	v_add_co_ci_u32_e32 v1, vcc_lo, s3, v1, vcc_lo
	global_store_b64 v[0:1], v[3:4], off
                                        ; implicit-def: $vgpr0
                                        ; implicit-def: $vgpr3
.LBB42_48:
	s_and_not1_saveexec_b32 s0, s0
	s_cbranch_execz .LBB42_44
; %bb.49:
	v_mad_u64_u32 v[1:2], null, s8, 27, v[0:1]
	v_mov_b32_e32 v2, 0
	s_delay_alu instid0(VALU_DEP_1) | instskip(NEXT) | instid1(VALU_DEP_1)
	v_lshlrev_b64 v[0:1], 3, v[1:2]
	v_add_co_u32 v0, vcc_lo, s2, v0
	s_delay_alu instid0(VALU_DEP_2) | instskip(SKIP_4) | instid1(VALU_DEP_2)
	v_add_co_ci_u32_e32 v1, vcc_lo, s3, v1, vcc_lo
	global_load_b64 v[5:6], v[0:1], off
	s_waitcnt vmcnt(0)
	v_fmac_f32_e32 v3, v8, v5
	v_fmac_f32_e32 v4, v9, v5
	v_fma_f32 v3, -v9, v6, v3
	s_delay_alu instid0(VALU_DEP_2)
	v_fmac_f32_e32 v4, v8, v6
	global_store_b64 v[0:1], v[3:4], off
	s_nop 0
	s_sendmsg sendmsg(MSG_DEALLOC_VGPRS)
	s_endpgm
	.section	.rodata,"a",@progbits
	.p2align	6, 0x0
	.amdhsa_kernel _ZN9rocsparseL20bsrxmvn_17_32_kernelILj27E21rocsparse_complex_numIfEiiS2_S2_S2_EEvT2_20rocsparse_direction_NS_24const_host_device_scalarIT0_EES3_PKS3_PKT1_SC_S9_PKT3_PKT4_S7_PT5_21rocsparse_index_base_b
		.amdhsa_group_segment_fixed_size 5832
		.amdhsa_private_segment_fixed_size 0
		.amdhsa_kernarg_size 96
		.amdhsa_user_sgpr_count 15
		.amdhsa_user_sgpr_dispatch_ptr 0
		.amdhsa_user_sgpr_queue_ptr 0
		.amdhsa_user_sgpr_kernarg_segment_ptr 1
		.amdhsa_user_sgpr_dispatch_id 0
		.amdhsa_user_sgpr_private_segment_size 0
		.amdhsa_wavefront_size32 1
		.amdhsa_uses_dynamic_stack 0
		.amdhsa_enable_private_segment 0
		.amdhsa_system_sgpr_workgroup_id_x 1
		.amdhsa_system_sgpr_workgroup_id_y 0
		.amdhsa_system_sgpr_workgroup_id_z 0
		.amdhsa_system_sgpr_workgroup_info 0
		.amdhsa_system_vgpr_workitem_id 0
		.amdhsa_next_free_vgpr 17
		.amdhsa_next_free_sgpr 16
		.amdhsa_reserve_vcc 1
		.amdhsa_float_round_mode_32 0
		.amdhsa_float_round_mode_16_64 0
		.amdhsa_float_denorm_mode_32 3
		.amdhsa_float_denorm_mode_16_64 3
		.amdhsa_dx10_clamp 1
		.amdhsa_ieee_mode 1
		.amdhsa_fp16_overflow 0
		.amdhsa_workgroup_processor_mode 1
		.amdhsa_memory_ordered 1
		.amdhsa_forward_progress 0
		.amdhsa_shared_vgpr_count 0
		.amdhsa_exception_fp_ieee_invalid_op 0
		.amdhsa_exception_fp_denorm_src 0
		.amdhsa_exception_fp_ieee_div_zero 0
		.amdhsa_exception_fp_ieee_overflow 0
		.amdhsa_exception_fp_ieee_underflow 0
		.amdhsa_exception_fp_ieee_inexact 0
		.amdhsa_exception_int_div_zero 0
	.end_amdhsa_kernel
	.section	.text._ZN9rocsparseL20bsrxmvn_17_32_kernelILj27E21rocsparse_complex_numIfEiiS2_S2_S2_EEvT2_20rocsparse_direction_NS_24const_host_device_scalarIT0_EES3_PKS3_PKT1_SC_S9_PKT3_PKT4_S7_PT5_21rocsparse_index_base_b,"axG",@progbits,_ZN9rocsparseL20bsrxmvn_17_32_kernelILj27E21rocsparse_complex_numIfEiiS2_S2_S2_EEvT2_20rocsparse_direction_NS_24const_host_device_scalarIT0_EES3_PKS3_PKT1_SC_S9_PKT3_PKT4_S7_PT5_21rocsparse_index_base_b,comdat
.Lfunc_end42:
	.size	_ZN9rocsparseL20bsrxmvn_17_32_kernelILj27E21rocsparse_complex_numIfEiiS2_S2_S2_EEvT2_20rocsparse_direction_NS_24const_host_device_scalarIT0_EES3_PKS3_PKT1_SC_S9_PKT3_PKT4_S7_PT5_21rocsparse_index_base_b, .Lfunc_end42-_ZN9rocsparseL20bsrxmvn_17_32_kernelILj27E21rocsparse_complex_numIfEiiS2_S2_S2_EEvT2_20rocsparse_direction_NS_24const_host_device_scalarIT0_EES3_PKS3_PKT1_SC_S9_PKT3_PKT4_S7_PT5_21rocsparse_index_base_b
                                        ; -- End function
	.section	.AMDGPU.csdata,"",@progbits
; Kernel info:
; codeLenInByte = 1836
; NumSgprs: 18
; NumVgprs: 17
; ScratchSize: 0
; MemoryBound: 0
; FloatMode: 240
; IeeeMode: 1
; LDSByteSize: 5832 bytes/workgroup (compile time only)
; SGPRBlocks: 2
; VGPRBlocks: 2
; NumSGPRsForWavesPerEU: 18
; NumVGPRsForWavesPerEU: 17
; Occupancy: 12
; WaveLimiterHint : 1
; COMPUTE_PGM_RSRC2:SCRATCH_EN: 0
; COMPUTE_PGM_RSRC2:USER_SGPR: 15
; COMPUTE_PGM_RSRC2:TRAP_HANDLER: 0
; COMPUTE_PGM_RSRC2:TGID_X_EN: 1
; COMPUTE_PGM_RSRC2:TGID_Y_EN: 0
; COMPUTE_PGM_RSRC2:TGID_Z_EN: 0
; COMPUTE_PGM_RSRC2:TIDIG_COMP_CNT: 0
	.section	.text._ZN9rocsparseL20bsrxmvn_17_32_kernelILj28E21rocsparse_complex_numIfEiiS2_S2_S2_EEvT2_20rocsparse_direction_NS_24const_host_device_scalarIT0_EES3_PKS3_PKT1_SC_S9_PKT3_PKT4_S7_PT5_21rocsparse_index_base_b,"axG",@progbits,_ZN9rocsparseL20bsrxmvn_17_32_kernelILj28E21rocsparse_complex_numIfEiiS2_S2_S2_EEvT2_20rocsparse_direction_NS_24const_host_device_scalarIT0_EES3_PKS3_PKT1_SC_S9_PKT3_PKT4_S7_PT5_21rocsparse_index_base_b,comdat
	.globl	_ZN9rocsparseL20bsrxmvn_17_32_kernelILj28E21rocsparse_complex_numIfEiiS2_S2_S2_EEvT2_20rocsparse_direction_NS_24const_host_device_scalarIT0_EES3_PKS3_PKT1_SC_S9_PKT3_PKT4_S7_PT5_21rocsparse_index_base_b ; -- Begin function _ZN9rocsparseL20bsrxmvn_17_32_kernelILj28E21rocsparse_complex_numIfEiiS2_S2_S2_EEvT2_20rocsparse_direction_NS_24const_host_device_scalarIT0_EES3_PKS3_PKT1_SC_S9_PKT3_PKT4_S7_PT5_21rocsparse_index_base_b
	.p2align	8
	.type	_ZN9rocsparseL20bsrxmvn_17_32_kernelILj28E21rocsparse_complex_numIfEiiS2_S2_S2_EEvT2_20rocsparse_direction_NS_24const_host_device_scalarIT0_EES3_PKS3_PKT1_SC_S9_PKT3_PKT4_S7_PT5_21rocsparse_index_base_b,@function
_ZN9rocsparseL20bsrxmvn_17_32_kernelILj28E21rocsparse_complex_numIfEiiS2_S2_S2_EEvT2_20rocsparse_direction_NS_24const_host_device_scalarIT0_EES3_PKS3_PKT1_SC_S9_PKT3_PKT4_S7_PT5_21rocsparse_index_base_b: ; @_ZN9rocsparseL20bsrxmvn_17_32_kernelILj28E21rocsparse_complex_numIfEiiS2_S2_S2_EEvT2_20rocsparse_direction_NS_24const_host_device_scalarIT0_EES3_PKS3_PKT1_SC_S9_PKT3_PKT4_S7_PT5_21rocsparse_index_base_b
; %bb.0:
	s_clause 0x2
	s_load_b64 s[10:11], s[0:1], 0x58
	s_load_b64 s[4:5], s[0:1], 0x8
	;; [unrolled: 1-line block ×3, first 2 shown]
	s_mov_b32 s8, s15
	s_waitcnt lgkmcnt(0)
	s_bitcmp1_b32 s11, 0
	v_mov_b32_e32 v10, s4
	s_cselect_b32 s6, -1, 0
	s_delay_alu instid0(SALU_CYCLE_1)
	s_and_b32 vcc_lo, exec_lo, s6
	s_xor_b32 s6, s6, -1
	s_cbranch_vccz .LBB43_15
; %bb.1:
	v_cndmask_b32_e64 v1, 0, 1, s6
	v_mov_b32_e32 v11, s5
	s_and_not1_b32 vcc_lo, exec_lo, s6
	s_cbranch_vccz .LBB43_16
.LBB43_2:
	s_delay_alu instid0(VALU_DEP_2)
	v_cmp_ne_u32_e32 vcc_lo, 1, v1
	v_mov_b32_e32 v8, s2
	s_cbranch_vccz .LBB43_17
.LBB43_3:
	v_cmp_ne_u32_e32 vcc_lo, 1, v1
	v_mov_b32_e32 v9, s3
	s_cbranch_vccnz .LBB43_5
.LBB43_4:
	v_dual_mov_b32 v1, s2 :: v_dual_mov_b32 v2, s3
	flat_load_b32 v9, v[1:2] offset:4
.LBB43_5:
	s_waitcnt vmcnt(0) lgkmcnt(0)
	v_cmp_eq_f32_e32 vcc_lo, 0, v10
	v_cmp_eq_f32_e64 s2, 0, v11
	s_delay_alu instid0(VALU_DEP_1)
	s_and_b32 s4, vcc_lo, s2
	s_mov_b32 s2, -1
	s_and_saveexec_b32 s3, s4
; %bb.6:
	v_cmp_neq_f32_e32 vcc_lo, 1.0, v8
	v_cmp_neq_f32_e64 s2, 0, v9
	s_delay_alu instid0(VALU_DEP_1) | instskip(NEXT) | instid1(SALU_CYCLE_1)
	s_or_b32 s2, vcc_lo, s2
	s_or_not1_b32 s2, s2, exec_lo
; %bb.7:
	s_or_b32 exec_lo, exec_lo, s3
	s_and_saveexec_b32 s3, s2
	s_cbranch_execz .LBB43_44
; %bb.8:
	s_clause 0x1
	s_load_b128 s[4:7], s[0:1], 0x18
	s_load_b64 s[2:3], s[0:1], 0x28
	s_waitcnt lgkmcnt(0)
	s_cmp_eq_u64 s[4:5], 0
	s_cbranch_scc1 .LBB43_10
; %bb.9:
	s_ashr_i32 s9, s8, 31
	s_delay_alu instid0(SALU_CYCLE_1) | instskip(NEXT) | instid1(SALU_CYCLE_1)
	s_lshl_b64 s[8:9], s[8:9], 2
	s_add_u32 s4, s4, s8
	s_addc_u32 s5, s5, s9
	s_load_b32 s4, s[4:5], 0x0
	s_waitcnt lgkmcnt(0)
	s_sub_i32 s8, s4, s10
.LBB43_10:
	s_load_b32 s4, s[0:1], 0x4
	v_mul_u32_u24_e32 v1, 0x925, v0
	v_mov_b32_e32 v2, 0
	v_lshlrev_b32_e32 v12, 3, v0
	s_delay_alu instid0(VALU_DEP_3) | instskip(NEXT) | instid1(VALU_DEP_1)
	v_lshrrev_b32_e32 v3, 16, v1
	v_mul_lo_u16 v1, v3, 28
	s_delay_alu instid0(VALU_DEP_1)
	v_sub_nc_u16 v13, v0, v1
	v_mov_b32_e32 v1, 0
	s_waitcnt lgkmcnt(0)
	s_cmp_eq_u32 s4, 1
	s_cselect_b32 vcc_lo, -1, 0
	s_cmp_lg_u32 s4, 1
	s_cselect_b32 s11, -1, 0
	s_ashr_i32 s9, s8, 31
	s_delay_alu instid0(SALU_CYCLE_1) | instskip(NEXT) | instid1(SALU_CYCLE_1)
	s_lshl_b64 s[4:5], s[8:9], 2
	s_add_u32 s6, s6, s4
	s_addc_u32 s7, s7, s5
	s_add_u32 s9, s6, 4
	s_addc_u32 s12, s7, 0
	;; [unrolled: 2-line block ×3, first 2 shown]
	s_cmp_eq_u64 s[2:3], 0
	s_cselect_b32 s3, s12, s5
	s_cselect_b32 s2, s9, s4
	s_load_b32 s9, s[6:7], 0x0
	s_load_b32 s14, s[2:3], 0x0
	s_load_b64 s[2:3], s[0:1], 0x50
	s_waitcnt lgkmcnt(0)
	s_cmp_ge_i32 s9, s14
	s_cbranch_scc1 .LBB43_18
; %bb.11:
	s_clause 0x1
	s_load_b128 s[4:7], s[0:1], 0x30
	s_load_b64 s[12:13], s[0:1], 0x40
	v_and_b32_e32 v1, 0xffff, v3
	v_cmp_gt_u32_e64 s0, 0x310, v0
	s_sub_i32 s9, s9, s10
	v_and_b32_e32 v3, 0xffff, v13
	s_sub_i32 s1, s14, s10
	v_subrev_nc_u32_e32 v2, 28, v1
	s_mul_i32 s14, s9, 0x1880
	s_delay_alu instid0(VALU_DEP_1) | instskip(SKIP_2) | instid1(VALU_DEP_3)
	v_cndmask_b32_e64 v1, v2, v1, s0
	v_mov_b32_e32 v2, 0
	v_cmp_lt_u32_e64 s0, 0x30f, v0
	v_dual_cndmask_b32 v3, v3, v1 :: v_dual_lshlrev_b32 v4, 3, v0
	s_delay_alu instid0(VALU_DEP_3) | instskip(NEXT) | instid1(VALU_DEP_3)
	v_mov_b32_e32 v1, v2
	v_cndmask_b32_e64 v14, 0, 1, s0
	s_mul_hi_i32 s0, s9, 0x1880
	s_waitcnt lgkmcnt(0)
	s_add_u32 s6, s6, s14
	s_addc_u32 s0, s7, s0
	v_add_co_u32 v4, s6, s6, v4
	s_delay_alu instid0(VALU_DEP_1)
	v_add_co_ci_u32_e64 v5, null, s0, 0, s6
	s_set_inst_prefetch_distance 0x1
	s_branch .LBB43_13
	.p2align	6
.LBB43_12:                              ;   in Loop: Header=BB43_13 Depth=1
	s_or_b32 exec_lo, exec_lo, s0
	s_add_i32 s9, s9, 1
	s_delay_alu instid0(SALU_CYCLE_1)
	s_cmp_lt_i32 s9, s1
	s_cbranch_scc0 .LBB43_18
.LBB43_13:                              ; =>This Inner Loop Header: Depth=1
	v_add_nc_u32_e32 v6, s9, v14
	s_mov_b32 s0, exec_lo
	s_delay_alu instid0(VALU_DEP_1)
	v_cmpx_gt_i32_e64 s1, v6
	s_cbranch_execz .LBB43_12
; %bb.14:                               ;   in Loop: Header=BB43_13 Depth=1
	v_ashrrev_i32_e32 v7, 31, v6
	s_delay_alu instid0(VALU_DEP_1) | instskip(NEXT) | instid1(VALU_DEP_1)
	v_lshlrev_b64 v[6:7], 2, v[6:7]
	v_add_co_u32 v6, vcc_lo, s4, v6
	s_delay_alu instid0(VALU_DEP_2) | instskip(SKIP_3) | instid1(VALU_DEP_1)
	v_add_co_ci_u32_e32 v7, vcc_lo, s5, v7, vcc_lo
	global_load_b32 v6, v[6:7], off
	s_waitcnt vmcnt(0)
	v_subrev_nc_u32_e32 v15, s10, v6
	v_mad_u64_u32 v[6:7], null, v15, 28, v[3:4]
	s_delay_alu instid0(VALU_DEP_1) | instskip(NEXT) | instid1(VALU_DEP_1)
	v_ashrrev_i32_e32 v7, 31, v6
	v_lshlrev_b64 v[6:7], 3, v[6:7]
	s_delay_alu instid0(VALU_DEP_1) | instskip(NEXT) | instid1(VALU_DEP_2)
	v_add_co_u32 v6, vcc_lo, s12, v6
	v_add_co_ci_u32_e32 v7, vcc_lo, s13, v7, vcc_lo
	global_load_b64 v[15:16], v[4:5], off
	global_load_b64 v[6:7], v[6:7], off
	v_add_co_u32 v4, vcc_lo, 0x1880, v4
	v_add_co_ci_u32_e32 v5, vcc_lo, 0, v5, vcc_lo
	s_waitcnt vmcnt(0)
	v_fmac_f32_e32 v1, v15, v6
	v_fmac_f32_e32 v2, v16, v6
	s_delay_alu instid0(VALU_DEP_2) | instskip(NEXT) | instid1(VALU_DEP_2)
	v_fma_f32 v1, -v16, v7, v1
	v_fmac_f32_e32 v2, v15, v7
	s_branch .LBB43_12
.LBB43_15:
	v_dual_mov_b32 v1, s4 :: v_dual_mov_b32 v2, s5
	flat_load_b32 v10, v[1:2]
	v_cndmask_b32_e64 v1, 0, 1, s6
	v_mov_b32_e32 v11, s5
	s_and_not1_b32 vcc_lo, exec_lo, s6
	s_cbranch_vccnz .LBB43_2
.LBB43_16:
	v_dual_mov_b32 v2, s4 :: v_dual_mov_b32 v3, s5
	flat_load_b32 v11, v[2:3] offset:4
	v_cmp_ne_u32_e32 vcc_lo, 1, v1
	v_mov_b32_e32 v8, s2
	s_cbranch_vccnz .LBB43_3
.LBB43_17:
	v_dual_mov_b32 v2, s2 :: v_dual_mov_b32 v3, s3
	flat_load_b32 v8, v[2:3]
	v_cmp_ne_u32_e32 vcc_lo, 1, v1
	v_mov_b32_e32 v9, s3
	s_cbranch_vccz .LBB43_4
	s_branch .LBB43_5
.LBB43_18:
	s_set_inst_prefetch_distance 0x2
	s_and_b32 vcc_lo, exec_lo, s11
	ds_store_b64 v12, v[1:2]
	s_waitcnt lgkmcnt(0)
	s_barrier
	buffer_gl0_inv
	s_cbranch_vccz .LBB43_30
; %bb.19:
	s_mov_b32 s0, exec_lo
	v_cmpx_gt_u16_e32 12, v13
	s_cbranch_execz .LBB43_21
; %bb.20:
	ds_load_2addr_b64 v[3:6], v12 offset1:16
	s_waitcnt lgkmcnt(0)
	v_dual_add_f32 v3, v5, v3 :: v_dual_add_f32 v4, v6, v4
	ds_store_b64 v12, v[3:4]
.LBB43_21:
	s_or_b32 exec_lo, exec_lo, s0
	s_delay_alu instid0(SALU_CYCLE_1)
	s_mov_b32 s0, exec_lo
	s_waitcnt lgkmcnt(0)
	s_barrier
	buffer_gl0_inv
	v_cmpx_gt_u16_e32 8, v13
	s_cbranch_execz .LBB43_23
; %bb.22:
	ds_load_2addr_b64 v[3:6], v12 offset1:8
	s_waitcnt lgkmcnt(0)
	v_dual_add_f32 v3, v5, v3 :: v_dual_add_f32 v4, v6, v4
	ds_store_b64 v12, v[3:4]
.LBB43_23:
	s_or_b32 exec_lo, exec_lo, s0
	s_delay_alu instid0(SALU_CYCLE_1)
	s_mov_b32 s0, exec_lo
	s_waitcnt lgkmcnt(0)
	s_barrier
	buffer_gl0_inv
	;; [unrolled: 14-line block ×3, first 2 shown]
	v_cmpx_gt_u16_e32 2, v13
	s_cbranch_execz .LBB43_27
; %bb.26:
	ds_load_2addr_b64 v[3:6], v12 offset1:2
	s_waitcnt lgkmcnt(0)
	v_dual_add_f32 v3, v5, v3 :: v_dual_add_f32 v4, v6, v4
	ds_store_b64 v12, v[3:4]
.LBB43_27:
	s_or_b32 exec_lo, exec_lo, s0
	s_mov_b32 s1, 0
	s_mov_b32 s0, 0
	s_mov_b32 s4, exec_lo
	s_waitcnt lgkmcnt(0)
	s_barrier
	buffer_gl0_inv
                                        ; implicit-def: $vgpr4
                                        ; implicit-def: $vgpr3
	v_cmpx_gt_u32_e32 28, v0
	s_xor_b32 s4, exec_lo, s4
; %bb.28:
	v_mul_u32_u24_e32 v3, 28, v0
	s_mov_b32 s0, exec_lo
	s_delay_alu instid0(VALU_DEP_1)
	v_lshlrev_b32_e32 v4, 3, v3
	v_or_b32_e32 v3, 1, v3
; %bb.29:
	s_or_b32 exec_lo, exec_lo, s4
	s_delay_alu instid0(SALU_CYCLE_1)
	s_and_b32 vcc_lo, exec_lo, s1
	s_cbranch_vccnz .LBB43_31
	s_branch .LBB43_42
.LBB43_30:
	s_mov_b32 s0, 0
                                        ; implicit-def: $vgpr4
                                        ; implicit-def: $vgpr3
	s_cbranch_execz .LBB43_42
.LBB43_31:
	s_mov_b32 s1, exec_lo
	v_cmpx_gt_u32_e32 0x150, v0
	s_cbranch_execz .LBB43_33
; %bb.32:
	ds_load_2addr_stride64_b64 v[3:6], v12 offset1:7
	s_waitcnt lgkmcnt(0)
	v_dual_add_f32 v3, v5, v3 :: v_dual_add_f32 v4, v6, v4
	ds_store_b64 v12, v[3:4]
.LBB43_33:
	s_or_b32 exec_lo, exec_lo, s1
	s_delay_alu instid0(SALU_CYCLE_1)
	s_mov_b32 s1, exec_lo
	s_waitcnt lgkmcnt(0)
	s_barrier
	buffer_gl0_inv
	v_cmpx_gt_u32_e32 0xe0, v0
	s_cbranch_execz .LBB43_35
; %bb.34:
	ds_load_2addr_b64 v[3:6], v12 offset1:224
	s_waitcnt lgkmcnt(0)
	v_dual_add_f32 v3, v5, v3 :: v_dual_add_f32 v4, v6, v4
	ds_store_b64 v12, v[3:4]
.LBB43_35:
	s_or_b32 exec_lo, exec_lo, s1
	s_delay_alu instid0(SALU_CYCLE_1)
	s_mov_b32 s1, exec_lo
	s_waitcnt lgkmcnt(0)
	s_barrier
	buffer_gl0_inv
	v_cmpx_gt_u32_e32 0x70, v0
	s_cbranch_execz .LBB43_37
; %bb.36:
	ds_load_2addr_b64 v[3:6], v12 offset1:112
	s_waitcnt lgkmcnt(0)
	v_dual_add_f32 v3, v5, v3 :: v_dual_add_f32 v4, v6, v4
	ds_store_b64 v12, v[3:4]
.LBB43_37:
	;; [unrolled: 14-line block ×3, first 2 shown]
	s_or_b32 exec_lo, exec_lo, s1
	s_delay_alu instid0(SALU_CYCLE_1)
	s_mov_b32 s1, exec_lo
	s_waitcnt lgkmcnt(0)
	buffer_gl0_inv
                                        ; implicit-def: $vgpr3
	v_cmpx_gt_u32_e32 28, v0
; %bb.40:
	v_add_nc_u32_e32 v3, 28, v0
	s_or_b32 s0, s0, exec_lo
                                        ; implicit-def: $vgpr2
; %bb.41:
	s_or_b32 exec_lo, exec_lo, s1
	v_mov_b32_e32 v4, v12
.LBB43_42:
	s_and_saveexec_b32 s1, s0
	s_cbranch_execnz .LBB43_45
; %bb.43:
	s_or_b32 exec_lo, exec_lo, s1
	v_cmp_gt_u32_e32 vcc_lo, 28, v0
	s_and_b32 exec_lo, exec_lo, vcc_lo
	s_cbranch_execnz .LBB43_46
.LBB43_44:
	s_nop 0
	s_sendmsg sendmsg(MSG_DEALLOC_VGPRS)
	s_endpgm
.LBB43_45:
	v_lshlrev_b32_e32 v3, 3, v3
	ds_load_2addr_b32 v[1:2], v4 offset1:1
	ds_load_b64 v[3:4], v3
	s_waitcnt lgkmcnt(0)
	v_dual_add_f32 v2, v4, v2 :: v_dual_add_f32 v1, v3, v1
	s_or_b32 exec_lo, exec_lo, s1
	v_cmp_gt_u32_e32 vcc_lo, 28, v0
	s_and_b32 exec_lo, exec_lo, vcc_lo
	s_cbranch_execz .LBB43_44
.LBB43_46:
	v_mul_f32_e64 v3, v2, -v11
	v_mul_f32_e32 v4, v2, v10
	v_cmp_eq_f32_e32 vcc_lo, 0, v8
	v_cmp_eq_f32_e64 s0, 0, v9
	s_delay_alu instid0(VALU_DEP_4) | instskip(NEXT) | instid1(VALU_DEP_4)
	v_fmac_f32_e32 v3, v10, v1
	v_fmac_f32_e32 v4, v11, v1
	s_delay_alu instid0(VALU_DEP_3) | instskip(NEXT) | instid1(SALU_CYCLE_1)
	s_and_b32 s0, vcc_lo, s0
	s_and_saveexec_b32 s1, s0
	s_delay_alu instid0(SALU_CYCLE_1)
	s_xor_b32 s0, exec_lo, s1
	s_cbranch_execz .LBB43_48
; %bb.47:
	v_mad_u64_u32 v[1:2], null, s8, 28, v[0:1]
	v_mov_b32_e32 v2, 0
                                        ; implicit-def: $vgpr8
                                        ; implicit-def: $vgpr9
	s_delay_alu instid0(VALU_DEP_1) | instskip(NEXT) | instid1(VALU_DEP_1)
	v_lshlrev_b64 v[0:1], 3, v[1:2]
	v_add_co_u32 v0, vcc_lo, s2, v0
	s_delay_alu instid0(VALU_DEP_2)
	v_add_co_ci_u32_e32 v1, vcc_lo, s3, v1, vcc_lo
	global_store_b64 v[0:1], v[3:4], off
                                        ; implicit-def: $vgpr0
                                        ; implicit-def: $vgpr3
.LBB43_48:
	s_and_not1_saveexec_b32 s0, s0
	s_cbranch_execz .LBB43_44
; %bb.49:
	v_mad_u64_u32 v[1:2], null, s8, 28, v[0:1]
	v_mov_b32_e32 v2, 0
	s_delay_alu instid0(VALU_DEP_1) | instskip(NEXT) | instid1(VALU_DEP_1)
	v_lshlrev_b64 v[0:1], 3, v[1:2]
	v_add_co_u32 v0, vcc_lo, s2, v0
	s_delay_alu instid0(VALU_DEP_2) | instskip(SKIP_4) | instid1(VALU_DEP_2)
	v_add_co_ci_u32_e32 v1, vcc_lo, s3, v1, vcc_lo
	global_load_b64 v[5:6], v[0:1], off
	s_waitcnt vmcnt(0)
	v_fmac_f32_e32 v3, v8, v5
	v_fmac_f32_e32 v4, v9, v5
	v_fma_f32 v3, -v9, v6, v3
	s_delay_alu instid0(VALU_DEP_2)
	v_fmac_f32_e32 v4, v8, v6
	global_store_b64 v[0:1], v[3:4], off
	s_nop 0
	s_sendmsg sendmsg(MSG_DEALLOC_VGPRS)
	s_endpgm
	.section	.rodata,"a",@progbits
	.p2align	6, 0x0
	.amdhsa_kernel _ZN9rocsparseL20bsrxmvn_17_32_kernelILj28E21rocsparse_complex_numIfEiiS2_S2_S2_EEvT2_20rocsparse_direction_NS_24const_host_device_scalarIT0_EES3_PKS3_PKT1_SC_S9_PKT3_PKT4_S7_PT5_21rocsparse_index_base_b
		.amdhsa_group_segment_fixed_size 6272
		.amdhsa_private_segment_fixed_size 0
		.amdhsa_kernarg_size 96
		.amdhsa_user_sgpr_count 15
		.amdhsa_user_sgpr_dispatch_ptr 0
		.amdhsa_user_sgpr_queue_ptr 0
		.amdhsa_user_sgpr_kernarg_segment_ptr 1
		.amdhsa_user_sgpr_dispatch_id 0
		.amdhsa_user_sgpr_private_segment_size 0
		.amdhsa_wavefront_size32 1
		.amdhsa_uses_dynamic_stack 0
		.amdhsa_enable_private_segment 0
		.amdhsa_system_sgpr_workgroup_id_x 1
		.amdhsa_system_sgpr_workgroup_id_y 0
		.amdhsa_system_sgpr_workgroup_id_z 0
		.amdhsa_system_sgpr_workgroup_info 0
		.amdhsa_system_vgpr_workitem_id 0
		.amdhsa_next_free_vgpr 17
		.amdhsa_next_free_sgpr 16
		.amdhsa_reserve_vcc 1
		.amdhsa_float_round_mode_32 0
		.amdhsa_float_round_mode_16_64 0
		.amdhsa_float_denorm_mode_32 3
		.amdhsa_float_denorm_mode_16_64 3
		.amdhsa_dx10_clamp 1
		.amdhsa_ieee_mode 1
		.amdhsa_fp16_overflow 0
		.amdhsa_workgroup_processor_mode 1
		.amdhsa_memory_ordered 1
		.amdhsa_forward_progress 0
		.amdhsa_shared_vgpr_count 0
		.amdhsa_exception_fp_ieee_invalid_op 0
		.amdhsa_exception_fp_denorm_src 0
		.amdhsa_exception_fp_ieee_div_zero 0
		.amdhsa_exception_fp_ieee_overflow 0
		.amdhsa_exception_fp_ieee_underflow 0
		.amdhsa_exception_fp_ieee_inexact 0
		.amdhsa_exception_int_div_zero 0
	.end_amdhsa_kernel
	.section	.text._ZN9rocsparseL20bsrxmvn_17_32_kernelILj28E21rocsparse_complex_numIfEiiS2_S2_S2_EEvT2_20rocsparse_direction_NS_24const_host_device_scalarIT0_EES3_PKS3_PKT1_SC_S9_PKT3_PKT4_S7_PT5_21rocsparse_index_base_b,"axG",@progbits,_ZN9rocsparseL20bsrxmvn_17_32_kernelILj28E21rocsparse_complex_numIfEiiS2_S2_S2_EEvT2_20rocsparse_direction_NS_24const_host_device_scalarIT0_EES3_PKS3_PKT1_SC_S9_PKT3_PKT4_S7_PT5_21rocsparse_index_base_b,comdat
.Lfunc_end43:
	.size	_ZN9rocsparseL20bsrxmvn_17_32_kernelILj28E21rocsparse_complex_numIfEiiS2_S2_S2_EEvT2_20rocsparse_direction_NS_24const_host_device_scalarIT0_EES3_PKS3_PKT1_SC_S9_PKT3_PKT4_S7_PT5_21rocsparse_index_base_b, .Lfunc_end43-_ZN9rocsparseL20bsrxmvn_17_32_kernelILj28E21rocsparse_complex_numIfEiiS2_S2_S2_EEvT2_20rocsparse_direction_NS_24const_host_device_scalarIT0_EES3_PKS3_PKT1_SC_S9_PKT3_PKT4_S7_PT5_21rocsparse_index_base_b
                                        ; -- End function
	.section	.AMDGPU.csdata,"",@progbits
; Kernel info:
; codeLenInByte = 1824
; NumSgprs: 18
; NumVgprs: 17
; ScratchSize: 0
; MemoryBound: 0
; FloatMode: 240
; IeeeMode: 1
; LDSByteSize: 6272 bytes/workgroup (compile time only)
; SGPRBlocks: 2
; VGPRBlocks: 2
; NumSGPRsForWavesPerEU: 18
; NumVGPRsForWavesPerEU: 17
; Occupancy: 13
; WaveLimiterHint : 1
; COMPUTE_PGM_RSRC2:SCRATCH_EN: 0
; COMPUTE_PGM_RSRC2:USER_SGPR: 15
; COMPUTE_PGM_RSRC2:TRAP_HANDLER: 0
; COMPUTE_PGM_RSRC2:TGID_X_EN: 1
; COMPUTE_PGM_RSRC2:TGID_Y_EN: 0
; COMPUTE_PGM_RSRC2:TGID_Z_EN: 0
; COMPUTE_PGM_RSRC2:TIDIG_COMP_CNT: 0
	.section	.text._ZN9rocsparseL20bsrxmvn_17_32_kernelILj29E21rocsparse_complex_numIfEiiS2_S2_S2_EEvT2_20rocsparse_direction_NS_24const_host_device_scalarIT0_EES3_PKS3_PKT1_SC_S9_PKT3_PKT4_S7_PT5_21rocsparse_index_base_b,"axG",@progbits,_ZN9rocsparseL20bsrxmvn_17_32_kernelILj29E21rocsparse_complex_numIfEiiS2_S2_S2_EEvT2_20rocsparse_direction_NS_24const_host_device_scalarIT0_EES3_PKS3_PKT1_SC_S9_PKT3_PKT4_S7_PT5_21rocsparse_index_base_b,comdat
	.globl	_ZN9rocsparseL20bsrxmvn_17_32_kernelILj29E21rocsparse_complex_numIfEiiS2_S2_S2_EEvT2_20rocsparse_direction_NS_24const_host_device_scalarIT0_EES3_PKS3_PKT1_SC_S9_PKT3_PKT4_S7_PT5_21rocsparse_index_base_b ; -- Begin function _ZN9rocsparseL20bsrxmvn_17_32_kernelILj29E21rocsparse_complex_numIfEiiS2_S2_S2_EEvT2_20rocsparse_direction_NS_24const_host_device_scalarIT0_EES3_PKS3_PKT1_SC_S9_PKT3_PKT4_S7_PT5_21rocsparse_index_base_b
	.p2align	8
	.type	_ZN9rocsparseL20bsrxmvn_17_32_kernelILj29E21rocsparse_complex_numIfEiiS2_S2_S2_EEvT2_20rocsparse_direction_NS_24const_host_device_scalarIT0_EES3_PKS3_PKT1_SC_S9_PKT3_PKT4_S7_PT5_21rocsparse_index_base_b,@function
_ZN9rocsparseL20bsrxmvn_17_32_kernelILj29E21rocsparse_complex_numIfEiiS2_S2_S2_EEvT2_20rocsparse_direction_NS_24const_host_device_scalarIT0_EES3_PKS3_PKT1_SC_S9_PKT3_PKT4_S7_PT5_21rocsparse_index_base_b: ; @_ZN9rocsparseL20bsrxmvn_17_32_kernelILj29E21rocsparse_complex_numIfEiiS2_S2_S2_EEvT2_20rocsparse_direction_NS_24const_host_device_scalarIT0_EES3_PKS3_PKT1_SC_S9_PKT3_PKT4_S7_PT5_21rocsparse_index_base_b
; %bb.0:
	s_clause 0x2
	s_load_b64 s[10:11], s[0:1], 0x58
	s_load_b64 s[4:5], s[0:1], 0x8
	;; [unrolled: 1-line block ×3, first 2 shown]
	s_mov_b32 s8, s15
	s_waitcnt lgkmcnt(0)
	s_bitcmp1_b32 s11, 0
	v_mov_b32_e32 v10, s4
	s_cselect_b32 s6, -1, 0
	s_delay_alu instid0(SALU_CYCLE_1)
	s_and_b32 vcc_lo, exec_lo, s6
	s_xor_b32 s6, s6, -1
	s_cbranch_vccz .LBB44_15
; %bb.1:
	v_cndmask_b32_e64 v1, 0, 1, s6
	v_mov_b32_e32 v11, s5
	s_and_not1_b32 vcc_lo, exec_lo, s6
	s_cbranch_vccz .LBB44_16
.LBB44_2:
	s_delay_alu instid0(VALU_DEP_2)
	v_cmp_ne_u32_e32 vcc_lo, 1, v1
	v_mov_b32_e32 v8, s2
	s_cbranch_vccz .LBB44_17
.LBB44_3:
	v_cmp_ne_u32_e32 vcc_lo, 1, v1
	v_mov_b32_e32 v9, s3
	s_cbranch_vccnz .LBB44_5
.LBB44_4:
	v_dual_mov_b32 v1, s2 :: v_dual_mov_b32 v2, s3
	flat_load_b32 v9, v[1:2] offset:4
.LBB44_5:
	s_waitcnt vmcnt(0) lgkmcnt(0)
	v_cmp_eq_f32_e32 vcc_lo, 0, v10
	v_cmp_eq_f32_e64 s2, 0, v11
	s_delay_alu instid0(VALU_DEP_1)
	s_and_b32 s4, vcc_lo, s2
	s_mov_b32 s2, -1
	s_and_saveexec_b32 s3, s4
; %bb.6:
	v_cmp_neq_f32_e32 vcc_lo, 1.0, v8
	v_cmp_neq_f32_e64 s2, 0, v9
	s_delay_alu instid0(VALU_DEP_1) | instskip(NEXT) | instid1(SALU_CYCLE_1)
	s_or_b32 s2, vcc_lo, s2
	s_or_not1_b32 s2, s2, exec_lo
; %bb.7:
	s_or_b32 exec_lo, exec_lo, s3
	s_and_saveexec_b32 s3, s2
	s_cbranch_execz .LBB44_44
; %bb.8:
	s_clause 0x1
	s_load_b128 s[4:7], s[0:1], 0x18
	s_load_b64 s[2:3], s[0:1], 0x28
	s_waitcnt lgkmcnt(0)
	s_cmp_eq_u64 s[4:5], 0
	s_cbranch_scc1 .LBB44_10
; %bb.9:
	s_ashr_i32 s9, s8, 31
	s_delay_alu instid0(SALU_CYCLE_1) | instskip(NEXT) | instid1(SALU_CYCLE_1)
	s_lshl_b64 s[8:9], s[8:9], 2
	s_add_u32 s4, s4, s8
	s_addc_u32 s5, s5, s9
	s_load_b32 s4, s[4:5], 0x0
	s_waitcnt lgkmcnt(0)
	s_sub_i32 s8, s4, s10
.LBB44_10:
	s_load_b32 s4, s[0:1], 0x4
	v_mul_u32_u24_e32 v1, 0x8d4, v0
	v_mov_b32_e32 v2, 0
	v_lshlrev_b32_e32 v12, 3, v0
	s_delay_alu instid0(VALU_DEP_3) | instskip(NEXT) | instid1(VALU_DEP_1)
	v_lshrrev_b32_e32 v3, 16, v1
	v_mul_lo_u16 v1, v3, 29
	s_delay_alu instid0(VALU_DEP_1)
	v_sub_nc_u16 v13, v0, v1
	v_mov_b32_e32 v1, 0
	s_waitcnt lgkmcnt(0)
	s_cmp_eq_u32 s4, 1
	s_cselect_b32 vcc_lo, -1, 0
	s_cmp_lg_u32 s4, 1
	s_cselect_b32 s11, -1, 0
	s_ashr_i32 s9, s8, 31
	s_delay_alu instid0(SALU_CYCLE_1) | instskip(NEXT) | instid1(SALU_CYCLE_1)
	s_lshl_b64 s[4:5], s[8:9], 2
	s_add_u32 s6, s6, s4
	s_addc_u32 s7, s7, s5
	s_add_u32 s9, s6, 4
	s_addc_u32 s12, s7, 0
	;; [unrolled: 2-line block ×3, first 2 shown]
	s_cmp_eq_u64 s[2:3], 0
	s_cselect_b32 s3, s12, s5
	s_cselect_b32 s2, s9, s4
	s_load_b32 s9, s[6:7], 0x0
	s_load_b32 s14, s[2:3], 0x0
	s_load_b64 s[2:3], s[0:1], 0x50
	s_waitcnt lgkmcnt(0)
	s_cmp_ge_i32 s9, s14
	s_cbranch_scc1 .LBB44_18
; %bb.11:
	s_clause 0x1
	s_load_b128 s[4:7], s[0:1], 0x30
	s_load_b64 s[12:13], s[0:1], 0x40
	v_and_b32_e32 v1, 0xffff, v3
	v_cmp_gt_u32_e64 s0, 0x349, v0
	s_sub_i32 s9, s9, s10
	v_and_b32_e32 v3, 0xffff, v13
	s_sub_i32 s1, s14, s10
	v_subrev_nc_u32_e32 v2, 29, v1
	s_mul_i32 s14, s9, 0x1a48
	s_delay_alu instid0(VALU_DEP_1) | instskip(SKIP_2) | instid1(VALU_DEP_3)
	v_cndmask_b32_e64 v1, v2, v1, s0
	v_mov_b32_e32 v2, 0
	v_cmp_lt_u32_e64 s0, 0x348, v0
	v_dual_cndmask_b32 v3, v3, v1 :: v_dual_lshlrev_b32 v4, 3, v0
	s_delay_alu instid0(VALU_DEP_3) | instskip(NEXT) | instid1(VALU_DEP_3)
	v_mov_b32_e32 v1, v2
	v_cndmask_b32_e64 v14, 0, 1, s0
	s_mul_hi_i32 s0, s9, 0x1a48
	s_waitcnt lgkmcnt(0)
	s_add_u32 s6, s6, s14
	s_addc_u32 s0, s7, s0
	v_add_co_u32 v4, s6, s6, v4
	s_delay_alu instid0(VALU_DEP_1)
	v_add_co_ci_u32_e64 v5, null, s0, 0, s6
	s_set_inst_prefetch_distance 0x1
	s_branch .LBB44_13
	.p2align	6
.LBB44_12:                              ;   in Loop: Header=BB44_13 Depth=1
	s_or_b32 exec_lo, exec_lo, s0
	s_add_i32 s9, s9, 1
	s_delay_alu instid0(SALU_CYCLE_1)
	s_cmp_lt_i32 s9, s1
	s_cbranch_scc0 .LBB44_18
.LBB44_13:                              ; =>This Inner Loop Header: Depth=1
	v_add_nc_u32_e32 v6, s9, v14
	s_mov_b32 s0, exec_lo
	s_delay_alu instid0(VALU_DEP_1)
	v_cmpx_gt_i32_e64 s1, v6
	s_cbranch_execz .LBB44_12
; %bb.14:                               ;   in Loop: Header=BB44_13 Depth=1
	v_ashrrev_i32_e32 v7, 31, v6
	s_delay_alu instid0(VALU_DEP_1) | instskip(NEXT) | instid1(VALU_DEP_1)
	v_lshlrev_b64 v[6:7], 2, v[6:7]
	v_add_co_u32 v6, vcc_lo, s4, v6
	s_delay_alu instid0(VALU_DEP_2) | instskip(SKIP_3) | instid1(VALU_DEP_1)
	v_add_co_ci_u32_e32 v7, vcc_lo, s5, v7, vcc_lo
	global_load_b32 v6, v[6:7], off
	s_waitcnt vmcnt(0)
	v_subrev_nc_u32_e32 v15, s10, v6
	v_mad_u64_u32 v[6:7], null, v15, 29, v[3:4]
	s_delay_alu instid0(VALU_DEP_1) | instskip(NEXT) | instid1(VALU_DEP_1)
	v_ashrrev_i32_e32 v7, 31, v6
	v_lshlrev_b64 v[6:7], 3, v[6:7]
	s_delay_alu instid0(VALU_DEP_1) | instskip(NEXT) | instid1(VALU_DEP_2)
	v_add_co_u32 v6, vcc_lo, s12, v6
	v_add_co_ci_u32_e32 v7, vcc_lo, s13, v7, vcc_lo
	global_load_b64 v[15:16], v[4:5], off
	global_load_b64 v[6:7], v[6:7], off
	v_add_co_u32 v4, vcc_lo, 0x1a48, v4
	v_add_co_ci_u32_e32 v5, vcc_lo, 0, v5, vcc_lo
	s_waitcnt vmcnt(0)
	v_fmac_f32_e32 v1, v15, v6
	v_fmac_f32_e32 v2, v16, v6
	s_delay_alu instid0(VALU_DEP_2) | instskip(NEXT) | instid1(VALU_DEP_2)
	v_fma_f32 v1, -v16, v7, v1
	v_fmac_f32_e32 v2, v15, v7
	s_branch .LBB44_12
.LBB44_15:
	v_dual_mov_b32 v1, s4 :: v_dual_mov_b32 v2, s5
	flat_load_b32 v10, v[1:2]
	v_cndmask_b32_e64 v1, 0, 1, s6
	v_mov_b32_e32 v11, s5
	s_and_not1_b32 vcc_lo, exec_lo, s6
	s_cbranch_vccnz .LBB44_2
.LBB44_16:
	v_dual_mov_b32 v2, s4 :: v_dual_mov_b32 v3, s5
	flat_load_b32 v11, v[2:3] offset:4
	v_cmp_ne_u32_e32 vcc_lo, 1, v1
	v_mov_b32_e32 v8, s2
	s_cbranch_vccnz .LBB44_3
.LBB44_17:
	v_dual_mov_b32 v2, s2 :: v_dual_mov_b32 v3, s3
	flat_load_b32 v8, v[2:3]
	v_cmp_ne_u32_e32 vcc_lo, 1, v1
	v_mov_b32_e32 v9, s3
	s_cbranch_vccz .LBB44_4
	s_branch .LBB44_5
.LBB44_18:
	s_set_inst_prefetch_distance 0x2
	s_and_b32 vcc_lo, exec_lo, s11
	ds_store_b64 v12, v[1:2]
	s_waitcnt lgkmcnt(0)
	s_barrier
	buffer_gl0_inv
	s_cbranch_vccz .LBB44_30
; %bb.19:
	s_mov_b32 s0, exec_lo
	v_cmpx_gt_u16_e32 13, v13
	s_cbranch_execz .LBB44_21
; %bb.20:
	ds_load_2addr_b64 v[3:6], v12 offset1:16
	s_waitcnt lgkmcnt(0)
	v_dual_add_f32 v3, v5, v3 :: v_dual_add_f32 v4, v6, v4
	ds_store_b64 v12, v[3:4]
.LBB44_21:
	s_or_b32 exec_lo, exec_lo, s0
	s_delay_alu instid0(SALU_CYCLE_1)
	s_mov_b32 s0, exec_lo
	s_waitcnt lgkmcnt(0)
	s_barrier
	buffer_gl0_inv
	v_cmpx_gt_u16_e32 8, v13
	s_cbranch_execz .LBB44_23
; %bb.22:
	ds_load_2addr_b64 v[3:6], v12 offset1:8
	s_waitcnt lgkmcnt(0)
	v_dual_add_f32 v3, v5, v3 :: v_dual_add_f32 v4, v6, v4
	ds_store_b64 v12, v[3:4]
.LBB44_23:
	s_or_b32 exec_lo, exec_lo, s0
	s_delay_alu instid0(SALU_CYCLE_1)
	s_mov_b32 s0, exec_lo
	s_waitcnt lgkmcnt(0)
	s_barrier
	buffer_gl0_inv
	;; [unrolled: 14-line block ×3, first 2 shown]
	v_cmpx_gt_u16_e32 2, v13
	s_cbranch_execz .LBB44_27
; %bb.26:
	ds_load_2addr_b64 v[3:6], v12 offset1:2
	s_waitcnt lgkmcnt(0)
	v_dual_add_f32 v3, v5, v3 :: v_dual_add_f32 v4, v6, v4
	ds_store_b64 v12, v[3:4]
.LBB44_27:
	s_or_b32 exec_lo, exec_lo, s0
	s_mov_b32 s1, 0
	s_mov_b32 s0, 0
	s_mov_b32 s4, exec_lo
	s_waitcnt lgkmcnt(0)
	s_barrier
	buffer_gl0_inv
                                        ; implicit-def: $vgpr4
                                        ; implicit-def: $vgpr3
	v_cmpx_gt_u32_e32 29, v0
	s_xor_b32 s4, exec_lo, s4
; %bb.28:
	v_mul_u32_u24_e32 v3, 29, v0
	s_mov_b32 s0, exec_lo
	s_delay_alu instid0(VALU_DEP_1)
	v_lshlrev_b32_e32 v4, 3, v3
	v_mad_u32_u24 v3, v0, 29, 1
; %bb.29:
	s_or_b32 exec_lo, exec_lo, s4
	s_delay_alu instid0(SALU_CYCLE_1)
	s_and_b32 vcc_lo, exec_lo, s1
	s_cbranch_vccnz .LBB44_31
	s_branch .LBB44_42
.LBB44_30:
	s_mov_b32 s0, 0
                                        ; implicit-def: $vgpr4
                                        ; implicit-def: $vgpr3
	s_cbranch_execz .LBB44_42
.LBB44_31:
	s_mov_b32 s1, exec_lo
	v_cmpx_gt_u32_e32 0x179, v0
	s_cbranch_execz .LBB44_33
; %bb.32:
	ds_load_b64 v[3:4], v12 offset:3712
	ds_load_b64 v[5:6], v12
	s_waitcnt lgkmcnt(0)
	v_dual_add_f32 v3, v3, v5 :: v_dual_add_f32 v4, v4, v6
	ds_store_b64 v12, v[3:4]
.LBB44_33:
	s_or_b32 exec_lo, exec_lo, s1
	s_delay_alu instid0(SALU_CYCLE_1)
	s_mov_b32 s1, exec_lo
	s_waitcnt lgkmcnt(0)
	s_barrier
	buffer_gl0_inv
	v_cmpx_gt_u32_e32 0xe8, v0
	s_cbranch_execz .LBB44_35
; %bb.34:
	ds_load_2addr_b64 v[3:6], v12 offset1:232
	s_waitcnt lgkmcnt(0)
	v_dual_add_f32 v3, v5, v3 :: v_dual_add_f32 v4, v6, v4
	ds_store_b64 v12, v[3:4]
.LBB44_35:
	s_or_b32 exec_lo, exec_lo, s1
	s_delay_alu instid0(SALU_CYCLE_1)
	s_mov_b32 s1, exec_lo
	s_waitcnt lgkmcnt(0)
	s_barrier
	buffer_gl0_inv
	v_cmpx_gt_u32_e32 0x74, v0
	s_cbranch_execz .LBB44_37
; %bb.36:
	ds_load_2addr_b64 v[3:6], v12 offset1:116
	s_waitcnt lgkmcnt(0)
	v_dual_add_f32 v3, v5, v3 :: v_dual_add_f32 v4, v6, v4
	ds_store_b64 v12, v[3:4]
.LBB44_37:
	;; [unrolled: 14-line block ×3, first 2 shown]
	s_or_b32 exec_lo, exec_lo, s1
	s_delay_alu instid0(SALU_CYCLE_1)
	s_mov_b32 s1, exec_lo
	s_waitcnt lgkmcnt(0)
	buffer_gl0_inv
                                        ; implicit-def: $vgpr3
	v_cmpx_gt_u32_e32 29, v0
; %bb.40:
	v_add_nc_u32_e32 v3, 29, v0
	s_or_b32 s0, s0, exec_lo
                                        ; implicit-def: $vgpr2
; %bb.41:
	s_or_b32 exec_lo, exec_lo, s1
	v_mov_b32_e32 v4, v12
.LBB44_42:
	s_and_saveexec_b32 s1, s0
	s_cbranch_execnz .LBB44_45
; %bb.43:
	s_or_b32 exec_lo, exec_lo, s1
	v_cmp_gt_u32_e32 vcc_lo, 29, v0
	s_and_b32 exec_lo, exec_lo, vcc_lo
	s_cbranch_execnz .LBB44_46
.LBB44_44:
	s_nop 0
	s_sendmsg sendmsg(MSG_DEALLOC_VGPRS)
	s_endpgm
.LBB44_45:
	v_lshlrev_b32_e32 v3, 3, v3
	ds_load_2addr_b32 v[1:2], v4 offset1:1
	ds_load_b64 v[3:4], v3
	s_waitcnt lgkmcnt(0)
	v_dual_add_f32 v2, v4, v2 :: v_dual_add_f32 v1, v3, v1
	s_or_b32 exec_lo, exec_lo, s1
	v_cmp_gt_u32_e32 vcc_lo, 29, v0
	s_and_b32 exec_lo, exec_lo, vcc_lo
	s_cbranch_execz .LBB44_44
.LBB44_46:
	v_mul_f32_e64 v3, v2, -v11
	v_mul_f32_e32 v4, v2, v10
	v_cmp_eq_f32_e32 vcc_lo, 0, v8
	v_cmp_eq_f32_e64 s0, 0, v9
	s_delay_alu instid0(VALU_DEP_4) | instskip(NEXT) | instid1(VALU_DEP_4)
	v_fmac_f32_e32 v3, v10, v1
	v_fmac_f32_e32 v4, v11, v1
	s_delay_alu instid0(VALU_DEP_3) | instskip(NEXT) | instid1(SALU_CYCLE_1)
	s_and_b32 s0, vcc_lo, s0
	s_and_saveexec_b32 s1, s0
	s_delay_alu instid0(SALU_CYCLE_1)
	s_xor_b32 s0, exec_lo, s1
	s_cbranch_execz .LBB44_48
; %bb.47:
	v_mad_u64_u32 v[1:2], null, s8, 29, v[0:1]
	v_mov_b32_e32 v2, 0
                                        ; implicit-def: $vgpr8
                                        ; implicit-def: $vgpr9
	s_delay_alu instid0(VALU_DEP_1) | instskip(NEXT) | instid1(VALU_DEP_1)
	v_lshlrev_b64 v[0:1], 3, v[1:2]
	v_add_co_u32 v0, vcc_lo, s2, v0
	s_delay_alu instid0(VALU_DEP_2)
	v_add_co_ci_u32_e32 v1, vcc_lo, s3, v1, vcc_lo
	global_store_b64 v[0:1], v[3:4], off
                                        ; implicit-def: $vgpr0
                                        ; implicit-def: $vgpr3
.LBB44_48:
	s_and_not1_saveexec_b32 s0, s0
	s_cbranch_execz .LBB44_44
; %bb.49:
	v_mad_u64_u32 v[1:2], null, s8, 29, v[0:1]
	v_mov_b32_e32 v2, 0
	s_delay_alu instid0(VALU_DEP_1) | instskip(NEXT) | instid1(VALU_DEP_1)
	v_lshlrev_b64 v[0:1], 3, v[1:2]
	v_add_co_u32 v0, vcc_lo, s2, v0
	s_delay_alu instid0(VALU_DEP_2) | instskip(SKIP_4) | instid1(VALU_DEP_2)
	v_add_co_ci_u32_e32 v1, vcc_lo, s3, v1, vcc_lo
	global_load_b64 v[5:6], v[0:1], off
	s_waitcnt vmcnt(0)
	v_fmac_f32_e32 v3, v8, v5
	v_fmac_f32_e32 v4, v9, v5
	v_fma_f32 v3, -v9, v6, v3
	s_delay_alu instid0(VALU_DEP_2)
	v_fmac_f32_e32 v4, v8, v6
	global_store_b64 v[0:1], v[3:4], off
	s_nop 0
	s_sendmsg sendmsg(MSG_DEALLOC_VGPRS)
	s_endpgm
	.section	.rodata,"a",@progbits
	.p2align	6, 0x0
	.amdhsa_kernel _ZN9rocsparseL20bsrxmvn_17_32_kernelILj29E21rocsparse_complex_numIfEiiS2_S2_S2_EEvT2_20rocsparse_direction_NS_24const_host_device_scalarIT0_EES3_PKS3_PKT1_SC_S9_PKT3_PKT4_S7_PT5_21rocsparse_index_base_b
		.amdhsa_group_segment_fixed_size 6728
		.amdhsa_private_segment_fixed_size 0
		.amdhsa_kernarg_size 96
		.amdhsa_user_sgpr_count 15
		.amdhsa_user_sgpr_dispatch_ptr 0
		.amdhsa_user_sgpr_queue_ptr 0
		.amdhsa_user_sgpr_kernarg_segment_ptr 1
		.amdhsa_user_sgpr_dispatch_id 0
		.amdhsa_user_sgpr_private_segment_size 0
		.amdhsa_wavefront_size32 1
		.amdhsa_uses_dynamic_stack 0
		.amdhsa_enable_private_segment 0
		.amdhsa_system_sgpr_workgroup_id_x 1
		.amdhsa_system_sgpr_workgroup_id_y 0
		.amdhsa_system_sgpr_workgroup_id_z 0
		.amdhsa_system_sgpr_workgroup_info 0
		.amdhsa_system_vgpr_workitem_id 0
		.amdhsa_next_free_vgpr 17
		.amdhsa_next_free_sgpr 16
		.amdhsa_reserve_vcc 1
		.amdhsa_float_round_mode_32 0
		.amdhsa_float_round_mode_16_64 0
		.amdhsa_float_denorm_mode_32 3
		.amdhsa_float_denorm_mode_16_64 3
		.amdhsa_dx10_clamp 1
		.amdhsa_ieee_mode 1
		.amdhsa_fp16_overflow 0
		.amdhsa_workgroup_processor_mode 1
		.amdhsa_memory_ordered 1
		.amdhsa_forward_progress 0
		.amdhsa_shared_vgpr_count 0
		.amdhsa_exception_fp_ieee_invalid_op 0
		.amdhsa_exception_fp_denorm_src 0
		.amdhsa_exception_fp_ieee_div_zero 0
		.amdhsa_exception_fp_ieee_overflow 0
		.amdhsa_exception_fp_ieee_underflow 0
		.amdhsa_exception_fp_ieee_inexact 0
		.amdhsa_exception_int_div_zero 0
	.end_amdhsa_kernel
	.section	.text._ZN9rocsparseL20bsrxmvn_17_32_kernelILj29E21rocsparse_complex_numIfEiiS2_S2_S2_EEvT2_20rocsparse_direction_NS_24const_host_device_scalarIT0_EES3_PKS3_PKT1_SC_S9_PKT3_PKT4_S7_PT5_21rocsparse_index_base_b,"axG",@progbits,_ZN9rocsparseL20bsrxmvn_17_32_kernelILj29E21rocsparse_complex_numIfEiiS2_S2_S2_EEvT2_20rocsparse_direction_NS_24const_host_device_scalarIT0_EES3_PKS3_PKT1_SC_S9_PKT3_PKT4_S7_PT5_21rocsparse_index_base_b,comdat
.Lfunc_end44:
	.size	_ZN9rocsparseL20bsrxmvn_17_32_kernelILj29E21rocsparse_complex_numIfEiiS2_S2_S2_EEvT2_20rocsparse_direction_NS_24const_host_device_scalarIT0_EES3_PKS3_PKT1_SC_S9_PKT3_PKT4_S7_PT5_21rocsparse_index_base_b, .Lfunc_end44-_ZN9rocsparseL20bsrxmvn_17_32_kernelILj29E21rocsparse_complex_numIfEiiS2_S2_S2_EEvT2_20rocsparse_direction_NS_24const_host_device_scalarIT0_EES3_PKS3_PKT1_SC_S9_PKT3_PKT4_S7_PT5_21rocsparse_index_base_b
                                        ; -- End function
	.section	.AMDGPU.csdata,"",@progbits
; Kernel info:
; codeLenInByte = 1836
; NumSgprs: 18
; NumVgprs: 17
; ScratchSize: 0
; MemoryBound: 0
; FloatMode: 240
; IeeeMode: 1
; LDSByteSize: 6728 bytes/workgroup (compile time only)
; SGPRBlocks: 2
; VGPRBlocks: 2
; NumSGPRsForWavesPerEU: 18
; NumVGPRsForWavesPerEU: 17
; Occupancy: 14
; WaveLimiterHint : 1
; COMPUTE_PGM_RSRC2:SCRATCH_EN: 0
; COMPUTE_PGM_RSRC2:USER_SGPR: 15
; COMPUTE_PGM_RSRC2:TRAP_HANDLER: 0
; COMPUTE_PGM_RSRC2:TGID_X_EN: 1
; COMPUTE_PGM_RSRC2:TGID_Y_EN: 0
; COMPUTE_PGM_RSRC2:TGID_Z_EN: 0
; COMPUTE_PGM_RSRC2:TIDIG_COMP_CNT: 0
	.section	.text._ZN9rocsparseL20bsrxmvn_17_32_kernelILj30E21rocsparse_complex_numIfEiiS2_S2_S2_EEvT2_20rocsparse_direction_NS_24const_host_device_scalarIT0_EES3_PKS3_PKT1_SC_S9_PKT3_PKT4_S7_PT5_21rocsparse_index_base_b,"axG",@progbits,_ZN9rocsparseL20bsrxmvn_17_32_kernelILj30E21rocsparse_complex_numIfEiiS2_S2_S2_EEvT2_20rocsparse_direction_NS_24const_host_device_scalarIT0_EES3_PKS3_PKT1_SC_S9_PKT3_PKT4_S7_PT5_21rocsparse_index_base_b,comdat
	.globl	_ZN9rocsparseL20bsrxmvn_17_32_kernelILj30E21rocsparse_complex_numIfEiiS2_S2_S2_EEvT2_20rocsparse_direction_NS_24const_host_device_scalarIT0_EES3_PKS3_PKT1_SC_S9_PKT3_PKT4_S7_PT5_21rocsparse_index_base_b ; -- Begin function _ZN9rocsparseL20bsrxmvn_17_32_kernelILj30E21rocsparse_complex_numIfEiiS2_S2_S2_EEvT2_20rocsparse_direction_NS_24const_host_device_scalarIT0_EES3_PKS3_PKT1_SC_S9_PKT3_PKT4_S7_PT5_21rocsparse_index_base_b
	.p2align	8
	.type	_ZN9rocsparseL20bsrxmvn_17_32_kernelILj30E21rocsparse_complex_numIfEiiS2_S2_S2_EEvT2_20rocsparse_direction_NS_24const_host_device_scalarIT0_EES3_PKS3_PKT1_SC_S9_PKT3_PKT4_S7_PT5_21rocsparse_index_base_b,@function
_ZN9rocsparseL20bsrxmvn_17_32_kernelILj30E21rocsparse_complex_numIfEiiS2_S2_S2_EEvT2_20rocsparse_direction_NS_24const_host_device_scalarIT0_EES3_PKS3_PKT1_SC_S9_PKT3_PKT4_S7_PT5_21rocsparse_index_base_b: ; @_ZN9rocsparseL20bsrxmvn_17_32_kernelILj30E21rocsparse_complex_numIfEiiS2_S2_S2_EEvT2_20rocsparse_direction_NS_24const_host_device_scalarIT0_EES3_PKS3_PKT1_SC_S9_PKT3_PKT4_S7_PT5_21rocsparse_index_base_b
; %bb.0:
	s_clause 0x2
	s_load_b64 s[10:11], s[0:1], 0x58
	s_load_b64 s[4:5], s[0:1], 0x8
	s_load_b64 s[2:3], s[0:1], 0x48
	s_mov_b32 s8, s15
	s_waitcnt lgkmcnt(0)
	s_bitcmp1_b32 s11, 0
	v_mov_b32_e32 v10, s4
	s_cselect_b32 s6, -1, 0
	s_delay_alu instid0(SALU_CYCLE_1)
	s_and_b32 vcc_lo, exec_lo, s6
	s_xor_b32 s6, s6, -1
	s_cbranch_vccz .LBB45_15
; %bb.1:
	v_cndmask_b32_e64 v1, 0, 1, s6
	v_mov_b32_e32 v11, s5
	s_and_not1_b32 vcc_lo, exec_lo, s6
	s_cbranch_vccz .LBB45_16
.LBB45_2:
	s_delay_alu instid0(VALU_DEP_2)
	v_cmp_ne_u32_e32 vcc_lo, 1, v1
	v_mov_b32_e32 v8, s2
	s_cbranch_vccz .LBB45_17
.LBB45_3:
	v_cmp_ne_u32_e32 vcc_lo, 1, v1
	v_mov_b32_e32 v9, s3
	s_cbranch_vccnz .LBB45_5
.LBB45_4:
	v_dual_mov_b32 v1, s2 :: v_dual_mov_b32 v2, s3
	flat_load_b32 v9, v[1:2] offset:4
.LBB45_5:
	s_waitcnt vmcnt(0) lgkmcnt(0)
	v_cmp_eq_f32_e32 vcc_lo, 0, v10
	v_cmp_eq_f32_e64 s2, 0, v11
	s_delay_alu instid0(VALU_DEP_1)
	s_and_b32 s4, vcc_lo, s2
	s_mov_b32 s2, -1
	s_and_saveexec_b32 s3, s4
; %bb.6:
	v_cmp_neq_f32_e32 vcc_lo, 1.0, v8
	v_cmp_neq_f32_e64 s2, 0, v9
	s_delay_alu instid0(VALU_DEP_1) | instskip(NEXT) | instid1(SALU_CYCLE_1)
	s_or_b32 s2, vcc_lo, s2
	s_or_not1_b32 s2, s2, exec_lo
; %bb.7:
	s_or_b32 exec_lo, exec_lo, s3
	s_and_saveexec_b32 s3, s2
	s_cbranch_execz .LBB45_44
; %bb.8:
	s_clause 0x1
	s_load_b128 s[4:7], s[0:1], 0x18
	s_load_b64 s[2:3], s[0:1], 0x28
	s_waitcnt lgkmcnt(0)
	s_cmp_eq_u64 s[4:5], 0
	s_cbranch_scc1 .LBB45_10
; %bb.9:
	s_ashr_i32 s9, s8, 31
	s_delay_alu instid0(SALU_CYCLE_1) | instskip(NEXT) | instid1(SALU_CYCLE_1)
	s_lshl_b64 s[8:9], s[8:9], 2
	s_add_u32 s4, s4, s8
	s_addc_u32 s5, s5, s9
	s_load_b32 s4, s[4:5], 0x0
	s_waitcnt lgkmcnt(0)
	s_sub_i32 s8, s4, s10
.LBB45_10:
	s_load_b32 s4, s[0:1], 0x4
	v_mul_u32_u24_e32 v1, 0x889, v0
	v_mov_b32_e32 v2, 0
	v_lshlrev_b32_e32 v12, 3, v0
	s_delay_alu instid0(VALU_DEP_3) | instskip(NEXT) | instid1(VALU_DEP_1)
	v_lshrrev_b32_e32 v3, 16, v1
	v_mul_lo_u16 v1, v3, 30
	s_delay_alu instid0(VALU_DEP_1)
	v_sub_nc_u16 v13, v0, v1
	v_mov_b32_e32 v1, 0
	s_waitcnt lgkmcnt(0)
	s_cmp_eq_u32 s4, 1
	s_cselect_b32 vcc_lo, -1, 0
	s_cmp_lg_u32 s4, 1
	s_cselect_b32 s11, -1, 0
	s_ashr_i32 s9, s8, 31
	s_delay_alu instid0(SALU_CYCLE_1) | instskip(NEXT) | instid1(SALU_CYCLE_1)
	s_lshl_b64 s[4:5], s[8:9], 2
	s_add_u32 s6, s6, s4
	s_addc_u32 s7, s7, s5
	s_add_u32 s9, s6, 4
	s_addc_u32 s12, s7, 0
	;; [unrolled: 2-line block ×3, first 2 shown]
	s_cmp_eq_u64 s[2:3], 0
	s_cselect_b32 s3, s12, s5
	s_cselect_b32 s2, s9, s4
	s_load_b32 s9, s[6:7], 0x0
	s_load_b32 s14, s[2:3], 0x0
	s_load_b64 s[2:3], s[0:1], 0x50
	s_waitcnt lgkmcnt(0)
	s_cmp_ge_i32 s9, s14
	s_cbranch_scc1 .LBB45_18
; %bb.11:
	s_clause 0x1
	s_load_b128 s[4:7], s[0:1], 0x30
	s_load_b64 s[12:13], s[0:1], 0x40
	v_and_b32_e32 v1, 0xffff, v3
	v_cmp_gt_u32_e64 s0, 0x384, v0
	s_sub_i32 s9, s9, s10
	v_and_b32_e32 v3, 0xffff, v13
	s_sub_i32 s1, s14, s10
	v_subrev_nc_u32_e32 v2, 30, v1
	s_mul_i32 s14, s9, 0x1c20
	s_delay_alu instid0(VALU_DEP_1) | instskip(SKIP_2) | instid1(VALU_DEP_3)
	v_cndmask_b32_e64 v1, v2, v1, s0
	v_mov_b32_e32 v2, 0
	v_cmp_lt_u32_e64 s0, 0x383, v0
	v_dual_cndmask_b32 v3, v3, v1 :: v_dual_lshlrev_b32 v4, 3, v0
	s_delay_alu instid0(VALU_DEP_3) | instskip(NEXT) | instid1(VALU_DEP_3)
	v_mov_b32_e32 v1, v2
	v_cndmask_b32_e64 v14, 0, 1, s0
	s_mul_hi_i32 s0, s9, 0x1c20
	s_waitcnt lgkmcnt(0)
	s_add_u32 s6, s6, s14
	s_addc_u32 s0, s7, s0
	v_add_co_u32 v4, s6, s6, v4
	s_delay_alu instid0(VALU_DEP_1)
	v_add_co_ci_u32_e64 v5, null, s0, 0, s6
	s_set_inst_prefetch_distance 0x1
	s_branch .LBB45_13
	.p2align	6
.LBB45_12:                              ;   in Loop: Header=BB45_13 Depth=1
	s_or_b32 exec_lo, exec_lo, s0
	s_add_i32 s9, s9, 1
	s_delay_alu instid0(SALU_CYCLE_1)
	s_cmp_lt_i32 s9, s1
	s_cbranch_scc0 .LBB45_18
.LBB45_13:                              ; =>This Inner Loop Header: Depth=1
	v_add_nc_u32_e32 v6, s9, v14
	s_mov_b32 s0, exec_lo
	s_delay_alu instid0(VALU_DEP_1)
	v_cmpx_gt_i32_e64 s1, v6
	s_cbranch_execz .LBB45_12
; %bb.14:                               ;   in Loop: Header=BB45_13 Depth=1
	v_ashrrev_i32_e32 v7, 31, v6
	s_delay_alu instid0(VALU_DEP_1) | instskip(NEXT) | instid1(VALU_DEP_1)
	v_lshlrev_b64 v[6:7], 2, v[6:7]
	v_add_co_u32 v6, vcc_lo, s4, v6
	s_delay_alu instid0(VALU_DEP_2) | instskip(SKIP_3) | instid1(VALU_DEP_1)
	v_add_co_ci_u32_e32 v7, vcc_lo, s5, v7, vcc_lo
	global_load_b32 v6, v[6:7], off
	s_waitcnt vmcnt(0)
	v_subrev_nc_u32_e32 v15, s10, v6
	v_mad_u64_u32 v[6:7], null, v15, 30, v[3:4]
	s_delay_alu instid0(VALU_DEP_1) | instskip(NEXT) | instid1(VALU_DEP_1)
	v_ashrrev_i32_e32 v7, 31, v6
	v_lshlrev_b64 v[6:7], 3, v[6:7]
	s_delay_alu instid0(VALU_DEP_1) | instskip(NEXT) | instid1(VALU_DEP_2)
	v_add_co_u32 v6, vcc_lo, s12, v6
	v_add_co_ci_u32_e32 v7, vcc_lo, s13, v7, vcc_lo
	global_load_b64 v[15:16], v[4:5], off
	global_load_b64 v[6:7], v[6:7], off
	v_add_co_u32 v4, vcc_lo, 0x1c20, v4
	v_add_co_ci_u32_e32 v5, vcc_lo, 0, v5, vcc_lo
	s_waitcnt vmcnt(0)
	v_fmac_f32_e32 v1, v15, v6
	v_fmac_f32_e32 v2, v16, v6
	s_delay_alu instid0(VALU_DEP_2) | instskip(NEXT) | instid1(VALU_DEP_2)
	v_fma_f32 v1, -v16, v7, v1
	v_fmac_f32_e32 v2, v15, v7
	s_branch .LBB45_12
.LBB45_15:
	v_dual_mov_b32 v1, s4 :: v_dual_mov_b32 v2, s5
	flat_load_b32 v10, v[1:2]
	v_cndmask_b32_e64 v1, 0, 1, s6
	v_mov_b32_e32 v11, s5
	s_and_not1_b32 vcc_lo, exec_lo, s6
	s_cbranch_vccnz .LBB45_2
.LBB45_16:
	v_dual_mov_b32 v2, s4 :: v_dual_mov_b32 v3, s5
	flat_load_b32 v11, v[2:3] offset:4
	v_cmp_ne_u32_e32 vcc_lo, 1, v1
	v_mov_b32_e32 v8, s2
	s_cbranch_vccnz .LBB45_3
.LBB45_17:
	v_dual_mov_b32 v2, s2 :: v_dual_mov_b32 v3, s3
	flat_load_b32 v8, v[2:3]
	v_cmp_ne_u32_e32 vcc_lo, 1, v1
	v_mov_b32_e32 v9, s3
	s_cbranch_vccz .LBB45_4
	s_branch .LBB45_5
.LBB45_18:
	s_set_inst_prefetch_distance 0x2
	s_and_b32 vcc_lo, exec_lo, s11
	ds_store_b64 v12, v[1:2]
	s_waitcnt lgkmcnt(0)
	s_barrier
	buffer_gl0_inv
	s_cbranch_vccz .LBB45_30
; %bb.19:
	s_mov_b32 s0, exec_lo
	v_cmpx_gt_u16_e32 14, v13
	s_cbranch_execz .LBB45_21
; %bb.20:
	ds_load_2addr_b64 v[3:6], v12 offset1:16
	s_waitcnt lgkmcnt(0)
	v_dual_add_f32 v3, v5, v3 :: v_dual_add_f32 v4, v6, v4
	ds_store_b64 v12, v[3:4]
.LBB45_21:
	s_or_b32 exec_lo, exec_lo, s0
	s_delay_alu instid0(SALU_CYCLE_1)
	s_mov_b32 s0, exec_lo
	s_waitcnt lgkmcnt(0)
	s_barrier
	buffer_gl0_inv
	v_cmpx_gt_u16_e32 8, v13
	s_cbranch_execz .LBB45_23
; %bb.22:
	ds_load_2addr_b64 v[3:6], v12 offset1:8
	s_waitcnt lgkmcnt(0)
	v_dual_add_f32 v3, v5, v3 :: v_dual_add_f32 v4, v6, v4
	ds_store_b64 v12, v[3:4]
.LBB45_23:
	s_or_b32 exec_lo, exec_lo, s0
	s_delay_alu instid0(SALU_CYCLE_1)
	s_mov_b32 s0, exec_lo
	s_waitcnt lgkmcnt(0)
	s_barrier
	buffer_gl0_inv
	;; [unrolled: 14-line block ×3, first 2 shown]
	v_cmpx_gt_u16_e32 2, v13
	s_cbranch_execz .LBB45_27
; %bb.26:
	ds_load_2addr_b64 v[3:6], v12 offset1:2
	s_waitcnt lgkmcnt(0)
	v_dual_add_f32 v3, v5, v3 :: v_dual_add_f32 v4, v6, v4
	ds_store_b64 v12, v[3:4]
.LBB45_27:
	s_or_b32 exec_lo, exec_lo, s0
	s_mov_b32 s1, 0
	s_mov_b32 s0, 0
	s_mov_b32 s4, exec_lo
	s_waitcnt lgkmcnt(0)
	s_barrier
	buffer_gl0_inv
                                        ; implicit-def: $vgpr4
                                        ; implicit-def: $vgpr3
	v_cmpx_gt_u32_e32 30, v0
	s_xor_b32 s4, exec_lo, s4
; %bb.28:
	v_mul_u32_u24_e32 v3, 30, v0
	s_mov_b32 s0, exec_lo
	s_delay_alu instid0(VALU_DEP_1)
	v_lshlrev_b32_e32 v4, 3, v3
	v_or_b32_e32 v3, 1, v3
; %bb.29:
	s_or_b32 exec_lo, exec_lo, s4
	s_delay_alu instid0(SALU_CYCLE_1)
	s_and_b32 vcc_lo, exec_lo, s1
	s_cbranch_vccnz .LBB45_31
	s_branch .LBB45_42
.LBB45_30:
	s_mov_b32 s0, 0
                                        ; implicit-def: $vgpr4
                                        ; implicit-def: $vgpr3
	s_cbranch_execz .LBB45_42
.LBB45_31:
	s_mov_b32 s1, exec_lo
	v_cmpx_gt_u32_e32 0x1a4, v0
	s_cbranch_execz .LBB45_33
; %bb.32:
	ds_load_b64 v[3:4], v12 offset:3840
	ds_load_b64 v[5:6], v12
	s_waitcnt lgkmcnt(0)
	v_dual_add_f32 v3, v3, v5 :: v_dual_add_f32 v4, v4, v6
	ds_store_b64 v12, v[3:4]
.LBB45_33:
	s_or_b32 exec_lo, exec_lo, s1
	s_delay_alu instid0(SALU_CYCLE_1)
	s_mov_b32 s1, exec_lo
	s_waitcnt lgkmcnt(0)
	s_barrier
	buffer_gl0_inv
	v_cmpx_gt_u32_e32 0xf0, v0
	s_cbranch_execz .LBB45_35
; %bb.34:
	ds_load_2addr_b64 v[3:6], v12 offset1:240
	s_waitcnt lgkmcnt(0)
	v_dual_add_f32 v3, v5, v3 :: v_dual_add_f32 v4, v6, v4
	ds_store_b64 v12, v[3:4]
.LBB45_35:
	s_or_b32 exec_lo, exec_lo, s1
	s_delay_alu instid0(SALU_CYCLE_1)
	s_mov_b32 s1, exec_lo
	s_waitcnt lgkmcnt(0)
	s_barrier
	buffer_gl0_inv
	v_cmpx_gt_u32_e32 0x78, v0
	s_cbranch_execz .LBB45_37
; %bb.36:
	ds_load_2addr_b64 v[3:6], v12 offset1:120
	s_waitcnt lgkmcnt(0)
	v_dual_add_f32 v3, v5, v3 :: v_dual_add_f32 v4, v6, v4
	ds_store_b64 v12, v[3:4]
.LBB45_37:
	;; [unrolled: 14-line block ×3, first 2 shown]
	s_or_b32 exec_lo, exec_lo, s1
	s_delay_alu instid0(SALU_CYCLE_1)
	s_mov_b32 s1, exec_lo
	s_waitcnt lgkmcnt(0)
	buffer_gl0_inv
                                        ; implicit-def: $vgpr3
	v_cmpx_gt_u32_e32 30, v0
; %bb.40:
	v_add_nc_u32_e32 v3, 30, v0
	s_or_b32 s0, s0, exec_lo
                                        ; implicit-def: $vgpr2
; %bb.41:
	s_or_b32 exec_lo, exec_lo, s1
	v_mov_b32_e32 v4, v12
.LBB45_42:
	s_and_saveexec_b32 s1, s0
	s_cbranch_execnz .LBB45_45
; %bb.43:
	s_or_b32 exec_lo, exec_lo, s1
	v_cmp_gt_u32_e32 vcc_lo, 30, v0
	s_and_b32 exec_lo, exec_lo, vcc_lo
	s_cbranch_execnz .LBB45_46
.LBB45_44:
	s_nop 0
	s_sendmsg sendmsg(MSG_DEALLOC_VGPRS)
	s_endpgm
.LBB45_45:
	v_lshlrev_b32_e32 v3, 3, v3
	ds_load_2addr_b32 v[1:2], v4 offset1:1
	ds_load_b64 v[3:4], v3
	s_waitcnt lgkmcnt(0)
	v_dual_add_f32 v2, v4, v2 :: v_dual_add_f32 v1, v3, v1
	s_or_b32 exec_lo, exec_lo, s1
	v_cmp_gt_u32_e32 vcc_lo, 30, v0
	s_and_b32 exec_lo, exec_lo, vcc_lo
	s_cbranch_execz .LBB45_44
.LBB45_46:
	v_mul_f32_e64 v3, v2, -v11
	v_mul_f32_e32 v4, v2, v10
	v_cmp_eq_f32_e32 vcc_lo, 0, v8
	v_cmp_eq_f32_e64 s0, 0, v9
	s_delay_alu instid0(VALU_DEP_4) | instskip(NEXT) | instid1(VALU_DEP_4)
	v_fmac_f32_e32 v3, v10, v1
	v_fmac_f32_e32 v4, v11, v1
	s_delay_alu instid0(VALU_DEP_3) | instskip(NEXT) | instid1(SALU_CYCLE_1)
	s_and_b32 s0, vcc_lo, s0
	s_and_saveexec_b32 s1, s0
	s_delay_alu instid0(SALU_CYCLE_1)
	s_xor_b32 s0, exec_lo, s1
	s_cbranch_execz .LBB45_48
; %bb.47:
	v_mad_u64_u32 v[1:2], null, s8, 30, v[0:1]
	v_mov_b32_e32 v2, 0
                                        ; implicit-def: $vgpr8
                                        ; implicit-def: $vgpr9
	s_delay_alu instid0(VALU_DEP_1) | instskip(NEXT) | instid1(VALU_DEP_1)
	v_lshlrev_b64 v[0:1], 3, v[1:2]
	v_add_co_u32 v0, vcc_lo, s2, v0
	s_delay_alu instid0(VALU_DEP_2)
	v_add_co_ci_u32_e32 v1, vcc_lo, s3, v1, vcc_lo
	global_store_b64 v[0:1], v[3:4], off
                                        ; implicit-def: $vgpr0
                                        ; implicit-def: $vgpr3
.LBB45_48:
	s_and_not1_saveexec_b32 s0, s0
	s_cbranch_execz .LBB45_44
; %bb.49:
	v_mad_u64_u32 v[1:2], null, s8, 30, v[0:1]
	v_mov_b32_e32 v2, 0
	s_delay_alu instid0(VALU_DEP_1) | instskip(NEXT) | instid1(VALU_DEP_1)
	v_lshlrev_b64 v[0:1], 3, v[1:2]
	v_add_co_u32 v0, vcc_lo, s2, v0
	s_delay_alu instid0(VALU_DEP_2) | instskip(SKIP_4) | instid1(VALU_DEP_2)
	v_add_co_ci_u32_e32 v1, vcc_lo, s3, v1, vcc_lo
	global_load_b64 v[5:6], v[0:1], off
	s_waitcnt vmcnt(0)
	v_fmac_f32_e32 v3, v8, v5
	v_fmac_f32_e32 v4, v9, v5
	v_fma_f32 v3, -v9, v6, v3
	s_delay_alu instid0(VALU_DEP_2)
	v_fmac_f32_e32 v4, v8, v6
	global_store_b64 v[0:1], v[3:4], off
	s_nop 0
	s_sendmsg sendmsg(MSG_DEALLOC_VGPRS)
	s_endpgm
	.section	.rodata,"a",@progbits
	.p2align	6, 0x0
	.amdhsa_kernel _ZN9rocsparseL20bsrxmvn_17_32_kernelILj30E21rocsparse_complex_numIfEiiS2_S2_S2_EEvT2_20rocsparse_direction_NS_24const_host_device_scalarIT0_EES3_PKS3_PKT1_SC_S9_PKT3_PKT4_S7_PT5_21rocsparse_index_base_b
		.amdhsa_group_segment_fixed_size 7200
		.amdhsa_private_segment_fixed_size 0
		.amdhsa_kernarg_size 96
		.amdhsa_user_sgpr_count 15
		.amdhsa_user_sgpr_dispatch_ptr 0
		.amdhsa_user_sgpr_queue_ptr 0
		.amdhsa_user_sgpr_kernarg_segment_ptr 1
		.amdhsa_user_sgpr_dispatch_id 0
		.amdhsa_user_sgpr_private_segment_size 0
		.amdhsa_wavefront_size32 1
		.amdhsa_uses_dynamic_stack 0
		.amdhsa_enable_private_segment 0
		.amdhsa_system_sgpr_workgroup_id_x 1
		.amdhsa_system_sgpr_workgroup_id_y 0
		.amdhsa_system_sgpr_workgroup_id_z 0
		.amdhsa_system_sgpr_workgroup_info 0
		.amdhsa_system_vgpr_workitem_id 0
		.amdhsa_next_free_vgpr 17
		.amdhsa_next_free_sgpr 16
		.amdhsa_reserve_vcc 1
		.amdhsa_float_round_mode_32 0
		.amdhsa_float_round_mode_16_64 0
		.amdhsa_float_denorm_mode_32 3
		.amdhsa_float_denorm_mode_16_64 3
		.amdhsa_dx10_clamp 1
		.amdhsa_ieee_mode 1
		.amdhsa_fp16_overflow 0
		.amdhsa_workgroup_processor_mode 1
		.amdhsa_memory_ordered 1
		.amdhsa_forward_progress 0
		.amdhsa_shared_vgpr_count 0
		.amdhsa_exception_fp_ieee_invalid_op 0
		.amdhsa_exception_fp_denorm_src 0
		.amdhsa_exception_fp_ieee_div_zero 0
		.amdhsa_exception_fp_ieee_overflow 0
		.amdhsa_exception_fp_ieee_underflow 0
		.amdhsa_exception_fp_ieee_inexact 0
		.amdhsa_exception_int_div_zero 0
	.end_amdhsa_kernel
	.section	.text._ZN9rocsparseL20bsrxmvn_17_32_kernelILj30E21rocsparse_complex_numIfEiiS2_S2_S2_EEvT2_20rocsparse_direction_NS_24const_host_device_scalarIT0_EES3_PKS3_PKT1_SC_S9_PKT3_PKT4_S7_PT5_21rocsparse_index_base_b,"axG",@progbits,_ZN9rocsparseL20bsrxmvn_17_32_kernelILj30E21rocsparse_complex_numIfEiiS2_S2_S2_EEvT2_20rocsparse_direction_NS_24const_host_device_scalarIT0_EES3_PKS3_PKT1_SC_S9_PKT3_PKT4_S7_PT5_21rocsparse_index_base_b,comdat
.Lfunc_end45:
	.size	_ZN9rocsparseL20bsrxmvn_17_32_kernelILj30E21rocsparse_complex_numIfEiiS2_S2_S2_EEvT2_20rocsparse_direction_NS_24const_host_device_scalarIT0_EES3_PKS3_PKT1_SC_S9_PKT3_PKT4_S7_PT5_21rocsparse_index_base_b, .Lfunc_end45-_ZN9rocsparseL20bsrxmvn_17_32_kernelILj30E21rocsparse_complex_numIfEiiS2_S2_S2_EEvT2_20rocsparse_direction_NS_24const_host_device_scalarIT0_EES3_PKS3_PKT1_SC_S9_PKT3_PKT4_S7_PT5_21rocsparse_index_base_b
                                        ; -- End function
	.section	.AMDGPU.csdata,"",@progbits
; Kernel info:
; codeLenInByte = 1832
; NumSgprs: 18
; NumVgprs: 17
; ScratchSize: 0
; MemoryBound: 0
; FloatMode: 240
; IeeeMode: 1
; LDSByteSize: 7200 bytes/workgroup (compile time only)
; SGPRBlocks: 2
; VGPRBlocks: 2
; NumSGPRsForWavesPerEU: 18
; NumVGPRsForWavesPerEU: 17
; Occupancy: 15
; WaveLimiterHint : 1
; COMPUTE_PGM_RSRC2:SCRATCH_EN: 0
; COMPUTE_PGM_RSRC2:USER_SGPR: 15
; COMPUTE_PGM_RSRC2:TRAP_HANDLER: 0
; COMPUTE_PGM_RSRC2:TGID_X_EN: 1
; COMPUTE_PGM_RSRC2:TGID_Y_EN: 0
; COMPUTE_PGM_RSRC2:TGID_Z_EN: 0
; COMPUTE_PGM_RSRC2:TIDIG_COMP_CNT: 0
	.section	.text._ZN9rocsparseL20bsrxmvn_17_32_kernelILj31E21rocsparse_complex_numIfEiiS2_S2_S2_EEvT2_20rocsparse_direction_NS_24const_host_device_scalarIT0_EES3_PKS3_PKT1_SC_S9_PKT3_PKT4_S7_PT5_21rocsparse_index_base_b,"axG",@progbits,_ZN9rocsparseL20bsrxmvn_17_32_kernelILj31E21rocsparse_complex_numIfEiiS2_S2_S2_EEvT2_20rocsparse_direction_NS_24const_host_device_scalarIT0_EES3_PKS3_PKT1_SC_S9_PKT3_PKT4_S7_PT5_21rocsparse_index_base_b,comdat
	.globl	_ZN9rocsparseL20bsrxmvn_17_32_kernelILj31E21rocsparse_complex_numIfEiiS2_S2_S2_EEvT2_20rocsparse_direction_NS_24const_host_device_scalarIT0_EES3_PKS3_PKT1_SC_S9_PKT3_PKT4_S7_PT5_21rocsparse_index_base_b ; -- Begin function _ZN9rocsparseL20bsrxmvn_17_32_kernelILj31E21rocsparse_complex_numIfEiiS2_S2_S2_EEvT2_20rocsparse_direction_NS_24const_host_device_scalarIT0_EES3_PKS3_PKT1_SC_S9_PKT3_PKT4_S7_PT5_21rocsparse_index_base_b
	.p2align	8
	.type	_ZN9rocsparseL20bsrxmvn_17_32_kernelILj31E21rocsparse_complex_numIfEiiS2_S2_S2_EEvT2_20rocsparse_direction_NS_24const_host_device_scalarIT0_EES3_PKS3_PKT1_SC_S9_PKT3_PKT4_S7_PT5_21rocsparse_index_base_b,@function
_ZN9rocsparseL20bsrxmvn_17_32_kernelILj31E21rocsparse_complex_numIfEiiS2_S2_S2_EEvT2_20rocsparse_direction_NS_24const_host_device_scalarIT0_EES3_PKS3_PKT1_SC_S9_PKT3_PKT4_S7_PT5_21rocsparse_index_base_b: ; @_ZN9rocsparseL20bsrxmvn_17_32_kernelILj31E21rocsparse_complex_numIfEiiS2_S2_S2_EEvT2_20rocsparse_direction_NS_24const_host_device_scalarIT0_EES3_PKS3_PKT1_SC_S9_PKT3_PKT4_S7_PT5_21rocsparse_index_base_b
; %bb.0:
	s_clause 0x2
	s_load_b64 s[10:11], s[0:1], 0x58
	s_load_b64 s[4:5], s[0:1], 0x8
	;; [unrolled: 1-line block ×3, first 2 shown]
	s_mov_b32 s8, s15
	s_waitcnt lgkmcnt(0)
	s_bitcmp1_b32 s11, 0
	v_mov_b32_e32 v10, s4
	s_cselect_b32 s6, -1, 0
	s_delay_alu instid0(SALU_CYCLE_1)
	s_and_b32 vcc_lo, exec_lo, s6
	s_xor_b32 s6, s6, -1
	s_cbranch_vccz .LBB46_15
; %bb.1:
	v_cndmask_b32_e64 v1, 0, 1, s6
	v_mov_b32_e32 v11, s5
	s_and_not1_b32 vcc_lo, exec_lo, s6
	s_cbranch_vccz .LBB46_16
.LBB46_2:
	s_delay_alu instid0(VALU_DEP_2)
	v_cmp_ne_u32_e32 vcc_lo, 1, v1
	v_mov_b32_e32 v8, s2
	s_cbranch_vccz .LBB46_17
.LBB46_3:
	v_cmp_ne_u32_e32 vcc_lo, 1, v1
	v_mov_b32_e32 v9, s3
	s_cbranch_vccnz .LBB46_5
.LBB46_4:
	v_dual_mov_b32 v1, s2 :: v_dual_mov_b32 v2, s3
	flat_load_b32 v9, v[1:2] offset:4
.LBB46_5:
	s_waitcnt vmcnt(0) lgkmcnt(0)
	v_cmp_eq_f32_e32 vcc_lo, 0, v10
	v_cmp_eq_f32_e64 s2, 0, v11
	s_delay_alu instid0(VALU_DEP_1)
	s_and_b32 s4, vcc_lo, s2
	s_mov_b32 s2, -1
	s_and_saveexec_b32 s3, s4
; %bb.6:
	v_cmp_neq_f32_e32 vcc_lo, 1.0, v8
	v_cmp_neq_f32_e64 s2, 0, v9
	s_delay_alu instid0(VALU_DEP_1) | instskip(NEXT) | instid1(SALU_CYCLE_1)
	s_or_b32 s2, vcc_lo, s2
	s_or_not1_b32 s2, s2, exec_lo
; %bb.7:
	s_or_b32 exec_lo, exec_lo, s3
	s_and_saveexec_b32 s3, s2
	s_cbranch_execz .LBB46_44
; %bb.8:
	s_clause 0x1
	s_load_b128 s[4:7], s[0:1], 0x18
	s_load_b64 s[2:3], s[0:1], 0x28
	s_waitcnt lgkmcnt(0)
	s_cmp_eq_u64 s[4:5], 0
	s_cbranch_scc1 .LBB46_10
; %bb.9:
	s_ashr_i32 s9, s8, 31
	s_delay_alu instid0(SALU_CYCLE_1) | instskip(NEXT) | instid1(SALU_CYCLE_1)
	s_lshl_b64 s[8:9], s[8:9], 2
	s_add_u32 s4, s4, s8
	s_addc_u32 s5, s5, s9
	s_load_b32 s4, s[4:5], 0x0
	s_waitcnt lgkmcnt(0)
	s_sub_i32 s8, s4, s10
.LBB46_10:
	s_load_b32 s4, s[0:1], 0x4
	v_mul_u32_u24_e32 v1, 0x843, v0
	v_mov_b32_e32 v2, 0
	v_lshlrev_b32_e32 v12, 3, v0
	s_delay_alu instid0(VALU_DEP_3) | instskip(NEXT) | instid1(VALU_DEP_1)
	v_lshrrev_b32_e32 v3, 16, v1
	v_mul_lo_u16 v1, v3, 31
	s_delay_alu instid0(VALU_DEP_1)
	v_sub_nc_u16 v13, v0, v1
	v_mov_b32_e32 v1, 0
	s_waitcnt lgkmcnt(0)
	s_cmp_eq_u32 s4, 1
	s_cselect_b32 vcc_lo, -1, 0
	s_cmp_lg_u32 s4, 1
	s_cselect_b32 s11, -1, 0
	s_ashr_i32 s9, s8, 31
	s_delay_alu instid0(SALU_CYCLE_1) | instskip(NEXT) | instid1(SALU_CYCLE_1)
	s_lshl_b64 s[4:5], s[8:9], 2
	s_add_u32 s6, s6, s4
	s_addc_u32 s7, s7, s5
	s_add_u32 s9, s6, 4
	s_addc_u32 s12, s7, 0
	;; [unrolled: 2-line block ×3, first 2 shown]
	s_cmp_eq_u64 s[2:3], 0
	s_cselect_b32 s3, s12, s5
	s_cselect_b32 s2, s9, s4
	s_load_b32 s9, s[6:7], 0x0
	s_load_b32 s14, s[2:3], 0x0
	s_load_b64 s[2:3], s[0:1], 0x50
	s_waitcnt lgkmcnt(0)
	s_cmp_ge_i32 s9, s14
	s_cbranch_scc1 .LBB46_18
; %bb.11:
	s_clause 0x1
	s_load_b128 s[4:7], s[0:1], 0x30
	s_load_b64 s[12:13], s[0:1], 0x40
	v_and_b32_e32 v1, 0xffff, v3
	v_cmp_gt_u32_e64 s0, 0x3c1, v0
	s_sub_i32 s9, s9, s10
	v_and_b32_e32 v3, 0xffff, v13
	s_sub_i32 s1, s14, s10
	v_subrev_nc_u32_e32 v2, 31, v1
	s_mul_i32 s14, s9, 0x1e08
	s_delay_alu instid0(VALU_DEP_1) | instskip(SKIP_2) | instid1(VALU_DEP_3)
	v_cndmask_b32_e64 v1, v2, v1, s0
	v_mov_b32_e32 v2, 0
	v_cmp_lt_u32_e64 s0, 0x3c0, v0
	v_dual_cndmask_b32 v3, v3, v1 :: v_dual_lshlrev_b32 v4, 3, v0
	s_delay_alu instid0(VALU_DEP_3) | instskip(NEXT) | instid1(VALU_DEP_3)
	v_mov_b32_e32 v1, v2
	v_cndmask_b32_e64 v14, 0, 1, s0
	s_mul_hi_i32 s0, s9, 0x1e08
	s_waitcnt lgkmcnt(0)
	s_add_u32 s6, s6, s14
	s_addc_u32 s0, s7, s0
	v_add_co_u32 v4, s6, s6, v4
	s_delay_alu instid0(VALU_DEP_1)
	v_add_co_ci_u32_e64 v5, null, s0, 0, s6
	s_set_inst_prefetch_distance 0x1
	s_branch .LBB46_13
	.p2align	6
.LBB46_12:                              ;   in Loop: Header=BB46_13 Depth=1
	s_or_b32 exec_lo, exec_lo, s0
	s_add_i32 s9, s9, 1
	s_delay_alu instid0(SALU_CYCLE_1)
	s_cmp_lt_i32 s9, s1
	s_cbranch_scc0 .LBB46_18
.LBB46_13:                              ; =>This Inner Loop Header: Depth=1
	v_add_nc_u32_e32 v6, s9, v14
	s_mov_b32 s0, exec_lo
	s_delay_alu instid0(VALU_DEP_1)
	v_cmpx_gt_i32_e64 s1, v6
	s_cbranch_execz .LBB46_12
; %bb.14:                               ;   in Loop: Header=BB46_13 Depth=1
	v_ashrrev_i32_e32 v7, 31, v6
	s_delay_alu instid0(VALU_DEP_1) | instskip(NEXT) | instid1(VALU_DEP_1)
	v_lshlrev_b64 v[6:7], 2, v[6:7]
	v_add_co_u32 v6, vcc_lo, s4, v6
	s_delay_alu instid0(VALU_DEP_2) | instskip(SKIP_3) | instid1(VALU_DEP_1)
	v_add_co_ci_u32_e32 v7, vcc_lo, s5, v7, vcc_lo
	global_load_b32 v6, v[6:7], off
	s_waitcnt vmcnt(0)
	v_subrev_nc_u32_e32 v15, s10, v6
	v_mad_u64_u32 v[6:7], null, v15, 31, v[3:4]
	s_delay_alu instid0(VALU_DEP_1) | instskip(NEXT) | instid1(VALU_DEP_1)
	v_ashrrev_i32_e32 v7, 31, v6
	v_lshlrev_b64 v[6:7], 3, v[6:7]
	s_delay_alu instid0(VALU_DEP_1) | instskip(NEXT) | instid1(VALU_DEP_2)
	v_add_co_u32 v6, vcc_lo, s12, v6
	v_add_co_ci_u32_e32 v7, vcc_lo, s13, v7, vcc_lo
	global_load_b64 v[15:16], v[4:5], off
	global_load_b64 v[6:7], v[6:7], off
	v_add_co_u32 v4, vcc_lo, 0x1e08, v4
	v_add_co_ci_u32_e32 v5, vcc_lo, 0, v5, vcc_lo
	s_waitcnt vmcnt(0)
	v_fmac_f32_e32 v1, v15, v6
	v_fmac_f32_e32 v2, v16, v6
	s_delay_alu instid0(VALU_DEP_2) | instskip(NEXT) | instid1(VALU_DEP_2)
	v_fma_f32 v1, -v16, v7, v1
	v_fmac_f32_e32 v2, v15, v7
	s_branch .LBB46_12
.LBB46_15:
	v_dual_mov_b32 v1, s4 :: v_dual_mov_b32 v2, s5
	flat_load_b32 v10, v[1:2]
	v_cndmask_b32_e64 v1, 0, 1, s6
	v_mov_b32_e32 v11, s5
	s_and_not1_b32 vcc_lo, exec_lo, s6
	s_cbranch_vccnz .LBB46_2
.LBB46_16:
	v_dual_mov_b32 v2, s4 :: v_dual_mov_b32 v3, s5
	flat_load_b32 v11, v[2:3] offset:4
	v_cmp_ne_u32_e32 vcc_lo, 1, v1
	v_mov_b32_e32 v8, s2
	s_cbranch_vccnz .LBB46_3
.LBB46_17:
	v_dual_mov_b32 v2, s2 :: v_dual_mov_b32 v3, s3
	flat_load_b32 v8, v[2:3]
	v_cmp_ne_u32_e32 vcc_lo, 1, v1
	v_mov_b32_e32 v9, s3
	s_cbranch_vccz .LBB46_4
	s_branch .LBB46_5
.LBB46_18:
	s_set_inst_prefetch_distance 0x2
	s_and_b32 vcc_lo, exec_lo, s11
	ds_store_b64 v12, v[1:2]
	s_waitcnt lgkmcnt(0)
	s_barrier
	buffer_gl0_inv
	s_cbranch_vccz .LBB46_30
; %bb.19:
	s_mov_b32 s0, exec_lo
	v_cmpx_gt_u16_e32 15, v13
	s_cbranch_execz .LBB46_21
; %bb.20:
	ds_load_2addr_b64 v[3:6], v12 offset1:16
	s_waitcnt lgkmcnt(0)
	v_dual_add_f32 v3, v5, v3 :: v_dual_add_f32 v4, v6, v4
	ds_store_b64 v12, v[3:4]
.LBB46_21:
	s_or_b32 exec_lo, exec_lo, s0
	s_delay_alu instid0(SALU_CYCLE_1)
	s_mov_b32 s0, exec_lo
	s_waitcnt lgkmcnt(0)
	s_barrier
	buffer_gl0_inv
	v_cmpx_gt_u16_e32 8, v13
	s_cbranch_execz .LBB46_23
; %bb.22:
	ds_load_2addr_b64 v[3:6], v12 offset1:8
	s_waitcnt lgkmcnt(0)
	v_dual_add_f32 v3, v5, v3 :: v_dual_add_f32 v4, v6, v4
	ds_store_b64 v12, v[3:4]
.LBB46_23:
	s_or_b32 exec_lo, exec_lo, s0
	s_delay_alu instid0(SALU_CYCLE_1)
	s_mov_b32 s0, exec_lo
	s_waitcnt lgkmcnt(0)
	s_barrier
	buffer_gl0_inv
	;; [unrolled: 14-line block ×3, first 2 shown]
	v_cmpx_gt_u16_e32 2, v13
	s_cbranch_execz .LBB46_27
; %bb.26:
	ds_load_2addr_b64 v[3:6], v12 offset1:2
	s_waitcnt lgkmcnt(0)
	v_dual_add_f32 v3, v5, v3 :: v_dual_add_f32 v4, v6, v4
	ds_store_b64 v12, v[3:4]
.LBB46_27:
	s_or_b32 exec_lo, exec_lo, s0
	s_mov_b32 s1, 0
	s_mov_b32 s0, 0
	s_mov_b32 s4, exec_lo
	s_waitcnt lgkmcnt(0)
	s_barrier
	buffer_gl0_inv
                                        ; implicit-def: $vgpr4
                                        ; implicit-def: $vgpr3
	v_cmpx_gt_u32_e32 31, v0
	s_xor_b32 s4, exec_lo, s4
; %bb.28:
	v_mul_u32_u24_e32 v3, 31, v0
	s_mov_b32 s0, exec_lo
	s_delay_alu instid0(VALU_DEP_1)
	v_lshlrev_b32_e32 v4, 3, v3
	v_mad_u32_u24 v3, v0, 31, 1
; %bb.29:
	s_or_b32 exec_lo, exec_lo, s4
	s_delay_alu instid0(SALU_CYCLE_1)
	s_and_b32 vcc_lo, exec_lo, s1
	s_cbranch_vccnz .LBB46_31
	s_branch .LBB46_42
.LBB46_30:
	s_mov_b32 s0, 0
                                        ; implicit-def: $vgpr4
                                        ; implicit-def: $vgpr3
	s_cbranch_execz .LBB46_42
.LBB46_31:
	s_mov_b32 s1, exec_lo
	v_cmpx_gt_u32_e32 0x1d1, v0
	s_cbranch_execz .LBB46_33
; %bb.32:
	ds_load_b64 v[3:4], v12 offset:3968
	ds_load_b64 v[5:6], v12
	s_waitcnt lgkmcnt(0)
	v_dual_add_f32 v3, v3, v5 :: v_dual_add_f32 v4, v4, v6
	ds_store_b64 v12, v[3:4]
.LBB46_33:
	s_or_b32 exec_lo, exec_lo, s1
	s_delay_alu instid0(SALU_CYCLE_1)
	s_mov_b32 s1, exec_lo
	s_waitcnt lgkmcnt(0)
	s_barrier
	buffer_gl0_inv
	v_cmpx_gt_u32_e32 0xf8, v0
	s_cbranch_execz .LBB46_35
; %bb.34:
	ds_load_2addr_b64 v[3:6], v12 offset1:248
	s_waitcnt lgkmcnt(0)
	v_dual_add_f32 v3, v5, v3 :: v_dual_add_f32 v4, v6, v4
	ds_store_b64 v12, v[3:4]
.LBB46_35:
	s_or_b32 exec_lo, exec_lo, s1
	s_delay_alu instid0(SALU_CYCLE_1)
	s_mov_b32 s1, exec_lo
	s_waitcnt lgkmcnt(0)
	s_barrier
	buffer_gl0_inv
	v_cmpx_gt_u32_e32 0x7c, v0
	s_cbranch_execz .LBB46_37
; %bb.36:
	ds_load_2addr_b64 v[3:6], v12 offset1:124
	s_waitcnt lgkmcnt(0)
	v_dual_add_f32 v3, v5, v3 :: v_dual_add_f32 v4, v6, v4
	ds_store_b64 v12, v[3:4]
.LBB46_37:
	;; [unrolled: 14-line block ×3, first 2 shown]
	s_or_b32 exec_lo, exec_lo, s1
	s_delay_alu instid0(SALU_CYCLE_1)
	s_mov_b32 s1, exec_lo
	s_waitcnt lgkmcnt(0)
	buffer_gl0_inv
                                        ; implicit-def: $vgpr3
	v_cmpx_gt_u32_e32 31, v0
; %bb.40:
	v_add_nc_u32_e32 v3, 31, v0
	s_or_b32 s0, s0, exec_lo
                                        ; implicit-def: $vgpr2
; %bb.41:
	s_or_b32 exec_lo, exec_lo, s1
	v_mov_b32_e32 v4, v12
.LBB46_42:
	s_and_saveexec_b32 s1, s0
	s_cbranch_execnz .LBB46_45
; %bb.43:
	s_or_b32 exec_lo, exec_lo, s1
	v_cmp_gt_u32_e32 vcc_lo, 31, v0
	s_and_b32 exec_lo, exec_lo, vcc_lo
	s_cbranch_execnz .LBB46_46
.LBB46_44:
	s_nop 0
	s_sendmsg sendmsg(MSG_DEALLOC_VGPRS)
	s_endpgm
.LBB46_45:
	v_lshlrev_b32_e32 v3, 3, v3
	ds_load_2addr_b32 v[1:2], v4 offset1:1
	ds_load_b64 v[3:4], v3
	s_waitcnt lgkmcnt(0)
	v_dual_add_f32 v2, v4, v2 :: v_dual_add_f32 v1, v3, v1
	s_or_b32 exec_lo, exec_lo, s1
	v_cmp_gt_u32_e32 vcc_lo, 31, v0
	s_and_b32 exec_lo, exec_lo, vcc_lo
	s_cbranch_execz .LBB46_44
.LBB46_46:
	v_mul_f32_e64 v3, v2, -v11
	v_mul_f32_e32 v4, v2, v10
	v_cmp_eq_f32_e32 vcc_lo, 0, v8
	v_cmp_eq_f32_e64 s0, 0, v9
	s_delay_alu instid0(VALU_DEP_4) | instskip(NEXT) | instid1(VALU_DEP_4)
	v_fmac_f32_e32 v3, v10, v1
	v_fmac_f32_e32 v4, v11, v1
	s_delay_alu instid0(VALU_DEP_3) | instskip(NEXT) | instid1(SALU_CYCLE_1)
	s_and_b32 s0, vcc_lo, s0
	s_and_saveexec_b32 s1, s0
	s_delay_alu instid0(SALU_CYCLE_1)
	s_xor_b32 s0, exec_lo, s1
	s_cbranch_execz .LBB46_48
; %bb.47:
	v_mad_u64_u32 v[1:2], null, s8, 31, v[0:1]
	v_mov_b32_e32 v2, 0
                                        ; implicit-def: $vgpr8
                                        ; implicit-def: $vgpr9
	s_delay_alu instid0(VALU_DEP_1) | instskip(NEXT) | instid1(VALU_DEP_1)
	v_lshlrev_b64 v[0:1], 3, v[1:2]
	v_add_co_u32 v0, vcc_lo, s2, v0
	s_delay_alu instid0(VALU_DEP_2)
	v_add_co_ci_u32_e32 v1, vcc_lo, s3, v1, vcc_lo
	global_store_b64 v[0:1], v[3:4], off
                                        ; implicit-def: $vgpr0
                                        ; implicit-def: $vgpr3
.LBB46_48:
	s_and_not1_saveexec_b32 s0, s0
	s_cbranch_execz .LBB46_44
; %bb.49:
	v_mad_u64_u32 v[1:2], null, s8, 31, v[0:1]
	v_mov_b32_e32 v2, 0
	s_delay_alu instid0(VALU_DEP_1) | instskip(NEXT) | instid1(VALU_DEP_1)
	v_lshlrev_b64 v[0:1], 3, v[1:2]
	v_add_co_u32 v0, vcc_lo, s2, v0
	s_delay_alu instid0(VALU_DEP_2) | instskip(SKIP_4) | instid1(VALU_DEP_2)
	v_add_co_ci_u32_e32 v1, vcc_lo, s3, v1, vcc_lo
	global_load_b64 v[5:6], v[0:1], off
	s_waitcnt vmcnt(0)
	v_fmac_f32_e32 v3, v8, v5
	v_fmac_f32_e32 v4, v9, v5
	v_fma_f32 v3, -v9, v6, v3
	s_delay_alu instid0(VALU_DEP_2)
	v_fmac_f32_e32 v4, v8, v6
	global_store_b64 v[0:1], v[3:4], off
	s_nop 0
	s_sendmsg sendmsg(MSG_DEALLOC_VGPRS)
	s_endpgm
	.section	.rodata,"a",@progbits
	.p2align	6, 0x0
	.amdhsa_kernel _ZN9rocsparseL20bsrxmvn_17_32_kernelILj31E21rocsparse_complex_numIfEiiS2_S2_S2_EEvT2_20rocsparse_direction_NS_24const_host_device_scalarIT0_EES3_PKS3_PKT1_SC_S9_PKT3_PKT4_S7_PT5_21rocsparse_index_base_b
		.amdhsa_group_segment_fixed_size 7688
		.amdhsa_private_segment_fixed_size 0
		.amdhsa_kernarg_size 96
		.amdhsa_user_sgpr_count 15
		.amdhsa_user_sgpr_dispatch_ptr 0
		.amdhsa_user_sgpr_queue_ptr 0
		.amdhsa_user_sgpr_kernarg_segment_ptr 1
		.amdhsa_user_sgpr_dispatch_id 0
		.amdhsa_user_sgpr_private_segment_size 0
		.amdhsa_wavefront_size32 1
		.amdhsa_uses_dynamic_stack 0
		.amdhsa_enable_private_segment 0
		.amdhsa_system_sgpr_workgroup_id_x 1
		.amdhsa_system_sgpr_workgroup_id_y 0
		.amdhsa_system_sgpr_workgroup_id_z 0
		.amdhsa_system_sgpr_workgroup_info 0
		.amdhsa_system_vgpr_workitem_id 0
		.amdhsa_next_free_vgpr 17
		.amdhsa_next_free_sgpr 16
		.amdhsa_reserve_vcc 1
		.amdhsa_float_round_mode_32 0
		.amdhsa_float_round_mode_16_64 0
		.amdhsa_float_denorm_mode_32 3
		.amdhsa_float_denorm_mode_16_64 3
		.amdhsa_dx10_clamp 1
		.amdhsa_ieee_mode 1
		.amdhsa_fp16_overflow 0
		.amdhsa_workgroup_processor_mode 1
		.amdhsa_memory_ordered 1
		.amdhsa_forward_progress 0
		.amdhsa_shared_vgpr_count 0
		.amdhsa_exception_fp_ieee_invalid_op 0
		.amdhsa_exception_fp_denorm_src 0
		.amdhsa_exception_fp_ieee_div_zero 0
		.amdhsa_exception_fp_ieee_overflow 0
		.amdhsa_exception_fp_ieee_underflow 0
		.amdhsa_exception_fp_ieee_inexact 0
		.amdhsa_exception_int_div_zero 0
	.end_amdhsa_kernel
	.section	.text._ZN9rocsparseL20bsrxmvn_17_32_kernelILj31E21rocsparse_complex_numIfEiiS2_S2_S2_EEvT2_20rocsparse_direction_NS_24const_host_device_scalarIT0_EES3_PKS3_PKT1_SC_S9_PKT3_PKT4_S7_PT5_21rocsparse_index_base_b,"axG",@progbits,_ZN9rocsparseL20bsrxmvn_17_32_kernelILj31E21rocsparse_complex_numIfEiiS2_S2_S2_EEvT2_20rocsparse_direction_NS_24const_host_device_scalarIT0_EES3_PKS3_PKT1_SC_S9_PKT3_PKT4_S7_PT5_21rocsparse_index_base_b,comdat
.Lfunc_end46:
	.size	_ZN9rocsparseL20bsrxmvn_17_32_kernelILj31E21rocsparse_complex_numIfEiiS2_S2_S2_EEvT2_20rocsparse_direction_NS_24const_host_device_scalarIT0_EES3_PKS3_PKT1_SC_S9_PKT3_PKT4_S7_PT5_21rocsparse_index_base_b, .Lfunc_end46-_ZN9rocsparseL20bsrxmvn_17_32_kernelILj31E21rocsparse_complex_numIfEiiS2_S2_S2_EEvT2_20rocsparse_direction_NS_24const_host_device_scalarIT0_EES3_PKS3_PKT1_SC_S9_PKT3_PKT4_S7_PT5_21rocsparse_index_base_b
                                        ; -- End function
	.section	.AMDGPU.csdata,"",@progbits
; Kernel info:
; codeLenInByte = 1836
; NumSgprs: 18
; NumVgprs: 17
; ScratchSize: 0
; MemoryBound: 0
; FloatMode: 240
; IeeeMode: 1
; LDSByteSize: 7688 bytes/workgroup (compile time only)
; SGPRBlocks: 2
; VGPRBlocks: 2
; NumSGPRsForWavesPerEU: 18
; NumVGPRsForWavesPerEU: 17
; Occupancy: 16
; WaveLimiterHint : 1
; COMPUTE_PGM_RSRC2:SCRATCH_EN: 0
; COMPUTE_PGM_RSRC2:USER_SGPR: 15
; COMPUTE_PGM_RSRC2:TRAP_HANDLER: 0
; COMPUTE_PGM_RSRC2:TGID_X_EN: 1
; COMPUTE_PGM_RSRC2:TGID_Y_EN: 0
; COMPUTE_PGM_RSRC2:TGID_Z_EN: 0
; COMPUTE_PGM_RSRC2:TIDIG_COMP_CNT: 0
	.section	.text._ZN9rocsparseL20bsrxmvn_17_32_kernelILj32E21rocsparse_complex_numIfEiiS2_S2_S2_EEvT2_20rocsparse_direction_NS_24const_host_device_scalarIT0_EES3_PKS3_PKT1_SC_S9_PKT3_PKT4_S7_PT5_21rocsparse_index_base_b,"axG",@progbits,_ZN9rocsparseL20bsrxmvn_17_32_kernelILj32E21rocsparse_complex_numIfEiiS2_S2_S2_EEvT2_20rocsparse_direction_NS_24const_host_device_scalarIT0_EES3_PKS3_PKT1_SC_S9_PKT3_PKT4_S7_PT5_21rocsparse_index_base_b,comdat
	.globl	_ZN9rocsparseL20bsrxmvn_17_32_kernelILj32E21rocsparse_complex_numIfEiiS2_S2_S2_EEvT2_20rocsparse_direction_NS_24const_host_device_scalarIT0_EES3_PKS3_PKT1_SC_S9_PKT3_PKT4_S7_PT5_21rocsparse_index_base_b ; -- Begin function _ZN9rocsparseL20bsrxmvn_17_32_kernelILj32E21rocsparse_complex_numIfEiiS2_S2_S2_EEvT2_20rocsparse_direction_NS_24const_host_device_scalarIT0_EES3_PKS3_PKT1_SC_S9_PKT3_PKT4_S7_PT5_21rocsparse_index_base_b
	.p2align	8
	.type	_ZN9rocsparseL20bsrxmvn_17_32_kernelILj32E21rocsparse_complex_numIfEiiS2_S2_S2_EEvT2_20rocsparse_direction_NS_24const_host_device_scalarIT0_EES3_PKS3_PKT1_SC_S9_PKT3_PKT4_S7_PT5_21rocsparse_index_base_b,@function
_ZN9rocsparseL20bsrxmvn_17_32_kernelILj32E21rocsparse_complex_numIfEiiS2_S2_S2_EEvT2_20rocsparse_direction_NS_24const_host_device_scalarIT0_EES3_PKS3_PKT1_SC_S9_PKT3_PKT4_S7_PT5_21rocsparse_index_base_b: ; @_ZN9rocsparseL20bsrxmvn_17_32_kernelILj32E21rocsparse_complex_numIfEiiS2_S2_S2_EEvT2_20rocsparse_direction_NS_24const_host_device_scalarIT0_EES3_PKS3_PKT1_SC_S9_PKT3_PKT4_S7_PT5_21rocsparse_index_base_b
; %bb.0:
	s_clause 0x2
	s_load_b64 s[10:11], s[0:1], 0x58
	s_load_b64 s[4:5], s[0:1], 0x8
	;; [unrolled: 1-line block ×3, first 2 shown]
	s_mov_b32 s8, s15
	s_waitcnt lgkmcnt(0)
	s_bitcmp1_b32 s11, 0
	v_mov_b32_e32 v7, s4
	s_cselect_b32 s6, -1, 0
	s_delay_alu instid0(SALU_CYCLE_1)
	s_and_b32 vcc_lo, exec_lo, s6
	s_xor_b32 s6, s6, -1
	s_cbranch_vccz .LBB47_25
; %bb.1:
	v_cndmask_b32_e64 v1, 0, 1, s6
	v_mov_b32_e32 v8, s5
	s_and_not1_b32 vcc_lo, exec_lo, s6
	s_cbranch_vccz .LBB47_26
.LBB47_2:
	s_delay_alu instid0(VALU_DEP_2)
	v_cmp_ne_u32_e32 vcc_lo, 1, v1
	v_mov_b32_e32 v5, s2
	s_cbranch_vccz .LBB47_27
.LBB47_3:
	v_cmp_ne_u32_e32 vcc_lo, 1, v1
	v_mov_b32_e32 v6, s3
	s_cbranch_vccnz .LBB47_5
.LBB47_4:
	v_dual_mov_b32 v1, s2 :: v_dual_mov_b32 v2, s3
	flat_load_b32 v6, v[1:2] offset:4
.LBB47_5:
	s_waitcnt vmcnt(0) lgkmcnt(0)
	v_cmp_eq_f32_e32 vcc_lo, 0, v7
	v_cmp_eq_f32_e64 s2, 0, v8
	s_delay_alu instid0(VALU_DEP_1)
	s_and_b32 s4, vcc_lo, s2
	s_mov_b32 s2, -1
	s_and_saveexec_b32 s3, s4
; %bb.6:
	v_cmp_neq_f32_e32 vcc_lo, 1.0, v5
	v_cmp_neq_f32_e64 s2, 0, v6
	s_delay_alu instid0(VALU_DEP_1) | instskip(NEXT) | instid1(SALU_CYCLE_1)
	s_or_b32 s2, vcc_lo, s2
	s_or_not1_b32 s2, s2, exec_lo
; %bb.7:
	s_or_b32 exec_lo, exec_lo, s3
	s_and_saveexec_b32 s3, s2
	s_cbranch_execz .LBB47_42
; %bb.8:
	s_clause 0x1
	s_load_b128 s[4:7], s[0:1], 0x18
	s_load_b64 s[2:3], s[0:1], 0x28
	s_waitcnt lgkmcnt(0)
	s_cmp_eq_u64 s[4:5], 0
	s_cbranch_scc1 .LBB47_10
; %bb.9:
	s_ashr_i32 s9, s8, 31
	s_delay_alu instid0(SALU_CYCLE_1) | instskip(NEXT) | instid1(SALU_CYCLE_1)
	s_lshl_b64 s[8:9], s[8:9], 2
	s_add_u32 s4, s4, s8
	s_addc_u32 s5, s5, s9
	s_load_b32 s4, s[4:5], 0x0
	s_waitcnt lgkmcnt(0)
	s_sub_i32 s8, s4, s10
.LBB47_10:
	s_load_b32 s4, s[0:1], 0x4
	v_dual_mov_b32 v2, 0 :: v_dual_and_b32 v9, 31, v0
	v_mov_b32_e32 v1, 0
	s_waitcnt lgkmcnt(0)
	s_cmp_eq_u32 s4, 1
	s_cselect_b32 vcc_lo, -1, 0
	s_cmp_lg_u32 s4, 1
	s_cselect_b32 s11, -1, 0
	s_ashr_i32 s9, s8, 31
	s_delay_alu instid0(SALU_CYCLE_1) | instskip(NEXT) | instid1(SALU_CYCLE_1)
	s_lshl_b64 s[4:5], s[8:9], 2
	s_add_u32 s6, s6, s4
	s_addc_u32 s7, s7, s5
	s_add_u32 s9, s6, 4
	s_addc_u32 s12, s7, 0
	;; [unrolled: 2-line block ×3, first 2 shown]
	s_cmp_eq_u64 s[2:3], 0
	s_cselect_b32 s3, s12, s5
	s_cselect_b32 s2, s9, s4
	s_load_b32 s4, s[6:7], 0x0
	s_load_b32 s6, s[2:3], 0x0
	s_load_b64 s[2:3], s[0:1], 0x50
	s_waitcnt lgkmcnt(0)
	s_cmp_ge_i32 s4, s6
	s_cbranch_scc1 .LBB47_13
; %bb.11:
	s_clause 0x1
	s_load_b128 s[12:15], s[0:1], 0x30
	s_load_b64 s[0:1], s[0:1], 0x40
	s_sub_i32 s4, s4, s10
	v_lshrrev_b32_e32 v1, 5, v0
	s_ashr_i32 s5, s4, 31
	v_mov_b32_e32 v2, 0
	s_lshl_b64 s[16:17], s[4:5], 13
	s_lshl_b64 s[18:19], s[4:5], 2
	v_lshl_or_b32 v3, v0, 3, s16
	v_mov_b32_e32 v4, s17
	v_dual_cndmask_b32 v10, v9, v1 :: v_dual_mov_b32 v1, v2
	s_sub_i32 s5, s6, s10
	s_waitcnt lgkmcnt(0)
	v_add_co_u32 v3, vcc_lo, s14, v3
	v_add_co_ci_u32_e32 v4, vcc_lo, s15, v4, vcc_lo
	s_add_u32 s6, s12, s18
	s_addc_u32 s7, s13, s19
	.p2align	6
.LBB47_12:                              ; =>This Inner Loop Header: Depth=1
	s_load_b32 s9, s[6:7], 0x0
	s_add_i32 s4, s4, 1
	s_waitcnt lgkmcnt(0)
	s_sub_i32 s9, s9, s10
	s_add_u32 s6, s6, 4
	v_lshl_or_b32 v11, s9, 5, v10
	s_addc_u32 s7, s7, 0
	s_cmp_lt_i32 s4, s5
	s_delay_alu instid0(VALU_DEP_1) | instskip(NEXT) | instid1(VALU_DEP_1)
	v_ashrrev_i32_e32 v12, 31, v11
	v_lshlrev_b64 v[11:12], 3, v[11:12]
	s_delay_alu instid0(VALU_DEP_1) | instskip(NEXT) | instid1(VALU_DEP_2)
	v_add_co_u32 v11, vcc_lo, s0, v11
	v_add_co_ci_u32_e32 v12, vcc_lo, s1, v12, vcc_lo
	global_load_b64 v[13:14], v[3:4], off
	global_load_b64 v[11:12], v[11:12], off
	v_add_co_u32 v3, vcc_lo, 0x2000, v3
	v_add_co_ci_u32_e32 v4, vcc_lo, 0, v4, vcc_lo
	s_waitcnt vmcnt(0)
	v_fmac_f32_e32 v1, v13, v11
	v_fmac_f32_e32 v2, v14, v11
	s_delay_alu instid0(VALU_DEP_2) | instskip(NEXT) | instid1(VALU_DEP_2)
	v_fma_f32 v1, -v14, v12, v1
	v_fmac_f32_e32 v2, v13, v12
	s_cbranch_scc1 .LBB47_12
.LBB47_13:
	v_lshlrev_b32_e32 v3, 3, v0
	s_and_b32 vcc_lo, exec_lo, s11
	ds_store_b64 v3, v[1:2]
	s_waitcnt lgkmcnt(0)
	s_barrier
	buffer_gl0_inv
	s_cbranch_vccz .LBB47_28
; %bb.14:
	s_mov_b32 s0, exec_lo
	v_cmpx_gt_u32_e32 16, v9
	s_cbranch_execz .LBB47_16
; %bb.15:
	ds_load_2addr_b64 v[10:13], v3 offset1:16
	s_waitcnt lgkmcnt(0)
	v_dual_add_f32 v10, v12, v10 :: v_dual_add_f32 v11, v13, v11
	ds_store_b64 v3, v[10:11]
.LBB47_16:
	s_or_b32 exec_lo, exec_lo, s0
	s_delay_alu instid0(SALU_CYCLE_1)
	s_mov_b32 s0, exec_lo
	s_waitcnt lgkmcnt(0)
	s_barrier
	buffer_gl0_inv
	v_cmpx_gt_u32_e32 8, v9
	s_cbranch_execz .LBB47_18
; %bb.17:
	ds_load_2addr_b64 v[10:13], v3 offset1:8
	s_waitcnt lgkmcnt(0)
	v_dual_add_f32 v10, v12, v10 :: v_dual_add_f32 v11, v13, v11
	ds_store_b64 v3, v[10:11]
.LBB47_18:
	s_or_b32 exec_lo, exec_lo, s0
	s_delay_alu instid0(SALU_CYCLE_1)
	s_mov_b32 s0, exec_lo
	s_waitcnt lgkmcnt(0)
	s_barrier
	buffer_gl0_inv
	;; [unrolled: 14-line block ×3, first 2 shown]
	v_cmpx_gt_u32_e32 2, v9
	s_cbranch_execz .LBB47_22
; %bb.21:
	ds_load_2addr_b64 v[9:12], v3 offset1:2
	s_waitcnt lgkmcnt(0)
	v_dual_add_f32 v9, v11, v9 :: v_dual_add_f32 v10, v12, v10
	ds_store_b64 v3, v[9:10]
.LBB47_22:
	s_or_b32 exec_lo, exec_lo, s0
	s_mov_b32 s1, 0
	s_mov_b32 s0, 0
	s_mov_b32 s4, exec_lo
	s_waitcnt lgkmcnt(0)
	s_barrier
	buffer_gl0_inv
                                        ; implicit-def: $vgpr9
                                        ; implicit-def: $vgpr4
	v_cmpx_gt_u32_e32 32, v0
	s_xor_b32 s4, exec_lo, s4
; %bb.23:
	v_mad_u32_u24 v9, 0xf8, v0, v3
	v_lshl_or_b32 v4, v0, 5, 1
	s_mov_b32 s0, exec_lo
; %bb.24:
	s_or_b32 exec_lo, exec_lo, s4
	s_delay_alu instid0(SALU_CYCLE_1)
	s_and_b32 vcc_lo, exec_lo, s1
	s_cbranch_vccnz .LBB47_29
	s_branch .LBB47_40
.LBB47_25:
	v_dual_mov_b32 v1, s4 :: v_dual_mov_b32 v2, s5
	flat_load_b32 v7, v[1:2]
	v_cndmask_b32_e64 v1, 0, 1, s6
	v_mov_b32_e32 v8, s5
	s_and_not1_b32 vcc_lo, exec_lo, s6
	s_cbranch_vccnz .LBB47_2
.LBB47_26:
	v_dual_mov_b32 v2, s4 :: v_dual_mov_b32 v3, s5
	flat_load_b32 v8, v[2:3] offset:4
	v_cmp_ne_u32_e32 vcc_lo, 1, v1
	v_mov_b32_e32 v5, s2
	s_cbranch_vccnz .LBB47_3
.LBB47_27:
	v_dual_mov_b32 v2, s2 :: v_dual_mov_b32 v3, s3
	flat_load_b32 v5, v[2:3]
	v_cmp_ne_u32_e32 vcc_lo, 1, v1
	v_mov_b32_e32 v6, s3
	s_cbranch_vccz .LBB47_4
	s_branch .LBB47_5
.LBB47_28:
	s_mov_b32 s0, 0
                                        ; implicit-def: $vgpr9
                                        ; implicit-def: $vgpr4
	s_cbranch_execz .LBB47_40
.LBB47_29:
	s_mov_b32 s1, exec_lo
	v_cmpx_gt_u32_e32 0x200, v0
	s_cbranch_execz .LBB47_31
; %bb.30:
	ds_load_2addr_stride64_b64 v[9:12], v3 offset1:8
	s_waitcnt lgkmcnt(0)
	v_dual_add_f32 v9, v11, v9 :: v_dual_add_f32 v10, v12, v10
	ds_store_b64 v3, v[9:10]
.LBB47_31:
	s_or_b32 exec_lo, exec_lo, s1
	s_delay_alu instid0(SALU_CYCLE_1)
	s_mov_b32 s1, exec_lo
	s_waitcnt lgkmcnt(0)
	s_barrier
	buffer_gl0_inv
	v_cmpx_gt_u32_e32 0x100, v0
	s_cbranch_execz .LBB47_33
; %bb.32:
	ds_load_2addr_stride64_b64 v[9:12], v3 offset1:4
	s_waitcnt lgkmcnt(0)
	v_dual_add_f32 v9, v11, v9 :: v_dual_add_f32 v10, v12, v10
	ds_store_b64 v3, v[9:10]
.LBB47_33:
	s_or_b32 exec_lo, exec_lo, s1
	s_delay_alu instid0(SALU_CYCLE_1)
	s_mov_b32 s1, exec_lo
	s_waitcnt lgkmcnt(0)
	s_barrier
	buffer_gl0_inv
	;; [unrolled: 14-line block ×3, first 2 shown]
	v_cmpx_gt_u32_e32 64, v0
	s_cbranch_execz .LBB47_37
; %bb.36:
	ds_load_2addr_stride64_b64 v[9:12], v3 offset1:1
	s_waitcnt lgkmcnt(0)
	v_dual_add_f32 v9, v11, v9 :: v_dual_add_f32 v10, v12, v10
	ds_store_b64 v3, v[9:10]
.LBB47_37:
	s_or_b32 exec_lo, exec_lo, s1
	s_delay_alu instid0(SALU_CYCLE_1)
	s_mov_b32 s1, exec_lo
	s_waitcnt lgkmcnt(0)
	buffer_gl0_inv
                                        ; implicit-def: $vgpr4
	v_cmpx_gt_u32_e32 32, v0
; %bb.38:
	v_or_b32_e32 v4, 32, v0
	s_or_b32 s0, s0, exec_lo
                                        ; implicit-def: $vgpr2
; %bb.39:
	s_or_b32 exec_lo, exec_lo, s1
	v_mov_b32_e32 v9, v3
.LBB47_40:
	s_and_saveexec_b32 s1, s0
	s_cbranch_execnz .LBB47_43
; %bb.41:
	s_or_b32 exec_lo, exec_lo, s1
	v_cmp_gt_u32_e32 vcc_lo, 32, v0
	s_and_b32 exec_lo, exec_lo, vcc_lo
	s_cbranch_execnz .LBB47_44
.LBB47_42:
	s_nop 0
	s_sendmsg sendmsg(MSG_DEALLOC_VGPRS)
	s_endpgm
.LBB47_43:
	v_lshlrev_b32_e32 v3, 3, v4
	ds_load_2addr_b32 v[1:2], v9 offset1:1
	ds_load_b64 v[3:4], v3
	s_waitcnt lgkmcnt(0)
	v_dual_add_f32 v2, v4, v2 :: v_dual_add_f32 v1, v3, v1
	s_or_b32 exec_lo, exec_lo, s1
	v_cmp_gt_u32_e32 vcc_lo, 32, v0
	s_and_b32 exec_lo, exec_lo, vcc_lo
	s_cbranch_execz .LBB47_42
.LBB47_44:
	v_mul_f32_e64 v3, v2, -v8
	v_mul_f32_e32 v4, v2, v7
	v_cmp_eq_f32_e32 vcc_lo, 0, v5
	v_cmp_eq_f32_e64 s0, 0, v6
	v_lshl_or_b32 v0, s8, 5, v0
	v_fmac_f32_e32 v3, v7, v1
	v_fmac_f32_e32 v4, v8, v1
	s_delay_alu instid0(VALU_DEP_4) | instskip(NEXT) | instid1(SALU_CYCLE_1)
	s_and_b32 s0, vcc_lo, s0
	s_and_saveexec_b32 s1, s0
	s_delay_alu instid0(SALU_CYCLE_1)
	s_xor_b32 s0, exec_lo, s1
	s_cbranch_execz .LBB47_46
; %bb.45:
	v_mov_b32_e32 v1, 0
                                        ; implicit-def: $vgpr5
                                        ; implicit-def: $vgpr6
	s_delay_alu instid0(VALU_DEP_1) | instskip(NEXT) | instid1(VALU_DEP_1)
	v_lshlrev_b64 v[0:1], 3, v[0:1]
	v_add_co_u32 v0, vcc_lo, s2, v0
	s_delay_alu instid0(VALU_DEP_2)
	v_add_co_ci_u32_e32 v1, vcc_lo, s3, v1, vcc_lo
	global_store_b64 v[0:1], v[3:4], off
                                        ; implicit-def: $vgpr0
                                        ; implicit-def: $vgpr3
.LBB47_46:
	s_and_not1_saveexec_b32 s0, s0
	s_cbranch_execz .LBB47_42
; %bb.47:
	v_mov_b32_e32 v1, 0
	s_delay_alu instid0(VALU_DEP_1) | instskip(NEXT) | instid1(VALU_DEP_1)
	v_lshlrev_b64 v[0:1], 3, v[0:1]
	v_add_co_u32 v0, vcc_lo, s2, v0
	s_delay_alu instid0(VALU_DEP_2) | instskip(SKIP_4) | instid1(VALU_DEP_2)
	v_add_co_ci_u32_e32 v1, vcc_lo, s3, v1, vcc_lo
	global_load_b64 v[7:8], v[0:1], off
	s_waitcnt vmcnt(0)
	v_fmac_f32_e32 v4, v6, v7
	v_fmac_f32_e32 v3, v5, v7
	;; [unrolled: 1-line block ×3, first 2 shown]
	s_delay_alu instid0(VALU_DEP_2)
	v_fma_f32 v3, -v6, v8, v3
	global_store_b64 v[0:1], v[3:4], off
	s_nop 0
	s_sendmsg sendmsg(MSG_DEALLOC_VGPRS)
	s_endpgm
	.section	.rodata,"a",@progbits
	.p2align	6, 0x0
	.amdhsa_kernel _ZN9rocsparseL20bsrxmvn_17_32_kernelILj32E21rocsparse_complex_numIfEiiS2_S2_S2_EEvT2_20rocsparse_direction_NS_24const_host_device_scalarIT0_EES3_PKS3_PKT1_SC_S9_PKT3_PKT4_S7_PT5_21rocsparse_index_base_b
		.amdhsa_group_segment_fixed_size 8192
		.amdhsa_private_segment_fixed_size 0
		.amdhsa_kernarg_size 96
		.amdhsa_user_sgpr_count 15
		.amdhsa_user_sgpr_dispatch_ptr 0
		.amdhsa_user_sgpr_queue_ptr 0
		.amdhsa_user_sgpr_kernarg_segment_ptr 1
		.amdhsa_user_sgpr_dispatch_id 0
		.amdhsa_user_sgpr_private_segment_size 0
		.amdhsa_wavefront_size32 1
		.amdhsa_uses_dynamic_stack 0
		.amdhsa_enable_private_segment 0
		.amdhsa_system_sgpr_workgroup_id_x 1
		.amdhsa_system_sgpr_workgroup_id_y 0
		.amdhsa_system_sgpr_workgroup_id_z 0
		.amdhsa_system_sgpr_workgroup_info 0
		.amdhsa_system_vgpr_workitem_id 0
		.amdhsa_next_free_vgpr 15
		.amdhsa_next_free_sgpr 20
		.amdhsa_reserve_vcc 1
		.amdhsa_float_round_mode_32 0
		.amdhsa_float_round_mode_16_64 0
		.amdhsa_float_denorm_mode_32 3
		.amdhsa_float_denorm_mode_16_64 3
		.amdhsa_dx10_clamp 1
		.amdhsa_ieee_mode 1
		.amdhsa_fp16_overflow 0
		.amdhsa_workgroup_processor_mode 1
		.amdhsa_memory_ordered 1
		.amdhsa_forward_progress 0
		.amdhsa_shared_vgpr_count 0
		.amdhsa_exception_fp_ieee_invalid_op 0
		.amdhsa_exception_fp_denorm_src 0
		.amdhsa_exception_fp_ieee_div_zero 0
		.amdhsa_exception_fp_ieee_overflow 0
		.amdhsa_exception_fp_ieee_underflow 0
		.amdhsa_exception_fp_ieee_inexact 0
		.amdhsa_exception_int_div_zero 0
	.end_amdhsa_kernel
	.section	.text._ZN9rocsparseL20bsrxmvn_17_32_kernelILj32E21rocsparse_complex_numIfEiiS2_S2_S2_EEvT2_20rocsparse_direction_NS_24const_host_device_scalarIT0_EES3_PKS3_PKT1_SC_S9_PKT3_PKT4_S7_PT5_21rocsparse_index_base_b,"axG",@progbits,_ZN9rocsparseL20bsrxmvn_17_32_kernelILj32E21rocsparse_complex_numIfEiiS2_S2_S2_EEvT2_20rocsparse_direction_NS_24const_host_device_scalarIT0_EES3_PKS3_PKT1_SC_S9_PKT3_PKT4_S7_PT5_21rocsparse_index_base_b,comdat
.Lfunc_end47:
	.size	_ZN9rocsparseL20bsrxmvn_17_32_kernelILj32E21rocsparse_complex_numIfEiiS2_S2_S2_EEvT2_20rocsparse_direction_NS_24const_host_device_scalarIT0_EES3_PKS3_PKT1_SC_S9_PKT3_PKT4_S7_PT5_21rocsparse_index_base_b, .Lfunc_end47-_ZN9rocsparseL20bsrxmvn_17_32_kernelILj32E21rocsparse_complex_numIfEiiS2_S2_S2_EEvT2_20rocsparse_direction_NS_24const_host_device_scalarIT0_EES3_PKS3_PKT1_SC_S9_PKT3_PKT4_S7_PT5_21rocsparse_index_base_b
                                        ; -- End function
	.section	.AMDGPU.csdata,"",@progbits
; Kernel info:
; codeLenInByte = 1644
; NumSgprs: 22
; NumVgprs: 15
; ScratchSize: 0
; MemoryBound: 0
; FloatMode: 240
; IeeeMode: 1
; LDSByteSize: 8192 bytes/workgroup (compile time only)
; SGPRBlocks: 2
; VGPRBlocks: 1
; NumSGPRsForWavesPerEU: 22
; NumVGPRsForWavesPerEU: 15
; Occupancy: 16
; WaveLimiterHint : 1
; COMPUTE_PGM_RSRC2:SCRATCH_EN: 0
; COMPUTE_PGM_RSRC2:USER_SGPR: 15
; COMPUTE_PGM_RSRC2:TRAP_HANDLER: 0
; COMPUTE_PGM_RSRC2:TGID_X_EN: 1
; COMPUTE_PGM_RSRC2:TGID_Y_EN: 0
; COMPUTE_PGM_RSRC2:TGID_Z_EN: 0
; COMPUTE_PGM_RSRC2:TIDIG_COMP_CNT: 0
	.section	.text._ZN9rocsparseL20bsrxmvn_17_32_kernelILj17E21rocsparse_complex_numIdEiiS2_S2_S2_EEvT2_20rocsparse_direction_NS_24const_host_device_scalarIT0_EES3_PKS3_PKT1_SC_S9_PKT3_PKT4_S7_PT5_21rocsparse_index_base_b,"axG",@progbits,_ZN9rocsparseL20bsrxmvn_17_32_kernelILj17E21rocsparse_complex_numIdEiiS2_S2_S2_EEvT2_20rocsparse_direction_NS_24const_host_device_scalarIT0_EES3_PKS3_PKT1_SC_S9_PKT3_PKT4_S7_PT5_21rocsparse_index_base_b,comdat
	.globl	_ZN9rocsparseL20bsrxmvn_17_32_kernelILj17E21rocsparse_complex_numIdEiiS2_S2_S2_EEvT2_20rocsparse_direction_NS_24const_host_device_scalarIT0_EES3_PKS3_PKT1_SC_S9_PKT3_PKT4_S7_PT5_21rocsparse_index_base_b ; -- Begin function _ZN9rocsparseL20bsrxmvn_17_32_kernelILj17E21rocsparse_complex_numIdEiiS2_S2_S2_EEvT2_20rocsparse_direction_NS_24const_host_device_scalarIT0_EES3_PKS3_PKT1_SC_S9_PKT3_PKT4_S7_PT5_21rocsparse_index_base_b
	.p2align	8
	.type	_ZN9rocsparseL20bsrxmvn_17_32_kernelILj17E21rocsparse_complex_numIdEiiS2_S2_S2_EEvT2_20rocsparse_direction_NS_24const_host_device_scalarIT0_EES3_PKS3_PKT1_SC_S9_PKT3_PKT4_S7_PT5_21rocsparse_index_base_b,@function
_ZN9rocsparseL20bsrxmvn_17_32_kernelILj17E21rocsparse_complex_numIdEiiS2_S2_S2_EEvT2_20rocsparse_direction_NS_24const_host_device_scalarIT0_EES3_PKS3_PKT1_SC_S9_PKT3_PKT4_S7_PT5_21rocsparse_index_base_b: ; @_ZN9rocsparseL20bsrxmvn_17_32_kernelILj17E21rocsparse_complex_numIdEiiS2_S2_S2_EEvT2_20rocsparse_direction_NS_24const_host_device_scalarIT0_EES3_PKS3_PKT1_SC_S9_PKT3_PKT4_S7_PT5_21rocsparse_index_base_b
; %bb.0:
	s_mov_b32 s12, s15
	s_clause 0x1
	s_load_b64 s[14:15], s[2:3], 0x68
	s_load_b128 s[4:7], s[2:3], 0x8
	s_load_b64 s[16:17], s[0:1], 0x4
	s_mov_b64 s[0:1], src_shared_base
	v_and_b32_e32 v4, 0x3ff, v0
	s_load_b128 s[8:11], s[2:3], 0x50
	v_bfe_u32 v2, v0, 10, 10
	v_bfe_u32 v0, v0, 20, 10
	s_waitcnt lgkmcnt(0)
	s_bitcmp1_b32 s15, 0
	v_mov_b32_e32 v12, s7
	s_cselect_b32 s0, -1, 0
	v_mov_b32_e32 v11, s6
	s_and_b32 vcc_lo, s0, exec_lo
	s_cselect_b32 s13, s1, s5
	s_lshr_b32 s15, s16, 16
	v_mov_b32_e32 v6, s13
	s_mul_i32 s15, s15, s17
	s_xor_b32 s6, s0, -1
	v_mul_lo_u32 v1, s15, v4
	s_delay_alu instid0(VALU_DEP_1) | instskip(SKIP_1) | instid1(VALU_DEP_2)
	v_mad_u32_u24 v1, v2, s17, v1
	v_dual_mov_b32 v2, s8 :: v_dual_mov_b32 v3, s9
	v_add_lshl_u32 v7, v1, v0, 3
	v_dual_mov_b32 v0, s4 :: v_dual_mov_b32 v1, s5
	ds_store_b64 v7, v[0:1] offset:6936
	ds_store_b64 v7, v[2:3] offset:4624
	v_add_nc_u32_e32 v5, 0x1b18, v7
	v_add_nc_u32_e32 v0, 0x1210, v7
	s_delay_alu instid0(VALU_DEP_2)
	v_cndmask_b32_e64 v5, s4, v5, s0
	flat_load_b64 v[9:10], v[5:6]
	s_cbranch_vccnz .LBB48_2
; %bb.1:
	v_dual_mov_b32 v1, s4 :: v_dual_mov_b32 v2, s5
	flat_load_b64 v[11:12], v[1:2] offset:8
.LBB48_2:
	s_and_b32 s4, s0, exec_lo
	s_cselect_b32 s1, s1, s9
	v_cndmask_b32_e64 v0, s8, v0, s0
	v_mov_b32_e32 v1, s1
	v_dual_mov_b32 v7, s10 :: v_dual_mov_b32 v8, s11
	s_and_not1_b32 vcc_lo, exec_lo, s6
	flat_load_b64 v[5:6], v[0:1]
	s_cbranch_vccnz .LBB48_4
; %bb.3:
	v_dual_mov_b32 v0, s8 :: v_dual_mov_b32 v1, s9
	flat_load_b64 v[7:8], v[0:1] offset:8
.LBB48_4:
	s_waitcnt vmcnt(1) lgkmcnt(1)
	v_cmp_eq_f64_e32 vcc_lo, 0, v[9:10]
	v_cmp_eq_f64_e64 s0, 0, v[11:12]
	s_delay_alu instid0(VALU_DEP_1)
	s_and_b32 s4, vcc_lo, s0
	s_mov_b32 s0, -1
	s_and_saveexec_b32 s1, s4
	s_cbranch_execz .LBB48_6
; %bb.5:
	s_waitcnt vmcnt(0) lgkmcnt(0)
	v_cmp_neq_f64_e32 vcc_lo, 1.0, v[5:6]
	v_cmp_neq_f64_e64 s0, 0, v[7:8]
	s_delay_alu instid0(VALU_DEP_1) | instskip(NEXT) | instid1(SALU_CYCLE_1)
	s_or_b32 s0, vcc_lo, s0
	s_or_not1_b32 s0, s0, exec_lo
.LBB48_6:
	s_or_b32 exec_lo, exec_lo, s1
	s_and_saveexec_b32 s1, s0
	s_cbranch_execz .LBB48_43
; %bb.7:
	s_clause 0x1
	s_load_b128 s[4:7], s[2:3], 0x20
	s_load_b64 s[0:1], s[2:3], 0x30
	s_waitcnt lgkmcnt(0)
	s_cmp_eq_u64 s[4:5], 0
	s_cbranch_scc1 .LBB48_9
; %bb.8:
	s_ashr_i32 s13, s12, 31
	s_delay_alu instid0(SALU_CYCLE_1) | instskip(NEXT) | instid1(SALU_CYCLE_1)
	s_lshl_b64 s[8:9], s[12:13], 2
	s_add_u32 s4, s4, s8
	s_addc_u32 s5, s5, s9
	s_load_b32 s4, s[4:5], 0x0
	s_waitcnt lgkmcnt(0)
	s_sub_i32 s12, s4, s14
.LBB48_9:
	s_load_b32 s4, s[2:3], 0x4
	v_mul_u32_u24_e32 v0, 0xf10, v4
	v_mov_b32_e32 v2, 0
	v_dual_mov_b32 v3, 0 :: v_dual_lshlrev_b32 v18, 4, v4
	s_delay_alu instid0(VALU_DEP_3) | instskip(NEXT) | instid1(VALU_DEP_1)
	v_lshrrev_b32_e32 v13, 16, v0
	v_mul_lo_u16 v0, v13, 17
	s_delay_alu instid0(VALU_DEP_1) | instskip(NEXT) | instid1(VALU_DEP_4)
	v_sub_nc_u16 v19, v4, v0
	v_dual_mov_b32 v0, v2 :: v_dual_mov_b32 v1, v3
	s_waitcnt lgkmcnt(0)
	s_cmp_eq_u32 s4, 1
	s_cselect_b32 vcc_lo, -1, 0
	s_cmp_lg_u32 s4, 1
	s_cselect_b32 s10, -1, 0
	s_ashr_i32 s13, s12, 31
	s_delay_alu instid0(SALU_CYCLE_1) | instskip(NEXT) | instid1(SALU_CYCLE_1)
	s_lshl_b64 s[4:5], s[12:13], 2
	s_add_u32 s6, s6, s4
	s_addc_u32 s7, s7, s5
	s_add_u32 s8, s6, 4
	s_addc_u32 s9, s7, 0
	;; [unrolled: 2-line block ×3, first 2 shown]
	s_cmp_eq_u64 s[0:1], 0
	s_cselect_b32 s1, s9, s5
	s_cselect_b32 s0, s8, s4
	s_load_b32 s11, s[6:7], 0x0
	s_load_b32 s13, s[0:1], 0x0
	s_load_b64 s[8:9], s[2:3], 0x60
	s_waitcnt lgkmcnt(0)
	s_cmp_ge_i32 s11, s13
	s_cbranch_scc1 .LBB48_14
; %bb.10:
	v_mul_lo_u16 v0, v13, 31
	s_clause 0x1
	s_load_b128 s[4:7], s[2:3], 0x38
	s_load_b64 s[0:1], s[2:3], 0x48
	v_dual_mov_b32 v2, 0 :: v_dual_and_b32 v1, 0xffff, v4
	v_lshrrev_b16 v0, 9, v0
	s_sub_i32 s3, s11, s14
	s_sub_i32 s2, s13, s14
	s_delay_alu instid0(VALU_DEP_2) | instskip(SKIP_3) | instid1(VALU_DEP_2)
	v_mul_u32_u24_e32 v1, 0xe3, v1
	s_mul_i32 s13, s3, 0x1210
	v_mul_lo_u16 v0, v0, 17
	s_mul_hi_i32 s11, s3, 0x1210
	v_lshrrev_b32_e32 v20, 16, v1
	s_delay_alu instid0(VALU_DEP_2) | instskip(NEXT) | instid1(VALU_DEP_1)
	v_sub_nc_u16 v0, v13, v0
	v_dual_mov_b32 v3, 0 :: v_dual_and_b32 v0, 0xff, v0
	v_and_b32_e32 v15, 0xffff, v19
	s_waitcnt lgkmcnt(0)
	s_add_u32 s6, s6, s13
	s_addc_u32 s7, s7, s11
	v_add_co_u32 v13, s6, s6, v18
	v_dual_cndmask_b32 v15, v15, v0 :: v_dual_mov_b32 v0, v2
	v_add_co_ci_u32_e64 v14, null, s7, 0, s6
	v_mov_b32_e32 v1, v3
	s_set_inst_prefetch_distance 0x1
	s_branch .LBB48_12
	.p2align	6
.LBB48_11:                              ;   in Loop: Header=BB48_12 Depth=1
	s_or_b32 exec_lo, exec_lo, s6
	s_add_i32 s3, s3, 1
	s_delay_alu instid0(SALU_CYCLE_1)
	s_cmp_lt_i32 s3, s2
	s_cbranch_scc0 .LBB48_14
.LBB48_12:                              ; =>This Inner Loop Header: Depth=1
	v_add_nc_u32_e32 v16, s3, v20
	s_mov_b32 s6, exec_lo
	s_delay_alu instid0(VALU_DEP_1)
	v_cmpx_gt_i32_e64 s2, v16
	s_cbranch_execz .LBB48_11
; %bb.13:                               ;   in Loop: Header=BB48_12 Depth=1
	v_ashrrev_i32_e32 v17, 31, v16
	s_delay_alu instid0(VALU_DEP_1) | instskip(NEXT) | instid1(VALU_DEP_1)
	v_lshlrev_b64 v[16:17], 2, v[16:17]
	v_add_co_u32 v16, vcc_lo, s4, v16
	s_delay_alu instid0(VALU_DEP_2) | instskip(SKIP_3) | instid1(VALU_DEP_1)
	v_add_co_ci_u32_e32 v17, vcc_lo, s5, v17, vcc_lo
	global_load_b32 v16, v[16:17], off
	s_waitcnt vmcnt(0)
	v_subrev_nc_u32_e32 v21, s14, v16
	v_mad_u64_u32 v[16:17], null, v21, 17, v[15:16]
	s_delay_alu instid0(VALU_DEP_1) | instskip(NEXT) | instid1(VALU_DEP_1)
	v_ashrrev_i32_e32 v17, 31, v16
	v_lshlrev_b64 v[16:17], 4, v[16:17]
	s_delay_alu instid0(VALU_DEP_1) | instskip(NEXT) | instid1(VALU_DEP_2)
	v_add_co_u32 v16, vcc_lo, s0, v16
	v_add_co_ci_u32_e32 v17, vcc_lo, s1, v17, vcc_lo
	global_load_b128 v[21:24], v[13:14], off
	global_load_b128 v[25:28], v[16:17], off
	v_add_co_u32 v13, vcc_lo, 0x1210, v13
	v_add_co_ci_u32_e32 v14, vcc_lo, 0, v14, vcc_lo
	s_waitcnt vmcnt(0)
	v_fma_f64 v[0:1], v[21:22], v[25:26], v[0:1]
	v_fma_f64 v[2:3], v[23:24], v[25:26], v[2:3]
	s_delay_alu instid0(VALU_DEP_2) | instskip(NEXT) | instid1(VALU_DEP_2)
	v_fma_f64 v[0:1], -v[23:24], v[27:28], v[0:1]
	v_fma_f64 v[2:3], v[21:22], v[27:28], v[2:3]
	s_branch .LBB48_11
.LBB48_14:
	s_set_inst_prefetch_distance 0x2
	s_and_b32 vcc_lo, exec_lo, s10
	ds_store_b128 v18, v[0:3]
	s_waitcnt vmcnt(0) lgkmcnt(0)
	s_barrier
	buffer_gl0_inv
	s_cbranch_vccz .LBB48_26
; %bb.15:
	s_mov_b32 s0, exec_lo
	v_cmpx_eq_u16_e32 0, v19
	s_cbranch_execz .LBB48_17
; %bb.16:
	ds_load_b128 v[13:16], v18 offset:256
	ds_load_b128 v[20:23], v18
	s_waitcnt lgkmcnt(0)
	v_add_f64 v[13:14], v[13:14], v[20:21]
	v_add_f64 v[15:16], v[15:16], v[22:23]
	ds_store_b128 v18, v[13:16]
.LBB48_17:
	s_or_b32 exec_lo, exec_lo, s0
	s_delay_alu instid0(SALU_CYCLE_1)
	s_mov_b32 s0, exec_lo
	s_waitcnt lgkmcnt(0)
	s_barrier
	buffer_gl0_inv
	v_cmpx_gt_u16_e32 8, v19
	s_cbranch_execz .LBB48_19
; %bb.18:
	ds_load_b128 v[13:16], v18 offset:128
	ds_load_b128 v[20:23], v18
	s_waitcnt lgkmcnt(0)
	v_add_f64 v[13:14], v[13:14], v[20:21]
	v_add_f64 v[15:16], v[15:16], v[22:23]
	ds_store_b128 v18, v[13:16]
.LBB48_19:
	s_or_b32 exec_lo, exec_lo, s0
	s_delay_alu instid0(SALU_CYCLE_1)
	s_mov_b32 s0, exec_lo
	s_waitcnt lgkmcnt(0)
	s_barrier
	buffer_gl0_inv
	v_cmpx_gt_u16_e32 4, v19
	;; [unrolled: 16-line block ×3, first 2 shown]
	s_cbranch_execz .LBB48_23
; %bb.22:
	ds_load_b128 v[13:16], v18
	ds_load_b128 v[19:22], v18 offset:32
	s_waitcnt lgkmcnt(0)
	v_add_f64 v[13:14], v[19:20], v[13:14]
	v_add_f64 v[15:16], v[21:22], v[15:16]
	ds_store_b128 v18, v[13:16]
.LBB48_23:
	s_or_b32 exec_lo, exec_lo, s0
	v_dual_mov_b32 v16, v3 :: v_dual_mov_b32 v15, v2
	v_dual_mov_b32 v14, v1 :: v_dual_mov_b32 v13, v0
	s_mov_b32 s0, exec_lo
	s_waitcnt lgkmcnt(0)
	s_barrier
	buffer_gl0_inv
	v_cmpx_gt_u32_e32 17, v4
	s_cbranch_execz .LBB48_25
; %bb.24:
	v_mul_u32_u24_e32 v13, 17, v4
	s_delay_alu instid0(VALU_DEP_1)
	v_lshlrev_b32_e32 v17, 4, v13
	ds_load_b128 v[13:16], v17
	ds_load_b128 v[19:22], v17 offset:16
	s_waitcnt lgkmcnt(0)
	v_add_f64 v[13:14], v[19:20], v[13:14]
	v_add_f64 v[15:16], v[21:22], v[15:16]
.LBB48_25:
	s_or_b32 exec_lo, exec_lo, s0
	v_cmp_gt_u32_e64 s0, 17, v4
	s_branch .LBB48_38
.LBB48_26:
                                        ; implicit-def: $vgpr15_vgpr16
                                        ; implicit-def: $vgpr13_vgpr14
	v_cmp_gt_u32_e64 s0, 17, v4
	s_cbranch_execz .LBB48_38
; %bb.27:
	s_delay_alu instid0(VALU_DEP_1)
	s_and_saveexec_b32 s1, s0
	s_cbranch_execz .LBB48_29
; %bb.28:
	ds_load_b128 v[13:16], v18 offset:4352
	ds_load_b128 v[19:22], v18
	s_waitcnt lgkmcnt(0)
	v_add_f64 v[13:14], v[13:14], v[19:20]
	v_add_f64 v[15:16], v[15:16], v[21:22]
	ds_store_b128 v18, v[13:16]
.LBB48_29:
	s_or_b32 exec_lo, exec_lo, s1
	s_delay_alu instid0(SALU_CYCLE_1)
	s_mov_b32 s1, exec_lo
	s_waitcnt lgkmcnt(0)
	s_barrier
	buffer_gl0_inv
	v_cmpx_gt_u32_e32 0x88, v4
	s_cbranch_execz .LBB48_31
; %bb.30:
	ds_load_b128 v[13:16], v18 offset:2176
	ds_load_b128 v[19:22], v18
	s_waitcnt lgkmcnt(0)
	v_add_f64 v[13:14], v[13:14], v[19:20]
	v_add_f64 v[15:16], v[15:16], v[21:22]
	ds_store_b128 v18, v[13:16]
.LBB48_31:
	s_or_b32 exec_lo, exec_lo, s1
	s_delay_alu instid0(SALU_CYCLE_1)
	s_mov_b32 s1, exec_lo
	s_waitcnt lgkmcnt(0)
	s_barrier
	buffer_gl0_inv
	v_cmpx_gt_u32_e32 0x44, v4
	;; [unrolled: 16-line block ×3, first 2 shown]
	s_cbranch_execz .LBB48_35
; %bb.34:
	ds_load_b128 v[13:16], v18 offset:544
	ds_load_b128 v[19:22], v18
	s_waitcnt lgkmcnt(0)
	v_add_f64 v[13:14], v[13:14], v[19:20]
	v_add_f64 v[15:16], v[15:16], v[21:22]
	ds_store_b128 v18, v[13:16]
.LBB48_35:
	s_or_b32 exec_lo, exec_lo, s1
	s_waitcnt lgkmcnt(0)
	buffer_gl0_inv
	s_and_saveexec_b32 s1, s0
	s_cbranch_execz .LBB48_37
; %bb.36:
	ds_load_b128 v[0:3], v18 offset:272
	ds_load_b128 v[13:16], v18
	s_waitcnt lgkmcnt(0)
	v_add_f64 v[0:1], v[0:1], v[13:14]
	v_add_f64 v[2:3], v[2:3], v[15:16]
.LBB48_37:
	s_or_b32 exec_lo, exec_lo, s1
	s_delay_alu instid0(VALU_DEP_1) | instskip(NEXT) | instid1(VALU_DEP_3)
	v_dual_mov_b32 v16, v3 :: v_dual_mov_b32 v15, v2
	v_dual_mov_b32 v14, v1 :: v_dual_mov_b32 v13, v0
.LBB48_38:
	v_cmp_gt_u32_e32 vcc_lo, 17, v4
	s_and_b32 exec_lo, exec_lo, vcc_lo
	s_cbranch_execz .LBB48_43
; %bb.39:
	s_delay_alu instid0(VALU_DEP_3) | instskip(SKIP_3) | instid1(VALU_DEP_4)
	v_mul_f64 v[0:1], v[15:16], -v[11:12]
	v_mul_f64 v[2:3], v[9:10], v[15:16]
	v_cmp_eq_f64_e32 vcc_lo, 0, v[5:6]
	v_cmp_eq_f64_e64 s0, 0, v[7:8]
	v_fma_f64 v[0:1], v[9:10], v[13:14], v[0:1]
	s_delay_alu instid0(VALU_DEP_4) | instskip(NEXT) | instid1(VALU_DEP_3)
	v_fma_f64 v[2:3], v[11:12], v[13:14], v[2:3]
	s_and_b32 s0, vcc_lo, s0
	s_delay_alu instid0(SALU_CYCLE_1) | instskip(NEXT) | instid1(SALU_CYCLE_1)
	s_and_saveexec_b32 s1, s0
	s_xor_b32 s0, exec_lo, s1
	s_cbranch_execz .LBB48_41
; %bb.40:
	v_mad_u64_u32 v[5:6], null, s12, 17, v[4:5]
	v_mov_b32_e32 v6, 0
                                        ; implicit-def: $vgpr7_vgpr8
	s_delay_alu instid0(VALU_DEP_1) | instskip(NEXT) | instid1(VALU_DEP_1)
	v_lshlrev_b64 v[4:5], 4, v[5:6]
	v_add_co_u32 v4, vcc_lo, s8, v4
	s_delay_alu instid0(VALU_DEP_2)
	v_add_co_ci_u32_e32 v5, vcc_lo, s9, v5, vcc_lo
	global_store_b128 v[4:5], v[0:3], off
                                        ; implicit-def: $vgpr4
                                        ; implicit-def: $vgpr5_vgpr6
                                        ; implicit-def: $vgpr0_vgpr1
.LBB48_41:
	s_and_not1_saveexec_b32 s0, s0
	s_cbranch_execz .LBB48_43
; %bb.42:
	v_mad_u64_u32 v[9:10], null, s12, 17, v[4:5]
	v_mov_b32_e32 v10, 0
	s_delay_alu instid0(VALU_DEP_1) | instskip(NEXT) | instid1(VALU_DEP_1)
	v_lshlrev_b64 v[9:10], 4, v[9:10]
	v_add_co_u32 v13, vcc_lo, s8, v9
	s_delay_alu instid0(VALU_DEP_2) | instskip(SKIP_4) | instid1(VALU_DEP_2)
	v_add_co_ci_u32_e32 v14, vcc_lo, s9, v10, vcc_lo
	global_load_b128 v[9:12], v[13:14], off
	s_waitcnt vmcnt(0)
	v_fma_f64 v[0:1], v[5:6], v[9:10], v[0:1]
	v_fma_f64 v[2:3], v[7:8], v[9:10], v[2:3]
	v_fma_f64 v[0:1], -v[7:8], v[11:12], v[0:1]
	s_delay_alu instid0(VALU_DEP_2)
	v_fma_f64 v[2:3], v[5:6], v[11:12], v[2:3]
	global_store_b128 v[13:14], v[0:3], off
.LBB48_43:
	s_nop 0
	s_sendmsg sendmsg(MSG_DEALLOC_VGPRS)
	s_endpgm
	.section	.rodata,"a",@progbits
	.p2align	6, 0x0
	.amdhsa_kernel _ZN9rocsparseL20bsrxmvn_17_32_kernelILj17E21rocsparse_complex_numIdEiiS2_S2_S2_EEvT2_20rocsparse_direction_NS_24const_host_device_scalarIT0_EES3_PKS3_PKT1_SC_S9_PKT3_PKT4_S7_PT5_21rocsparse_index_base_b
		.amdhsa_group_segment_fixed_size 9248
		.amdhsa_private_segment_fixed_size 0
		.amdhsa_kernarg_size 112
		.amdhsa_user_sgpr_count 15
		.amdhsa_user_sgpr_dispatch_ptr 1
		.amdhsa_user_sgpr_queue_ptr 0
		.amdhsa_user_sgpr_kernarg_segment_ptr 1
		.amdhsa_user_sgpr_dispatch_id 0
		.amdhsa_user_sgpr_private_segment_size 0
		.amdhsa_wavefront_size32 1
		.amdhsa_uses_dynamic_stack 0
		.amdhsa_enable_private_segment 0
		.amdhsa_system_sgpr_workgroup_id_x 1
		.amdhsa_system_sgpr_workgroup_id_y 0
		.amdhsa_system_sgpr_workgroup_id_z 0
		.amdhsa_system_sgpr_workgroup_info 0
		.amdhsa_system_vgpr_workitem_id 2
		.amdhsa_next_free_vgpr 29
		.amdhsa_next_free_sgpr 18
		.amdhsa_reserve_vcc 1
		.amdhsa_float_round_mode_32 0
		.amdhsa_float_round_mode_16_64 0
		.amdhsa_float_denorm_mode_32 3
		.amdhsa_float_denorm_mode_16_64 3
		.amdhsa_dx10_clamp 1
		.amdhsa_ieee_mode 1
		.amdhsa_fp16_overflow 0
		.amdhsa_workgroup_processor_mode 1
		.amdhsa_memory_ordered 1
		.amdhsa_forward_progress 0
		.amdhsa_shared_vgpr_count 0
		.amdhsa_exception_fp_ieee_invalid_op 0
		.amdhsa_exception_fp_denorm_src 0
		.amdhsa_exception_fp_ieee_div_zero 0
		.amdhsa_exception_fp_ieee_overflow 0
		.amdhsa_exception_fp_ieee_underflow 0
		.amdhsa_exception_fp_ieee_inexact 0
		.amdhsa_exception_int_div_zero 0
	.end_amdhsa_kernel
	.section	.text._ZN9rocsparseL20bsrxmvn_17_32_kernelILj17E21rocsparse_complex_numIdEiiS2_S2_S2_EEvT2_20rocsparse_direction_NS_24const_host_device_scalarIT0_EES3_PKS3_PKT1_SC_S9_PKT3_PKT4_S7_PT5_21rocsparse_index_base_b,"axG",@progbits,_ZN9rocsparseL20bsrxmvn_17_32_kernelILj17E21rocsparse_complex_numIdEiiS2_S2_S2_EEvT2_20rocsparse_direction_NS_24const_host_device_scalarIT0_EES3_PKS3_PKT1_SC_S9_PKT3_PKT4_S7_PT5_21rocsparse_index_base_b,comdat
.Lfunc_end48:
	.size	_ZN9rocsparseL20bsrxmvn_17_32_kernelILj17E21rocsparse_complex_numIdEiiS2_S2_S2_EEvT2_20rocsparse_direction_NS_24const_host_device_scalarIT0_EES3_PKS3_PKT1_SC_S9_PKT3_PKT4_S7_PT5_21rocsparse_index_base_b, .Lfunc_end48-_ZN9rocsparseL20bsrxmvn_17_32_kernelILj17E21rocsparse_complex_numIdEiiS2_S2_S2_EEvT2_20rocsparse_direction_NS_24const_host_device_scalarIT0_EES3_PKS3_PKT1_SC_S9_PKT3_PKT4_S7_PT5_21rocsparse_index_base_b
                                        ; -- End function
	.section	.AMDGPU.csdata,"",@progbits
; Kernel info:
; codeLenInByte = 2076
; NumSgprs: 20
; NumVgprs: 29
; ScratchSize: 0
; MemoryBound: 0
; FloatMode: 240
; IeeeMode: 1
; LDSByteSize: 9248 bytes/workgroup (compile time only)
; SGPRBlocks: 2
; VGPRBlocks: 3
; NumSGPRsForWavesPerEU: 20
; NumVGPRsForWavesPerEU: 29
; Occupancy: 15
; WaveLimiterHint : 1
; COMPUTE_PGM_RSRC2:SCRATCH_EN: 0
; COMPUTE_PGM_RSRC2:USER_SGPR: 15
; COMPUTE_PGM_RSRC2:TRAP_HANDLER: 0
; COMPUTE_PGM_RSRC2:TGID_X_EN: 1
; COMPUTE_PGM_RSRC2:TGID_Y_EN: 0
; COMPUTE_PGM_RSRC2:TGID_Z_EN: 0
; COMPUTE_PGM_RSRC2:TIDIG_COMP_CNT: 2
	.section	.text._ZN9rocsparseL20bsrxmvn_17_32_kernelILj18E21rocsparse_complex_numIdEiiS2_S2_S2_EEvT2_20rocsparse_direction_NS_24const_host_device_scalarIT0_EES3_PKS3_PKT1_SC_S9_PKT3_PKT4_S7_PT5_21rocsparse_index_base_b,"axG",@progbits,_ZN9rocsparseL20bsrxmvn_17_32_kernelILj18E21rocsparse_complex_numIdEiiS2_S2_S2_EEvT2_20rocsparse_direction_NS_24const_host_device_scalarIT0_EES3_PKS3_PKT1_SC_S9_PKT3_PKT4_S7_PT5_21rocsparse_index_base_b,comdat
	.globl	_ZN9rocsparseL20bsrxmvn_17_32_kernelILj18E21rocsparse_complex_numIdEiiS2_S2_S2_EEvT2_20rocsparse_direction_NS_24const_host_device_scalarIT0_EES3_PKS3_PKT1_SC_S9_PKT3_PKT4_S7_PT5_21rocsparse_index_base_b ; -- Begin function _ZN9rocsparseL20bsrxmvn_17_32_kernelILj18E21rocsparse_complex_numIdEiiS2_S2_S2_EEvT2_20rocsparse_direction_NS_24const_host_device_scalarIT0_EES3_PKS3_PKT1_SC_S9_PKT3_PKT4_S7_PT5_21rocsparse_index_base_b
	.p2align	8
	.type	_ZN9rocsparseL20bsrxmvn_17_32_kernelILj18E21rocsparse_complex_numIdEiiS2_S2_S2_EEvT2_20rocsparse_direction_NS_24const_host_device_scalarIT0_EES3_PKS3_PKT1_SC_S9_PKT3_PKT4_S7_PT5_21rocsparse_index_base_b,@function
_ZN9rocsparseL20bsrxmvn_17_32_kernelILj18E21rocsparse_complex_numIdEiiS2_S2_S2_EEvT2_20rocsparse_direction_NS_24const_host_device_scalarIT0_EES3_PKS3_PKT1_SC_S9_PKT3_PKT4_S7_PT5_21rocsparse_index_base_b: ; @_ZN9rocsparseL20bsrxmvn_17_32_kernelILj18E21rocsparse_complex_numIdEiiS2_S2_S2_EEvT2_20rocsparse_direction_NS_24const_host_device_scalarIT0_EES3_PKS3_PKT1_SC_S9_PKT3_PKT4_S7_PT5_21rocsparse_index_base_b
; %bb.0:
	s_mov_b32 s12, s15
	s_clause 0x1
	s_load_b64 s[14:15], s[2:3], 0x68
	s_load_b128 s[4:7], s[2:3], 0x8
	s_load_b64 s[16:17], s[0:1], 0x4
	s_mov_b64 s[0:1], src_shared_base
	v_and_b32_e32 v4, 0x3ff, v0
	s_load_b128 s[8:11], s[2:3], 0x50
	v_bfe_u32 v2, v0, 10, 10
	v_bfe_u32 v0, v0, 20, 10
	s_waitcnt lgkmcnt(0)
	s_bitcmp1_b32 s15, 0
	v_mov_b32_e32 v12, s7
	s_cselect_b32 s0, -1, 0
	v_mov_b32_e32 v11, s6
	s_and_b32 vcc_lo, s0, exec_lo
	s_cselect_b32 s13, s1, s5
	s_lshr_b32 s15, s16, 16
	v_mov_b32_e32 v6, s13
	s_mul_i32 s15, s15, s17
	s_xor_b32 s6, s0, -1
	v_mul_lo_u32 v1, s15, v4
	s_delay_alu instid0(VALU_DEP_1) | instskip(SKIP_1) | instid1(VALU_DEP_2)
	v_mad_u32_u24 v1, v2, s17, v1
	v_dual_mov_b32 v2, s8 :: v_dual_mov_b32 v3, s9
	v_add_lshl_u32 v7, v1, v0, 3
	v_dual_mov_b32 v0, s4 :: v_dual_mov_b32 v1, s5
	ds_store_b64 v7, v[0:1] offset:7776
	ds_store_b64 v7, v[2:3] offset:5184
	v_add_nc_u32_e32 v5, 0x1e60, v7
	v_add_nc_u32_e32 v0, 0x1440, v7
	s_delay_alu instid0(VALU_DEP_2)
	v_cndmask_b32_e64 v5, s4, v5, s0
	flat_load_b64 v[9:10], v[5:6]
	s_cbranch_vccnz .LBB49_2
; %bb.1:
	v_dual_mov_b32 v1, s4 :: v_dual_mov_b32 v2, s5
	flat_load_b64 v[11:12], v[1:2] offset:8
.LBB49_2:
	s_and_b32 s4, s0, exec_lo
	s_cselect_b32 s1, s1, s9
	v_cndmask_b32_e64 v0, s8, v0, s0
	v_mov_b32_e32 v1, s1
	v_dual_mov_b32 v7, s10 :: v_dual_mov_b32 v8, s11
	s_and_not1_b32 vcc_lo, exec_lo, s6
	flat_load_b64 v[5:6], v[0:1]
	s_cbranch_vccnz .LBB49_4
; %bb.3:
	v_dual_mov_b32 v0, s8 :: v_dual_mov_b32 v1, s9
	flat_load_b64 v[7:8], v[0:1] offset:8
.LBB49_4:
	s_waitcnt vmcnt(1) lgkmcnt(1)
	v_cmp_eq_f64_e32 vcc_lo, 0, v[9:10]
	v_cmp_eq_f64_e64 s0, 0, v[11:12]
	s_delay_alu instid0(VALU_DEP_1)
	s_and_b32 s4, vcc_lo, s0
	s_mov_b32 s0, -1
	s_and_saveexec_b32 s1, s4
	s_cbranch_execz .LBB49_6
; %bb.5:
	s_waitcnt vmcnt(0) lgkmcnt(0)
	v_cmp_neq_f64_e32 vcc_lo, 1.0, v[5:6]
	v_cmp_neq_f64_e64 s0, 0, v[7:8]
	s_delay_alu instid0(VALU_DEP_1) | instskip(NEXT) | instid1(SALU_CYCLE_1)
	s_or_b32 s0, vcc_lo, s0
	s_or_not1_b32 s0, s0, exec_lo
.LBB49_6:
	s_or_b32 exec_lo, exec_lo, s1
	s_and_saveexec_b32 s1, s0
	s_cbranch_execz .LBB49_43
; %bb.7:
	s_clause 0x1
	s_load_b128 s[4:7], s[2:3], 0x20
	s_load_b64 s[0:1], s[2:3], 0x30
	s_waitcnt lgkmcnt(0)
	s_cmp_eq_u64 s[4:5], 0
	s_cbranch_scc1 .LBB49_9
; %bb.8:
	s_ashr_i32 s13, s12, 31
	s_delay_alu instid0(SALU_CYCLE_1) | instskip(NEXT) | instid1(SALU_CYCLE_1)
	s_lshl_b64 s[8:9], s[12:13], 2
	s_add_u32 s4, s4, s8
	s_addc_u32 s5, s5, s9
	s_load_b32 s4, s[4:5], 0x0
	s_waitcnt lgkmcnt(0)
	s_sub_i32 s12, s4, s14
.LBB49_9:
	s_load_b32 s4, s[2:3], 0x4
	v_mul_u32_u24_e32 v0, 0xe39, v4
	v_mov_b32_e32 v2, 0
	v_dual_mov_b32 v3, 0 :: v_dual_lshlrev_b32 v18, 4, v4
	s_delay_alu instid0(VALU_DEP_3) | instskip(NEXT) | instid1(VALU_DEP_1)
	v_lshrrev_b32_e32 v13, 16, v0
	v_mul_lo_u16 v0, v13, 18
	s_delay_alu instid0(VALU_DEP_1) | instskip(NEXT) | instid1(VALU_DEP_4)
	v_sub_nc_u16 v19, v4, v0
	v_dual_mov_b32 v0, v2 :: v_dual_mov_b32 v1, v3
	s_waitcnt lgkmcnt(0)
	s_cmp_eq_u32 s4, 1
	s_cselect_b32 vcc_lo, -1, 0
	s_cmp_lg_u32 s4, 1
	s_cselect_b32 s10, -1, 0
	s_ashr_i32 s13, s12, 31
	s_delay_alu instid0(SALU_CYCLE_1) | instskip(NEXT) | instid1(SALU_CYCLE_1)
	s_lshl_b64 s[4:5], s[12:13], 2
	s_add_u32 s6, s6, s4
	s_addc_u32 s7, s7, s5
	s_add_u32 s8, s6, 4
	s_addc_u32 s9, s7, 0
	;; [unrolled: 2-line block ×3, first 2 shown]
	s_cmp_eq_u64 s[0:1], 0
	s_cselect_b32 s1, s9, s5
	s_cselect_b32 s0, s8, s4
	s_load_b32 s11, s[6:7], 0x0
	s_load_b32 s13, s[0:1], 0x0
	s_load_b64 s[8:9], s[2:3], 0x60
	s_waitcnt lgkmcnt(0)
	s_cmp_ge_i32 s11, s13
	s_cbranch_scc1 .LBB49_14
; %bb.10:
	v_mul_lo_u16 v0, v13, 15
	s_clause 0x1
	s_load_b128 s[4:7], s[2:3], 0x38
	s_load_b64 s[0:1], s[2:3], 0x48
	v_dual_mov_b32 v2, 0 :: v_dual_and_b32 v1, 0xffff, v4
	v_lshrrev_b16 v0, 8, v0
	s_sub_i32 s3, s11, s14
	s_sub_i32 s2, s13, s14
	s_delay_alu instid0(VALU_DEP_2) | instskip(SKIP_3) | instid1(VALU_DEP_2)
	v_mul_u32_u24_e32 v1, 0x195, v1
	s_mul_i32 s13, s3, 0x1440
	v_mul_lo_u16 v0, v0, 18
	s_mul_hi_i32 s11, s3, 0x1440
	v_lshrrev_b32_e32 v20, 17, v1
	s_delay_alu instid0(VALU_DEP_2) | instskip(NEXT) | instid1(VALU_DEP_1)
	v_sub_nc_u16 v0, v13, v0
	v_dual_mov_b32 v3, 0 :: v_dual_and_b32 v0, 0xff, v0
	v_and_b32_e32 v15, 0xffff, v19
	s_waitcnt lgkmcnt(0)
	s_add_u32 s6, s6, s13
	s_addc_u32 s7, s7, s11
	v_add_co_u32 v13, s6, s6, v18
	v_dual_cndmask_b32 v15, v15, v0 :: v_dual_mov_b32 v0, v2
	v_add_co_ci_u32_e64 v14, null, s7, 0, s6
	v_mov_b32_e32 v1, v3
	s_set_inst_prefetch_distance 0x1
	s_branch .LBB49_12
	.p2align	6
.LBB49_11:                              ;   in Loop: Header=BB49_12 Depth=1
	s_or_b32 exec_lo, exec_lo, s6
	s_add_i32 s3, s3, 1
	s_delay_alu instid0(SALU_CYCLE_1)
	s_cmp_lt_i32 s3, s2
	s_cbranch_scc0 .LBB49_14
.LBB49_12:                              ; =>This Inner Loop Header: Depth=1
	v_add_nc_u32_e32 v16, s3, v20
	s_mov_b32 s6, exec_lo
	s_delay_alu instid0(VALU_DEP_1)
	v_cmpx_gt_i32_e64 s2, v16
	s_cbranch_execz .LBB49_11
; %bb.13:                               ;   in Loop: Header=BB49_12 Depth=1
	v_ashrrev_i32_e32 v17, 31, v16
	s_delay_alu instid0(VALU_DEP_1) | instskip(NEXT) | instid1(VALU_DEP_1)
	v_lshlrev_b64 v[16:17], 2, v[16:17]
	v_add_co_u32 v16, vcc_lo, s4, v16
	s_delay_alu instid0(VALU_DEP_2) | instskip(SKIP_3) | instid1(VALU_DEP_1)
	v_add_co_ci_u32_e32 v17, vcc_lo, s5, v17, vcc_lo
	global_load_b32 v16, v[16:17], off
	s_waitcnt vmcnt(0)
	v_subrev_nc_u32_e32 v21, s14, v16
	v_mad_u64_u32 v[16:17], null, v21, 18, v[15:16]
	s_delay_alu instid0(VALU_DEP_1) | instskip(NEXT) | instid1(VALU_DEP_1)
	v_ashrrev_i32_e32 v17, 31, v16
	v_lshlrev_b64 v[16:17], 4, v[16:17]
	s_delay_alu instid0(VALU_DEP_1) | instskip(NEXT) | instid1(VALU_DEP_2)
	v_add_co_u32 v16, vcc_lo, s0, v16
	v_add_co_ci_u32_e32 v17, vcc_lo, s1, v17, vcc_lo
	global_load_b128 v[21:24], v[13:14], off
	global_load_b128 v[25:28], v[16:17], off
	v_add_co_u32 v13, vcc_lo, 0x1440, v13
	v_add_co_ci_u32_e32 v14, vcc_lo, 0, v14, vcc_lo
	s_waitcnt vmcnt(0)
	v_fma_f64 v[0:1], v[21:22], v[25:26], v[0:1]
	v_fma_f64 v[2:3], v[23:24], v[25:26], v[2:3]
	s_delay_alu instid0(VALU_DEP_2) | instskip(NEXT) | instid1(VALU_DEP_2)
	v_fma_f64 v[0:1], -v[23:24], v[27:28], v[0:1]
	v_fma_f64 v[2:3], v[21:22], v[27:28], v[2:3]
	s_branch .LBB49_11
.LBB49_14:
	s_set_inst_prefetch_distance 0x2
	s_and_b32 vcc_lo, exec_lo, s10
	ds_store_b128 v18, v[0:3]
	s_waitcnt vmcnt(0) lgkmcnt(0)
	s_barrier
	buffer_gl0_inv
	s_cbranch_vccz .LBB49_26
; %bb.15:
	v_cmp_gt_u16_e32 vcc_lo, 2, v19
	s_and_saveexec_b32 s0, vcc_lo
	s_cbranch_execz .LBB49_17
; %bb.16:
	ds_load_b128 v[13:16], v18 offset:256
	ds_load_b128 v[20:23], v18
	s_waitcnt lgkmcnt(0)
	v_add_f64 v[13:14], v[13:14], v[20:21]
	v_add_f64 v[15:16], v[15:16], v[22:23]
	ds_store_b128 v18, v[13:16]
.LBB49_17:
	s_or_b32 exec_lo, exec_lo, s0
	s_delay_alu instid0(SALU_CYCLE_1)
	s_mov_b32 s1, exec_lo
	s_waitcnt lgkmcnt(0)
	s_barrier
	buffer_gl0_inv
	v_cmpx_gt_u16_e32 8, v19
	s_cbranch_execz .LBB49_19
; %bb.18:
	ds_load_b128 v[13:16], v18 offset:128
	ds_load_b128 v[20:23], v18
	s_waitcnt lgkmcnt(0)
	v_add_f64 v[13:14], v[13:14], v[20:21]
	v_add_f64 v[15:16], v[15:16], v[22:23]
	ds_store_b128 v18, v[13:16]
.LBB49_19:
	s_or_b32 exec_lo, exec_lo, s1
	s_delay_alu instid0(SALU_CYCLE_1)
	s_mov_b32 s1, exec_lo
	s_waitcnt lgkmcnt(0)
	s_barrier
	buffer_gl0_inv
	v_cmpx_gt_u16_e32 4, v19
	s_cbranch_execz .LBB49_21
; %bb.20:
	ds_load_b128 v[13:16], v18 offset:64
	ds_load_b128 v[19:22], v18
	s_waitcnt lgkmcnt(0)
	v_add_f64 v[13:14], v[13:14], v[19:20]
	v_add_f64 v[15:16], v[15:16], v[21:22]
	ds_store_b128 v18, v[13:16]
.LBB49_21:
	s_or_b32 exec_lo, exec_lo, s1
	s_waitcnt lgkmcnt(0)
	s_barrier
	buffer_gl0_inv
	s_and_saveexec_b32 s0, vcc_lo
	s_cbranch_execz .LBB49_23
; %bb.22:
	ds_load_b128 v[13:16], v18
	ds_load_b128 v[19:22], v18 offset:32
	s_waitcnt lgkmcnt(0)
	v_add_f64 v[13:14], v[19:20], v[13:14]
	v_add_f64 v[15:16], v[21:22], v[15:16]
	ds_store_b128 v18, v[13:16]
.LBB49_23:
	s_or_b32 exec_lo, exec_lo, s0
	v_dual_mov_b32 v16, v3 :: v_dual_mov_b32 v15, v2
	v_dual_mov_b32 v14, v1 :: v_dual_mov_b32 v13, v0
	s_mov_b32 s0, exec_lo
	s_waitcnt lgkmcnt(0)
	s_barrier
	buffer_gl0_inv
	v_cmpx_gt_u32_e32 18, v4
	s_cbranch_execz .LBB49_25
; %bb.24:
	v_mul_u32_u24_e32 v13, 18, v4
	s_delay_alu instid0(VALU_DEP_1)
	v_lshlrev_b32_e32 v17, 4, v13
	ds_load_b128 v[13:16], v17
	ds_load_b128 v[19:22], v17 offset:16
	s_waitcnt lgkmcnt(0)
	v_add_f64 v[13:14], v[19:20], v[13:14]
	v_add_f64 v[15:16], v[21:22], v[15:16]
.LBB49_25:
	s_or_b32 exec_lo, exec_lo, s0
	s_branch .LBB49_38
.LBB49_26:
                                        ; implicit-def: $vgpr15_vgpr16
                                        ; implicit-def: $vgpr13_vgpr14
	s_cbranch_execz .LBB49_38
; %bb.27:
	v_cmp_gt_u32_e32 vcc_lo, 36, v4
	s_and_saveexec_b32 s0, vcc_lo
	s_cbranch_execz .LBB49_29
; %bb.28:
	ds_load_b128 v[13:16], v18 offset:4608
	ds_load_b128 v[19:22], v18
	s_waitcnt lgkmcnt(0)
	v_add_f64 v[13:14], v[13:14], v[19:20]
	v_add_f64 v[15:16], v[15:16], v[21:22]
	ds_store_b128 v18, v[13:16]
.LBB49_29:
	s_or_b32 exec_lo, exec_lo, s0
	s_delay_alu instid0(SALU_CYCLE_1)
	s_mov_b32 s1, exec_lo
	s_waitcnt lgkmcnt(0)
	s_barrier
	buffer_gl0_inv
	v_cmpx_gt_u32_e32 0x90, v4
	s_cbranch_execz .LBB49_31
; %bb.30:
	ds_load_b128 v[13:16], v18 offset:2304
	ds_load_b128 v[19:22], v18
	s_waitcnt lgkmcnt(0)
	v_add_f64 v[13:14], v[13:14], v[19:20]
	v_add_f64 v[15:16], v[15:16], v[21:22]
	ds_store_b128 v18, v[13:16]
.LBB49_31:
	s_or_b32 exec_lo, exec_lo, s1
	s_delay_alu instid0(SALU_CYCLE_1)
	s_mov_b32 s1, exec_lo
	s_waitcnt lgkmcnt(0)
	s_barrier
	buffer_gl0_inv
	v_cmpx_gt_u32_e32 0x48, v4
	s_cbranch_execz .LBB49_33
; %bb.32:
	ds_load_b128 v[13:16], v18 offset:1152
	ds_load_b128 v[19:22], v18
	s_waitcnt lgkmcnt(0)
	v_add_f64 v[13:14], v[13:14], v[19:20]
	v_add_f64 v[15:16], v[15:16], v[21:22]
	ds_store_b128 v18, v[13:16]
.LBB49_33:
	s_or_b32 exec_lo, exec_lo, s1
	s_waitcnt lgkmcnt(0)
	s_barrier
	buffer_gl0_inv
	s_and_saveexec_b32 s0, vcc_lo
	s_cbranch_execz .LBB49_35
; %bb.34:
	ds_load_b128 v[13:16], v18 offset:576
	ds_load_b128 v[19:22], v18
	s_waitcnt lgkmcnt(0)
	v_add_f64 v[13:14], v[13:14], v[19:20]
	v_add_f64 v[15:16], v[15:16], v[21:22]
	ds_store_b128 v18, v[13:16]
.LBB49_35:
	s_or_b32 exec_lo, exec_lo, s0
	s_delay_alu instid0(SALU_CYCLE_1)
	s_mov_b32 s0, exec_lo
	s_waitcnt lgkmcnt(0)
	buffer_gl0_inv
	v_cmpx_gt_u32_e32 18, v4
	s_cbranch_execz .LBB49_37
; %bb.36:
	ds_load_b128 v[0:3], v18 offset:288
	ds_load_b128 v[13:16], v18
	s_waitcnt lgkmcnt(0)
	v_add_f64 v[0:1], v[0:1], v[13:14]
	v_add_f64 v[2:3], v[2:3], v[15:16]
.LBB49_37:
	s_or_b32 exec_lo, exec_lo, s0
	s_delay_alu instid0(VALU_DEP_1) | instskip(NEXT) | instid1(VALU_DEP_3)
	v_dual_mov_b32 v16, v3 :: v_dual_mov_b32 v15, v2
	v_dual_mov_b32 v14, v1 :: v_dual_mov_b32 v13, v0
.LBB49_38:
	v_cmp_gt_u32_e32 vcc_lo, 18, v4
	s_and_b32 exec_lo, exec_lo, vcc_lo
	s_cbranch_execz .LBB49_43
; %bb.39:
	s_delay_alu instid0(VALU_DEP_2) | instskip(SKIP_3) | instid1(VALU_DEP_4)
	v_mul_f64 v[0:1], v[15:16], -v[11:12]
	v_mul_f64 v[2:3], v[9:10], v[15:16]
	v_cmp_eq_f64_e32 vcc_lo, 0, v[5:6]
	v_cmp_eq_f64_e64 s0, 0, v[7:8]
	v_fma_f64 v[0:1], v[9:10], v[13:14], v[0:1]
	s_delay_alu instid0(VALU_DEP_4) | instskip(NEXT) | instid1(VALU_DEP_3)
	v_fma_f64 v[2:3], v[11:12], v[13:14], v[2:3]
	s_and_b32 s0, vcc_lo, s0
	s_delay_alu instid0(SALU_CYCLE_1) | instskip(NEXT) | instid1(SALU_CYCLE_1)
	s_and_saveexec_b32 s1, s0
	s_xor_b32 s0, exec_lo, s1
	s_cbranch_execz .LBB49_41
; %bb.40:
	v_mad_u64_u32 v[5:6], null, s12, 18, v[4:5]
	v_mov_b32_e32 v6, 0
                                        ; implicit-def: $vgpr7_vgpr8
	s_delay_alu instid0(VALU_DEP_1) | instskip(NEXT) | instid1(VALU_DEP_1)
	v_lshlrev_b64 v[4:5], 4, v[5:6]
	v_add_co_u32 v4, vcc_lo, s8, v4
	s_delay_alu instid0(VALU_DEP_2)
	v_add_co_ci_u32_e32 v5, vcc_lo, s9, v5, vcc_lo
	global_store_b128 v[4:5], v[0:3], off
                                        ; implicit-def: $vgpr4
                                        ; implicit-def: $vgpr5_vgpr6
                                        ; implicit-def: $vgpr0_vgpr1
.LBB49_41:
	s_and_not1_saveexec_b32 s0, s0
	s_cbranch_execz .LBB49_43
; %bb.42:
	v_mad_u64_u32 v[9:10], null, s12, 18, v[4:5]
	v_mov_b32_e32 v10, 0
	s_delay_alu instid0(VALU_DEP_1) | instskip(NEXT) | instid1(VALU_DEP_1)
	v_lshlrev_b64 v[9:10], 4, v[9:10]
	v_add_co_u32 v13, vcc_lo, s8, v9
	s_delay_alu instid0(VALU_DEP_2) | instskip(SKIP_4) | instid1(VALU_DEP_2)
	v_add_co_ci_u32_e32 v14, vcc_lo, s9, v10, vcc_lo
	global_load_b128 v[9:12], v[13:14], off
	s_waitcnt vmcnt(0)
	v_fma_f64 v[0:1], v[5:6], v[9:10], v[0:1]
	v_fma_f64 v[2:3], v[7:8], v[9:10], v[2:3]
	v_fma_f64 v[0:1], -v[7:8], v[11:12], v[0:1]
	s_delay_alu instid0(VALU_DEP_2)
	v_fma_f64 v[2:3], v[5:6], v[11:12], v[2:3]
	global_store_b128 v[13:14], v[0:3], off
.LBB49_43:
	s_nop 0
	s_sendmsg sendmsg(MSG_DEALLOC_VGPRS)
	s_endpgm
	.section	.rodata,"a",@progbits
	.p2align	6, 0x0
	.amdhsa_kernel _ZN9rocsparseL20bsrxmvn_17_32_kernelILj18E21rocsparse_complex_numIdEiiS2_S2_S2_EEvT2_20rocsparse_direction_NS_24const_host_device_scalarIT0_EES3_PKS3_PKT1_SC_S9_PKT3_PKT4_S7_PT5_21rocsparse_index_base_b
		.amdhsa_group_segment_fixed_size 10368
		.amdhsa_private_segment_fixed_size 0
		.amdhsa_kernarg_size 112
		.amdhsa_user_sgpr_count 15
		.amdhsa_user_sgpr_dispatch_ptr 1
		.amdhsa_user_sgpr_queue_ptr 0
		.amdhsa_user_sgpr_kernarg_segment_ptr 1
		.amdhsa_user_sgpr_dispatch_id 0
		.amdhsa_user_sgpr_private_segment_size 0
		.amdhsa_wavefront_size32 1
		.amdhsa_uses_dynamic_stack 0
		.amdhsa_enable_private_segment 0
		.amdhsa_system_sgpr_workgroup_id_x 1
		.amdhsa_system_sgpr_workgroup_id_y 0
		.amdhsa_system_sgpr_workgroup_id_z 0
		.amdhsa_system_sgpr_workgroup_info 0
		.amdhsa_system_vgpr_workitem_id 2
		.amdhsa_next_free_vgpr 29
		.amdhsa_next_free_sgpr 18
		.amdhsa_reserve_vcc 1
		.amdhsa_float_round_mode_32 0
		.amdhsa_float_round_mode_16_64 0
		.amdhsa_float_denorm_mode_32 3
		.amdhsa_float_denorm_mode_16_64 3
		.amdhsa_dx10_clamp 1
		.amdhsa_ieee_mode 1
		.amdhsa_fp16_overflow 0
		.amdhsa_workgroup_processor_mode 1
		.amdhsa_memory_ordered 1
		.amdhsa_forward_progress 0
		.amdhsa_shared_vgpr_count 0
		.amdhsa_exception_fp_ieee_invalid_op 0
		.amdhsa_exception_fp_denorm_src 0
		.amdhsa_exception_fp_ieee_div_zero 0
		.amdhsa_exception_fp_ieee_overflow 0
		.amdhsa_exception_fp_ieee_underflow 0
		.amdhsa_exception_fp_ieee_inexact 0
		.amdhsa_exception_int_div_zero 0
	.end_amdhsa_kernel
	.section	.text._ZN9rocsparseL20bsrxmvn_17_32_kernelILj18E21rocsparse_complex_numIdEiiS2_S2_S2_EEvT2_20rocsparse_direction_NS_24const_host_device_scalarIT0_EES3_PKS3_PKT1_SC_S9_PKT3_PKT4_S7_PT5_21rocsparse_index_base_b,"axG",@progbits,_ZN9rocsparseL20bsrxmvn_17_32_kernelILj18E21rocsparse_complex_numIdEiiS2_S2_S2_EEvT2_20rocsparse_direction_NS_24const_host_device_scalarIT0_EES3_PKS3_PKT1_SC_S9_PKT3_PKT4_S7_PT5_21rocsparse_index_base_b,comdat
.Lfunc_end49:
	.size	_ZN9rocsparseL20bsrxmvn_17_32_kernelILj18E21rocsparse_complex_numIdEiiS2_S2_S2_EEvT2_20rocsparse_direction_NS_24const_host_device_scalarIT0_EES3_PKS3_PKT1_SC_S9_PKT3_PKT4_S7_PT5_21rocsparse_index_base_b, .Lfunc_end49-_ZN9rocsparseL20bsrxmvn_17_32_kernelILj18E21rocsparse_complex_numIdEiiS2_S2_S2_EEvT2_20rocsparse_direction_NS_24const_host_device_scalarIT0_EES3_PKS3_PKT1_SC_S9_PKT3_PKT4_S7_PT5_21rocsparse_index_base_b
                                        ; -- End function
	.section	.AMDGPU.csdata,"",@progbits
; Kernel info:
; codeLenInByte = 2052
; NumSgprs: 20
; NumVgprs: 29
; ScratchSize: 0
; MemoryBound: 0
; FloatMode: 240
; IeeeMode: 1
; LDSByteSize: 10368 bytes/workgroup (compile time only)
; SGPRBlocks: 2
; VGPRBlocks: 3
; NumSGPRsForWavesPerEU: 20
; NumVGPRsForWavesPerEU: 29
; Occupancy: 14
; WaveLimiterHint : 1
; COMPUTE_PGM_RSRC2:SCRATCH_EN: 0
; COMPUTE_PGM_RSRC2:USER_SGPR: 15
; COMPUTE_PGM_RSRC2:TRAP_HANDLER: 0
; COMPUTE_PGM_RSRC2:TGID_X_EN: 1
; COMPUTE_PGM_RSRC2:TGID_Y_EN: 0
; COMPUTE_PGM_RSRC2:TGID_Z_EN: 0
; COMPUTE_PGM_RSRC2:TIDIG_COMP_CNT: 2
	.section	.text._ZN9rocsparseL20bsrxmvn_17_32_kernelILj19E21rocsparse_complex_numIdEiiS2_S2_S2_EEvT2_20rocsparse_direction_NS_24const_host_device_scalarIT0_EES3_PKS3_PKT1_SC_S9_PKT3_PKT4_S7_PT5_21rocsparse_index_base_b,"axG",@progbits,_ZN9rocsparseL20bsrxmvn_17_32_kernelILj19E21rocsparse_complex_numIdEiiS2_S2_S2_EEvT2_20rocsparse_direction_NS_24const_host_device_scalarIT0_EES3_PKS3_PKT1_SC_S9_PKT3_PKT4_S7_PT5_21rocsparse_index_base_b,comdat
	.globl	_ZN9rocsparseL20bsrxmvn_17_32_kernelILj19E21rocsparse_complex_numIdEiiS2_S2_S2_EEvT2_20rocsparse_direction_NS_24const_host_device_scalarIT0_EES3_PKS3_PKT1_SC_S9_PKT3_PKT4_S7_PT5_21rocsparse_index_base_b ; -- Begin function _ZN9rocsparseL20bsrxmvn_17_32_kernelILj19E21rocsparse_complex_numIdEiiS2_S2_S2_EEvT2_20rocsparse_direction_NS_24const_host_device_scalarIT0_EES3_PKS3_PKT1_SC_S9_PKT3_PKT4_S7_PT5_21rocsparse_index_base_b
	.p2align	8
	.type	_ZN9rocsparseL20bsrxmvn_17_32_kernelILj19E21rocsparse_complex_numIdEiiS2_S2_S2_EEvT2_20rocsparse_direction_NS_24const_host_device_scalarIT0_EES3_PKS3_PKT1_SC_S9_PKT3_PKT4_S7_PT5_21rocsparse_index_base_b,@function
_ZN9rocsparseL20bsrxmvn_17_32_kernelILj19E21rocsparse_complex_numIdEiiS2_S2_S2_EEvT2_20rocsparse_direction_NS_24const_host_device_scalarIT0_EES3_PKS3_PKT1_SC_S9_PKT3_PKT4_S7_PT5_21rocsparse_index_base_b: ; @_ZN9rocsparseL20bsrxmvn_17_32_kernelILj19E21rocsparse_complex_numIdEiiS2_S2_S2_EEvT2_20rocsparse_direction_NS_24const_host_device_scalarIT0_EES3_PKS3_PKT1_SC_S9_PKT3_PKT4_S7_PT5_21rocsparse_index_base_b
; %bb.0:
	s_mov_b32 s12, s15
	s_clause 0x1
	s_load_b64 s[14:15], s[2:3], 0x68
	s_load_b128 s[4:7], s[2:3], 0x8
	s_load_b64 s[16:17], s[0:1], 0x4
	s_mov_b64 s[0:1], src_shared_base
	v_and_b32_e32 v4, 0x3ff, v0
	s_load_b128 s[8:11], s[2:3], 0x50
	v_bfe_u32 v2, v0, 10, 10
	v_bfe_u32 v0, v0, 20, 10
	s_waitcnt lgkmcnt(0)
	s_bitcmp1_b32 s15, 0
	v_mov_b32_e32 v12, s7
	s_cselect_b32 s0, -1, 0
	v_mov_b32_e32 v11, s6
	s_and_b32 vcc_lo, s0, exec_lo
	s_cselect_b32 s13, s1, s5
	s_lshr_b32 s15, s16, 16
	v_mov_b32_e32 v6, s13
	s_mul_i32 s15, s15, s17
	s_xor_b32 s6, s0, -1
	v_mul_lo_u32 v1, s15, v4
	s_delay_alu instid0(VALU_DEP_1) | instskip(SKIP_1) | instid1(VALU_DEP_2)
	v_mad_u32_u24 v1, v2, s17, v1
	v_dual_mov_b32 v2, s8 :: v_dual_mov_b32 v3, s9
	v_add_lshl_u32 v7, v1, v0, 3
	v_dual_mov_b32 v0, s4 :: v_dual_mov_b32 v1, s5
	ds_store_b64 v7, v[0:1] offset:8664
	ds_store_b64 v7, v[2:3] offset:5776
	v_add_nc_u32_e32 v5, 0x21d8, v7
	v_add_nc_u32_e32 v0, 0x1690, v7
	s_delay_alu instid0(VALU_DEP_2)
	v_cndmask_b32_e64 v5, s4, v5, s0
	flat_load_b64 v[9:10], v[5:6]
	s_cbranch_vccnz .LBB50_2
; %bb.1:
	v_dual_mov_b32 v1, s4 :: v_dual_mov_b32 v2, s5
	flat_load_b64 v[11:12], v[1:2] offset:8
.LBB50_2:
	s_and_b32 s4, s0, exec_lo
	s_cselect_b32 s1, s1, s9
	v_cndmask_b32_e64 v0, s8, v0, s0
	v_mov_b32_e32 v1, s1
	v_dual_mov_b32 v7, s10 :: v_dual_mov_b32 v8, s11
	s_and_not1_b32 vcc_lo, exec_lo, s6
	flat_load_b64 v[5:6], v[0:1]
	s_cbranch_vccnz .LBB50_4
; %bb.3:
	v_dual_mov_b32 v0, s8 :: v_dual_mov_b32 v1, s9
	flat_load_b64 v[7:8], v[0:1] offset:8
.LBB50_4:
	s_waitcnt vmcnt(1) lgkmcnt(1)
	v_cmp_eq_f64_e32 vcc_lo, 0, v[9:10]
	v_cmp_eq_f64_e64 s0, 0, v[11:12]
	s_delay_alu instid0(VALU_DEP_1)
	s_and_b32 s4, vcc_lo, s0
	s_mov_b32 s0, -1
	s_and_saveexec_b32 s1, s4
	s_cbranch_execz .LBB50_6
; %bb.5:
	s_waitcnt vmcnt(0) lgkmcnt(0)
	v_cmp_neq_f64_e32 vcc_lo, 1.0, v[5:6]
	v_cmp_neq_f64_e64 s0, 0, v[7:8]
	s_delay_alu instid0(VALU_DEP_1) | instskip(NEXT) | instid1(SALU_CYCLE_1)
	s_or_b32 s0, vcc_lo, s0
	s_or_not1_b32 s0, s0, exec_lo
.LBB50_6:
	s_or_b32 exec_lo, exec_lo, s1
	s_and_saveexec_b32 s1, s0
	s_cbranch_execz .LBB50_43
; %bb.7:
	s_clause 0x1
	s_load_b128 s[4:7], s[2:3], 0x20
	s_load_b64 s[0:1], s[2:3], 0x30
	s_waitcnt lgkmcnt(0)
	s_cmp_eq_u64 s[4:5], 0
	s_cbranch_scc1 .LBB50_9
; %bb.8:
	s_ashr_i32 s13, s12, 31
	s_delay_alu instid0(SALU_CYCLE_1) | instskip(NEXT) | instid1(SALU_CYCLE_1)
	s_lshl_b64 s[8:9], s[12:13], 2
	s_add_u32 s4, s4, s8
	s_addc_u32 s5, s5, s9
	s_load_b32 s4, s[4:5], 0x0
	s_waitcnt lgkmcnt(0)
	s_sub_i32 s12, s4, s14
.LBB50_9:
	s_load_b32 s4, s[2:3], 0x4
	v_mul_u32_u24_e32 v0, 0xd7a, v4
	v_mov_b32_e32 v2, 0
	v_dual_mov_b32 v3, 0 :: v_dual_lshlrev_b32 v18, 4, v4
	s_delay_alu instid0(VALU_DEP_3) | instskip(NEXT) | instid1(VALU_DEP_1)
	v_lshrrev_b32_e32 v13, 16, v0
	v_mul_lo_u16 v0, v13, 19
	s_delay_alu instid0(VALU_DEP_1) | instskip(NEXT) | instid1(VALU_DEP_4)
	v_sub_nc_u16 v19, v4, v0
	v_dual_mov_b32 v0, v2 :: v_dual_mov_b32 v1, v3
	s_waitcnt lgkmcnt(0)
	s_cmp_eq_u32 s4, 1
	s_cselect_b32 vcc_lo, -1, 0
	s_cmp_lg_u32 s4, 1
	s_cselect_b32 s10, -1, 0
	s_ashr_i32 s13, s12, 31
	s_delay_alu instid0(SALU_CYCLE_1) | instskip(NEXT) | instid1(SALU_CYCLE_1)
	s_lshl_b64 s[4:5], s[12:13], 2
	s_add_u32 s6, s6, s4
	s_addc_u32 s7, s7, s5
	s_add_u32 s8, s6, 4
	s_addc_u32 s9, s7, 0
	s_add_u32 s4, s0, s4
	s_addc_u32 s5, s1, s5
	s_cmp_eq_u64 s[0:1], 0
	s_cselect_b32 s1, s9, s5
	s_cselect_b32 s0, s8, s4
	s_load_b32 s11, s[6:7], 0x0
	s_load_b32 s13, s[0:1], 0x0
	s_load_b64 s[8:9], s[2:3], 0x60
	s_waitcnt lgkmcnt(0)
	s_cmp_ge_i32 s11, s13
	s_cbranch_scc1 .LBB50_14
; %bb.10:
	v_mul_lo_u16 v0, v13, 14
	s_clause 0x1
	s_load_b128 s[4:7], s[2:3], 0x38
	s_load_b64 s[0:1], s[2:3], 0x48
	v_dual_mov_b32 v2, 0 :: v_dual_and_b32 v1, 0xffff, v4
	v_lshrrev_b16 v0, 8, v0
	s_sub_i32 s3, s11, s14
	s_sub_i32 s2, s13, s14
	s_delay_alu instid0(VALU_DEP_2) | instskip(SKIP_3) | instid1(VALU_DEP_2)
	v_mul_u32_u24_e32 v1, 0xb6, v1
	s_mul_i32 s13, s3, 0x1690
	v_mul_lo_u16 v0, v0, 19
	s_mul_hi_i32 s11, s3, 0x1690
	v_lshrrev_b32_e32 v20, 16, v1
	s_delay_alu instid0(VALU_DEP_2) | instskip(NEXT) | instid1(VALU_DEP_1)
	v_sub_nc_u16 v0, v13, v0
	v_dual_mov_b32 v3, 0 :: v_dual_and_b32 v0, 0xff, v0
	v_and_b32_e32 v15, 0xffff, v19
	s_waitcnt lgkmcnt(0)
	s_add_u32 s6, s6, s13
	s_addc_u32 s7, s7, s11
	v_add_co_u32 v13, s6, s6, v18
	v_dual_cndmask_b32 v15, v15, v0 :: v_dual_mov_b32 v0, v2
	v_add_co_ci_u32_e64 v14, null, s7, 0, s6
	v_mov_b32_e32 v1, v3
	s_set_inst_prefetch_distance 0x1
	s_branch .LBB50_12
	.p2align	6
.LBB50_11:                              ;   in Loop: Header=BB50_12 Depth=1
	s_or_b32 exec_lo, exec_lo, s6
	s_add_i32 s3, s3, 1
	s_delay_alu instid0(SALU_CYCLE_1)
	s_cmp_lt_i32 s3, s2
	s_cbranch_scc0 .LBB50_14
.LBB50_12:                              ; =>This Inner Loop Header: Depth=1
	v_add_nc_u32_e32 v16, s3, v20
	s_mov_b32 s6, exec_lo
	s_delay_alu instid0(VALU_DEP_1)
	v_cmpx_gt_i32_e64 s2, v16
	s_cbranch_execz .LBB50_11
; %bb.13:                               ;   in Loop: Header=BB50_12 Depth=1
	v_ashrrev_i32_e32 v17, 31, v16
	s_delay_alu instid0(VALU_DEP_1) | instskip(NEXT) | instid1(VALU_DEP_1)
	v_lshlrev_b64 v[16:17], 2, v[16:17]
	v_add_co_u32 v16, vcc_lo, s4, v16
	s_delay_alu instid0(VALU_DEP_2) | instskip(SKIP_3) | instid1(VALU_DEP_1)
	v_add_co_ci_u32_e32 v17, vcc_lo, s5, v17, vcc_lo
	global_load_b32 v16, v[16:17], off
	s_waitcnt vmcnt(0)
	v_subrev_nc_u32_e32 v21, s14, v16
	v_mad_u64_u32 v[16:17], null, v21, 19, v[15:16]
	s_delay_alu instid0(VALU_DEP_1) | instskip(NEXT) | instid1(VALU_DEP_1)
	v_ashrrev_i32_e32 v17, 31, v16
	v_lshlrev_b64 v[16:17], 4, v[16:17]
	s_delay_alu instid0(VALU_DEP_1) | instskip(NEXT) | instid1(VALU_DEP_2)
	v_add_co_u32 v16, vcc_lo, s0, v16
	v_add_co_ci_u32_e32 v17, vcc_lo, s1, v17, vcc_lo
	global_load_b128 v[21:24], v[13:14], off
	global_load_b128 v[25:28], v[16:17], off
	v_add_co_u32 v13, vcc_lo, 0x1690, v13
	v_add_co_ci_u32_e32 v14, vcc_lo, 0, v14, vcc_lo
	s_waitcnt vmcnt(0)
	v_fma_f64 v[0:1], v[21:22], v[25:26], v[0:1]
	v_fma_f64 v[2:3], v[23:24], v[25:26], v[2:3]
	s_delay_alu instid0(VALU_DEP_2) | instskip(NEXT) | instid1(VALU_DEP_2)
	v_fma_f64 v[0:1], -v[23:24], v[27:28], v[0:1]
	v_fma_f64 v[2:3], v[21:22], v[27:28], v[2:3]
	s_branch .LBB50_11
.LBB50_14:
	s_set_inst_prefetch_distance 0x2
	s_and_b32 vcc_lo, exec_lo, s10
	ds_store_b128 v18, v[0:3]
	s_waitcnt vmcnt(0) lgkmcnt(0)
	s_barrier
	buffer_gl0_inv
	s_cbranch_vccz .LBB50_26
; %bb.15:
	s_mov_b32 s0, exec_lo
	v_cmpx_gt_u16_e32 3, v19
	s_cbranch_execz .LBB50_17
; %bb.16:
	ds_load_b128 v[13:16], v18 offset:256
	ds_load_b128 v[20:23], v18
	s_waitcnt lgkmcnt(0)
	v_add_f64 v[13:14], v[13:14], v[20:21]
	v_add_f64 v[15:16], v[15:16], v[22:23]
	ds_store_b128 v18, v[13:16]
.LBB50_17:
	s_or_b32 exec_lo, exec_lo, s0
	s_delay_alu instid0(SALU_CYCLE_1)
	s_mov_b32 s0, exec_lo
	s_waitcnt lgkmcnt(0)
	s_barrier
	buffer_gl0_inv
	v_cmpx_gt_u16_e32 8, v19
	s_cbranch_execz .LBB50_19
; %bb.18:
	ds_load_b128 v[13:16], v18 offset:128
	ds_load_b128 v[20:23], v18
	s_waitcnt lgkmcnt(0)
	v_add_f64 v[13:14], v[13:14], v[20:21]
	v_add_f64 v[15:16], v[15:16], v[22:23]
	ds_store_b128 v18, v[13:16]
.LBB50_19:
	s_or_b32 exec_lo, exec_lo, s0
	s_delay_alu instid0(SALU_CYCLE_1)
	s_mov_b32 s0, exec_lo
	s_waitcnt lgkmcnt(0)
	s_barrier
	buffer_gl0_inv
	;; [unrolled: 16-line block ×3, first 2 shown]
	v_cmpx_gt_u16_e32 2, v19
	s_cbranch_execz .LBB50_23
; %bb.22:
	ds_load_b128 v[13:16], v18
	ds_load_b128 v[19:22], v18 offset:32
	s_waitcnt lgkmcnt(0)
	v_add_f64 v[13:14], v[19:20], v[13:14]
	v_add_f64 v[15:16], v[21:22], v[15:16]
	ds_store_b128 v18, v[13:16]
.LBB50_23:
	s_or_b32 exec_lo, exec_lo, s0
	v_dual_mov_b32 v16, v3 :: v_dual_mov_b32 v15, v2
	v_dual_mov_b32 v14, v1 :: v_dual_mov_b32 v13, v0
	s_mov_b32 s0, exec_lo
	s_waitcnt lgkmcnt(0)
	s_barrier
	buffer_gl0_inv
	v_cmpx_gt_u32_e32 19, v4
	s_cbranch_execz .LBB50_25
; %bb.24:
	v_mul_u32_u24_e32 v13, 19, v4
	s_delay_alu instid0(VALU_DEP_1)
	v_lshlrev_b32_e32 v17, 4, v13
	ds_load_b128 v[13:16], v17
	ds_load_b128 v[19:22], v17 offset:16
	s_waitcnt lgkmcnt(0)
	v_add_f64 v[13:14], v[19:20], v[13:14]
	v_add_f64 v[15:16], v[21:22], v[15:16]
.LBB50_25:
	s_or_b32 exec_lo, exec_lo, s0
	s_branch .LBB50_38
.LBB50_26:
                                        ; implicit-def: $vgpr15_vgpr16
                                        ; implicit-def: $vgpr13_vgpr14
	s_cbranch_execz .LBB50_38
; %bb.27:
	s_mov_b32 s0, exec_lo
	v_cmpx_gt_u32_e32 57, v4
	s_cbranch_execz .LBB50_29
; %bb.28:
	ds_load_b128 v[13:16], v18 offset:4864
	ds_load_b128 v[19:22], v18
	s_waitcnt lgkmcnt(0)
	v_add_f64 v[13:14], v[13:14], v[19:20]
	v_add_f64 v[15:16], v[15:16], v[21:22]
	ds_store_b128 v18, v[13:16]
.LBB50_29:
	s_or_b32 exec_lo, exec_lo, s0
	s_delay_alu instid0(SALU_CYCLE_1)
	s_mov_b32 s0, exec_lo
	s_waitcnt lgkmcnt(0)
	s_barrier
	buffer_gl0_inv
	v_cmpx_gt_u32_e32 0x98, v4
	s_cbranch_execz .LBB50_31
; %bb.30:
	ds_load_b128 v[13:16], v18 offset:2432
	ds_load_b128 v[19:22], v18
	s_waitcnt lgkmcnt(0)
	v_add_f64 v[13:14], v[13:14], v[19:20]
	v_add_f64 v[15:16], v[15:16], v[21:22]
	ds_store_b128 v18, v[13:16]
.LBB50_31:
	s_or_b32 exec_lo, exec_lo, s0
	s_delay_alu instid0(SALU_CYCLE_1)
	s_mov_b32 s0, exec_lo
	s_waitcnt lgkmcnt(0)
	s_barrier
	buffer_gl0_inv
	;; [unrolled: 16-line block ×3, first 2 shown]
	v_cmpx_gt_u32_e32 38, v4
	s_cbranch_execz .LBB50_35
; %bb.34:
	ds_load_b128 v[13:16], v18 offset:608
	ds_load_b128 v[19:22], v18
	s_waitcnt lgkmcnt(0)
	v_add_f64 v[13:14], v[13:14], v[19:20]
	v_add_f64 v[15:16], v[15:16], v[21:22]
	ds_store_b128 v18, v[13:16]
.LBB50_35:
	s_or_b32 exec_lo, exec_lo, s0
	s_delay_alu instid0(SALU_CYCLE_1)
	s_mov_b32 s0, exec_lo
	s_waitcnt lgkmcnt(0)
	buffer_gl0_inv
	v_cmpx_gt_u32_e32 19, v4
	s_cbranch_execz .LBB50_37
; %bb.36:
	ds_load_b128 v[0:3], v18 offset:304
	ds_load_b128 v[13:16], v18
	s_waitcnt lgkmcnt(0)
	v_add_f64 v[0:1], v[0:1], v[13:14]
	v_add_f64 v[2:3], v[2:3], v[15:16]
.LBB50_37:
	s_or_b32 exec_lo, exec_lo, s0
	s_delay_alu instid0(VALU_DEP_1) | instskip(NEXT) | instid1(VALU_DEP_3)
	v_dual_mov_b32 v16, v3 :: v_dual_mov_b32 v15, v2
	v_dual_mov_b32 v14, v1 :: v_dual_mov_b32 v13, v0
.LBB50_38:
	v_cmp_gt_u32_e32 vcc_lo, 19, v4
	s_and_b32 exec_lo, exec_lo, vcc_lo
	s_cbranch_execz .LBB50_43
; %bb.39:
	s_delay_alu instid0(VALU_DEP_2) | instskip(SKIP_3) | instid1(VALU_DEP_4)
	v_mul_f64 v[0:1], v[15:16], -v[11:12]
	v_mul_f64 v[2:3], v[9:10], v[15:16]
	v_cmp_eq_f64_e32 vcc_lo, 0, v[5:6]
	v_cmp_eq_f64_e64 s0, 0, v[7:8]
	v_fma_f64 v[0:1], v[9:10], v[13:14], v[0:1]
	s_delay_alu instid0(VALU_DEP_4) | instskip(NEXT) | instid1(VALU_DEP_3)
	v_fma_f64 v[2:3], v[11:12], v[13:14], v[2:3]
	s_and_b32 s0, vcc_lo, s0
	s_delay_alu instid0(SALU_CYCLE_1) | instskip(NEXT) | instid1(SALU_CYCLE_1)
	s_and_saveexec_b32 s1, s0
	s_xor_b32 s0, exec_lo, s1
	s_cbranch_execz .LBB50_41
; %bb.40:
	v_mad_u64_u32 v[5:6], null, s12, 19, v[4:5]
	v_mov_b32_e32 v6, 0
                                        ; implicit-def: $vgpr7_vgpr8
	s_delay_alu instid0(VALU_DEP_1) | instskip(NEXT) | instid1(VALU_DEP_1)
	v_lshlrev_b64 v[4:5], 4, v[5:6]
	v_add_co_u32 v4, vcc_lo, s8, v4
	s_delay_alu instid0(VALU_DEP_2)
	v_add_co_ci_u32_e32 v5, vcc_lo, s9, v5, vcc_lo
	global_store_b128 v[4:5], v[0:3], off
                                        ; implicit-def: $vgpr4
                                        ; implicit-def: $vgpr5_vgpr6
                                        ; implicit-def: $vgpr0_vgpr1
.LBB50_41:
	s_and_not1_saveexec_b32 s0, s0
	s_cbranch_execz .LBB50_43
; %bb.42:
	v_mad_u64_u32 v[9:10], null, s12, 19, v[4:5]
	v_mov_b32_e32 v10, 0
	s_delay_alu instid0(VALU_DEP_1) | instskip(NEXT) | instid1(VALU_DEP_1)
	v_lshlrev_b64 v[9:10], 4, v[9:10]
	v_add_co_u32 v13, vcc_lo, s8, v9
	s_delay_alu instid0(VALU_DEP_2) | instskip(SKIP_4) | instid1(VALU_DEP_2)
	v_add_co_ci_u32_e32 v14, vcc_lo, s9, v10, vcc_lo
	global_load_b128 v[9:12], v[13:14], off
	s_waitcnt vmcnt(0)
	v_fma_f64 v[0:1], v[5:6], v[9:10], v[0:1]
	v_fma_f64 v[2:3], v[7:8], v[9:10], v[2:3]
	v_fma_f64 v[0:1], -v[7:8], v[11:12], v[0:1]
	s_delay_alu instid0(VALU_DEP_2)
	v_fma_f64 v[2:3], v[5:6], v[11:12], v[2:3]
	global_store_b128 v[13:14], v[0:3], off
.LBB50_43:
	s_nop 0
	s_sendmsg sendmsg(MSG_DEALLOC_VGPRS)
	s_endpgm
	.section	.rodata,"a",@progbits
	.p2align	6, 0x0
	.amdhsa_kernel _ZN9rocsparseL20bsrxmvn_17_32_kernelILj19E21rocsparse_complex_numIdEiiS2_S2_S2_EEvT2_20rocsparse_direction_NS_24const_host_device_scalarIT0_EES3_PKS3_PKT1_SC_S9_PKT3_PKT4_S7_PT5_21rocsparse_index_base_b
		.amdhsa_group_segment_fixed_size 11552
		.amdhsa_private_segment_fixed_size 0
		.amdhsa_kernarg_size 112
		.amdhsa_user_sgpr_count 15
		.amdhsa_user_sgpr_dispatch_ptr 1
		.amdhsa_user_sgpr_queue_ptr 0
		.amdhsa_user_sgpr_kernarg_segment_ptr 1
		.amdhsa_user_sgpr_dispatch_id 0
		.amdhsa_user_sgpr_private_segment_size 0
		.amdhsa_wavefront_size32 1
		.amdhsa_uses_dynamic_stack 0
		.amdhsa_enable_private_segment 0
		.amdhsa_system_sgpr_workgroup_id_x 1
		.amdhsa_system_sgpr_workgroup_id_y 0
		.amdhsa_system_sgpr_workgroup_id_z 0
		.amdhsa_system_sgpr_workgroup_info 0
		.amdhsa_system_vgpr_workitem_id 2
		.amdhsa_next_free_vgpr 29
		.amdhsa_next_free_sgpr 18
		.amdhsa_reserve_vcc 1
		.amdhsa_float_round_mode_32 0
		.amdhsa_float_round_mode_16_64 0
		.amdhsa_float_denorm_mode_32 3
		.amdhsa_float_denorm_mode_16_64 3
		.amdhsa_dx10_clamp 1
		.amdhsa_ieee_mode 1
		.amdhsa_fp16_overflow 0
		.amdhsa_workgroup_processor_mode 1
		.amdhsa_memory_ordered 1
		.amdhsa_forward_progress 0
		.amdhsa_shared_vgpr_count 0
		.amdhsa_exception_fp_ieee_invalid_op 0
		.amdhsa_exception_fp_denorm_src 0
		.amdhsa_exception_fp_ieee_div_zero 0
		.amdhsa_exception_fp_ieee_overflow 0
		.amdhsa_exception_fp_ieee_underflow 0
		.amdhsa_exception_fp_ieee_inexact 0
		.amdhsa_exception_int_div_zero 0
	.end_amdhsa_kernel
	.section	.text._ZN9rocsparseL20bsrxmvn_17_32_kernelILj19E21rocsparse_complex_numIdEiiS2_S2_S2_EEvT2_20rocsparse_direction_NS_24const_host_device_scalarIT0_EES3_PKS3_PKT1_SC_S9_PKT3_PKT4_S7_PT5_21rocsparse_index_base_b,"axG",@progbits,_ZN9rocsparseL20bsrxmvn_17_32_kernelILj19E21rocsparse_complex_numIdEiiS2_S2_S2_EEvT2_20rocsparse_direction_NS_24const_host_device_scalarIT0_EES3_PKS3_PKT1_SC_S9_PKT3_PKT4_S7_PT5_21rocsparse_index_base_b,comdat
.Lfunc_end50:
	.size	_ZN9rocsparseL20bsrxmvn_17_32_kernelILj19E21rocsparse_complex_numIdEiiS2_S2_S2_EEvT2_20rocsparse_direction_NS_24const_host_device_scalarIT0_EES3_PKS3_PKT1_SC_S9_PKT3_PKT4_S7_PT5_21rocsparse_index_base_b, .Lfunc_end50-_ZN9rocsparseL20bsrxmvn_17_32_kernelILj19E21rocsparse_complex_numIdEiiS2_S2_S2_EEvT2_20rocsparse_direction_NS_24const_host_device_scalarIT0_EES3_PKS3_PKT1_SC_S9_PKT3_PKT4_S7_PT5_21rocsparse_index_base_b
                                        ; -- End function
	.section	.AMDGPU.csdata,"",@progbits
; Kernel info:
; codeLenInByte = 2068
; NumSgprs: 20
; NumVgprs: 29
; ScratchSize: 0
; MemoryBound: 0
; FloatMode: 240
; IeeeMode: 1
; LDSByteSize: 11552 bytes/workgroup (compile time only)
; SGPRBlocks: 2
; VGPRBlocks: 3
; NumSGPRsForWavesPerEU: 20
; NumVGPRsForWavesPerEU: 29
; Occupancy: 15
; WaveLimiterHint : 1
; COMPUTE_PGM_RSRC2:SCRATCH_EN: 0
; COMPUTE_PGM_RSRC2:USER_SGPR: 15
; COMPUTE_PGM_RSRC2:TRAP_HANDLER: 0
; COMPUTE_PGM_RSRC2:TGID_X_EN: 1
; COMPUTE_PGM_RSRC2:TGID_Y_EN: 0
; COMPUTE_PGM_RSRC2:TGID_Z_EN: 0
; COMPUTE_PGM_RSRC2:TIDIG_COMP_CNT: 2
	.section	.text._ZN9rocsparseL20bsrxmvn_17_32_kernelILj20E21rocsparse_complex_numIdEiiS2_S2_S2_EEvT2_20rocsparse_direction_NS_24const_host_device_scalarIT0_EES3_PKS3_PKT1_SC_S9_PKT3_PKT4_S7_PT5_21rocsparse_index_base_b,"axG",@progbits,_ZN9rocsparseL20bsrxmvn_17_32_kernelILj20E21rocsparse_complex_numIdEiiS2_S2_S2_EEvT2_20rocsparse_direction_NS_24const_host_device_scalarIT0_EES3_PKS3_PKT1_SC_S9_PKT3_PKT4_S7_PT5_21rocsparse_index_base_b,comdat
	.globl	_ZN9rocsparseL20bsrxmvn_17_32_kernelILj20E21rocsparse_complex_numIdEiiS2_S2_S2_EEvT2_20rocsparse_direction_NS_24const_host_device_scalarIT0_EES3_PKS3_PKT1_SC_S9_PKT3_PKT4_S7_PT5_21rocsparse_index_base_b ; -- Begin function _ZN9rocsparseL20bsrxmvn_17_32_kernelILj20E21rocsparse_complex_numIdEiiS2_S2_S2_EEvT2_20rocsparse_direction_NS_24const_host_device_scalarIT0_EES3_PKS3_PKT1_SC_S9_PKT3_PKT4_S7_PT5_21rocsparse_index_base_b
	.p2align	8
	.type	_ZN9rocsparseL20bsrxmvn_17_32_kernelILj20E21rocsparse_complex_numIdEiiS2_S2_S2_EEvT2_20rocsparse_direction_NS_24const_host_device_scalarIT0_EES3_PKS3_PKT1_SC_S9_PKT3_PKT4_S7_PT5_21rocsparse_index_base_b,@function
_ZN9rocsparseL20bsrxmvn_17_32_kernelILj20E21rocsparse_complex_numIdEiiS2_S2_S2_EEvT2_20rocsparse_direction_NS_24const_host_device_scalarIT0_EES3_PKS3_PKT1_SC_S9_PKT3_PKT4_S7_PT5_21rocsparse_index_base_b: ; @_ZN9rocsparseL20bsrxmvn_17_32_kernelILj20E21rocsparse_complex_numIdEiiS2_S2_S2_EEvT2_20rocsparse_direction_NS_24const_host_device_scalarIT0_EES3_PKS3_PKT1_SC_S9_PKT3_PKT4_S7_PT5_21rocsparse_index_base_b
; %bb.0:
	s_mov_b32 s12, s15
	s_clause 0x1
	s_load_b64 s[14:15], s[2:3], 0x68
	s_load_b128 s[4:7], s[2:3], 0x8
	s_load_b64 s[16:17], s[0:1], 0x4
	s_mov_b64 s[0:1], src_shared_base
	v_and_b32_e32 v4, 0x3ff, v0
	s_load_b128 s[8:11], s[2:3], 0x50
	v_bfe_u32 v2, v0, 10, 10
	v_bfe_u32 v0, v0, 20, 10
	s_waitcnt lgkmcnt(0)
	s_bitcmp1_b32 s15, 0
	v_mov_b32_e32 v12, s7
	s_cselect_b32 s0, -1, 0
	v_mov_b32_e32 v11, s6
	s_and_b32 vcc_lo, s0, exec_lo
	s_cselect_b32 s13, s1, s5
	s_lshr_b32 s15, s16, 16
	v_mov_b32_e32 v6, s13
	s_mul_i32 s15, s15, s17
	s_xor_b32 s6, s0, -1
	v_mul_lo_u32 v1, s15, v4
	s_delay_alu instid0(VALU_DEP_1) | instskip(SKIP_1) | instid1(VALU_DEP_2)
	v_mad_u32_u24 v1, v2, s17, v1
	v_dual_mov_b32 v2, s8 :: v_dual_mov_b32 v3, s9
	v_add_lshl_u32 v7, v1, v0, 3
	v_dual_mov_b32 v0, s4 :: v_dual_mov_b32 v1, s5
	ds_store_b64 v7, v[0:1] offset:9600
	ds_store_b64 v7, v[2:3] offset:6400
	v_add_nc_u32_e32 v5, 0x2580, v7
	v_add_nc_u32_e32 v0, 0x1900, v7
	s_delay_alu instid0(VALU_DEP_2)
	v_cndmask_b32_e64 v5, s4, v5, s0
	flat_load_b64 v[9:10], v[5:6]
	s_cbranch_vccnz .LBB51_2
; %bb.1:
	v_dual_mov_b32 v1, s4 :: v_dual_mov_b32 v2, s5
	flat_load_b64 v[11:12], v[1:2] offset:8
.LBB51_2:
	s_and_b32 s4, s0, exec_lo
	s_cselect_b32 s1, s1, s9
	v_cndmask_b32_e64 v0, s8, v0, s0
	v_mov_b32_e32 v1, s1
	v_dual_mov_b32 v7, s10 :: v_dual_mov_b32 v8, s11
	s_and_not1_b32 vcc_lo, exec_lo, s6
	flat_load_b64 v[5:6], v[0:1]
	s_cbranch_vccnz .LBB51_4
; %bb.3:
	v_dual_mov_b32 v0, s8 :: v_dual_mov_b32 v1, s9
	flat_load_b64 v[7:8], v[0:1] offset:8
.LBB51_4:
	s_waitcnt vmcnt(1) lgkmcnt(1)
	v_cmp_eq_f64_e32 vcc_lo, 0, v[9:10]
	v_cmp_eq_f64_e64 s0, 0, v[11:12]
	s_delay_alu instid0(VALU_DEP_1)
	s_and_b32 s4, vcc_lo, s0
	s_mov_b32 s0, -1
	s_and_saveexec_b32 s1, s4
	s_cbranch_execz .LBB51_6
; %bb.5:
	s_waitcnt vmcnt(0) lgkmcnt(0)
	v_cmp_neq_f64_e32 vcc_lo, 1.0, v[5:6]
	v_cmp_neq_f64_e64 s0, 0, v[7:8]
	s_delay_alu instid0(VALU_DEP_1) | instskip(NEXT) | instid1(SALU_CYCLE_1)
	s_or_b32 s0, vcc_lo, s0
	s_or_not1_b32 s0, s0, exec_lo
.LBB51_6:
	s_or_b32 exec_lo, exec_lo, s1
	s_and_saveexec_b32 s1, s0
	s_cbranch_execz .LBB51_43
; %bb.7:
	s_clause 0x1
	s_load_b128 s[4:7], s[2:3], 0x20
	s_load_b64 s[0:1], s[2:3], 0x30
	s_waitcnt lgkmcnt(0)
	s_cmp_eq_u64 s[4:5], 0
	s_cbranch_scc1 .LBB51_9
; %bb.8:
	s_ashr_i32 s13, s12, 31
	s_delay_alu instid0(SALU_CYCLE_1) | instskip(NEXT) | instid1(SALU_CYCLE_1)
	s_lshl_b64 s[8:9], s[12:13], 2
	s_add_u32 s4, s4, s8
	s_addc_u32 s5, s5, s9
	s_load_b32 s4, s[4:5], 0x0
	s_waitcnt lgkmcnt(0)
	s_sub_i32 s12, s4, s14
.LBB51_9:
	s_load_b32 s4, s[2:3], 0x4
	v_mul_u32_u24_e32 v0, 0xccd, v4
	v_mov_b32_e32 v2, 0
	v_dual_mov_b32 v3, 0 :: v_dual_lshlrev_b32 v18, 4, v4
	s_delay_alu instid0(VALU_DEP_3) | instskip(NEXT) | instid1(VALU_DEP_1)
	v_lshrrev_b32_e32 v13, 16, v0
	v_mul_lo_u16 v0, v13, 20
	s_delay_alu instid0(VALU_DEP_1) | instskip(NEXT) | instid1(VALU_DEP_4)
	v_sub_nc_u16 v19, v4, v0
	v_dual_mov_b32 v0, v2 :: v_dual_mov_b32 v1, v3
	s_waitcnt lgkmcnt(0)
	s_cmp_eq_u32 s4, 1
	s_cselect_b32 vcc_lo, -1, 0
	s_cmp_lg_u32 s4, 1
	s_cselect_b32 s10, -1, 0
	s_ashr_i32 s13, s12, 31
	s_delay_alu instid0(SALU_CYCLE_1) | instskip(NEXT) | instid1(SALU_CYCLE_1)
	s_lshl_b64 s[4:5], s[12:13], 2
	s_add_u32 s6, s6, s4
	s_addc_u32 s7, s7, s5
	s_add_u32 s8, s6, 4
	s_addc_u32 s9, s7, 0
	s_add_u32 s4, s0, s4
	s_addc_u32 s5, s1, s5
	s_cmp_eq_u64 s[0:1], 0
	s_cselect_b32 s1, s9, s5
	s_cselect_b32 s0, s8, s4
	s_load_b32 s11, s[6:7], 0x0
	s_load_b32 s13, s[0:1], 0x0
	s_load_b64 s[8:9], s[2:3], 0x60
	s_waitcnt lgkmcnt(0)
	s_cmp_ge_i32 s11, s13
	s_cbranch_scc1 .LBB51_14
; %bb.10:
	v_mul_lo_u16 v0, v13, 13
	s_clause 0x1
	s_load_b128 s[4:7], s[2:3], 0x38
	s_load_b64 s[0:1], s[2:3], 0x48
	v_dual_mov_b32 v2, 0 :: v_dual_and_b32 v1, 0xffff, v4
	v_lshrrev_b16 v0, 8, v0
	s_sub_i32 s3, s11, s14
	s_sub_i32 s2, s13, s14
	s_delay_alu instid0(VALU_DEP_2) | instskip(SKIP_3) | instid1(VALU_DEP_2)
	v_mul_u32_u24_e32 v1, 0xa4, v1
	s_mul_i32 s13, s3, 0x1900
	v_mul_lo_u16 v0, v0, 20
	s_mul_hi_i32 s11, s3, 0x1900
	v_lshrrev_b32_e32 v20, 16, v1
	s_delay_alu instid0(VALU_DEP_2) | instskip(NEXT) | instid1(VALU_DEP_1)
	v_sub_nc_u16 v0, v13, v0
	v_dual_mov_b32 v3, 0 :: v_dual_and_b32 v0, 0xff, v0
	v_and_b32_e32 v15, 0xffff, v19
	s_waitcnt lgkmcnt(0)
	s_add_u32 s6, s6, s13
	s_addc_u32 s7, s7, s11
	v_add_co_u32 v13, s6, s6, v18
	v_dual_cndmask_b32 v15, v15, v0 :: v_dual_mov_b32 v0, v2
	v_add_co_ci_u32_e64 v14, null, s7, 0, s6
	v_mov_b32_e32 v1, v3
	s_set_inst_prefetch_distance 0x1
	s_branch .LBB51_12
	.p2align	6
.LBB51_11:                              ;   in Loop: Header=BB51_12 Depth=1
	s_or_b32 exec_lo, exec_lo, s6
	s_add_i32 s3, s3, 1
	s_delay_alu instid0(SALU_CYCLE_1)
	s_cmp_lt_i32 s3, s2
	s_cbranch_scc0 .LBB51_14
.LBB51_12:                              ; =>This Inner Loop Header: Depth=1
	v_add_nc_u32_e32 v16, s3, v20
	s_mov_b32 s6, exec_lo
	s_delay_alu instid0(VALU_DEP_1)
	v_cmpx_gt_i32_e64 s2, v16
	s_cbranch_execz .LBB51_11
; %bb.13:                               ;   in Loop: Header=BB51_12 Depth=1
	v_ashrrev_i32_e32 v17, 31, v16
	s_delay_alu instid0(VALU_DEP_1) | instskip(NEXT) | instid1(VALU_DEP_1)
	v_lshlrev_b64 v[16:17], 2, v[16:17]
	v_add_co_u32 v16, vcc_lo, s4, v16
	s_delay_alu instid0(VALU_DEP_2) | instskip(SKIP_3) | instid1(VALU_DEP_1)
	v_add_co_ci_u32_e32 v17, vcc_lo, s5, v17, vcc_lo
	global_load_b32 v16, v[16:17], off
	s_waitcnt vmcnt(0)
	v_subrev_nc_u32_e32 v21, s14, v16
	v_mad_u64_u32 v[16:17], null, v21, 20, v[15:16]
	s_delay_alu instid0(VALU_DEP_1) | instskip(NEXT) | instid1(VALU_DEP_1)
	v_ashrrev_i32_e32 v17, 31, v16
	v_lshlrev_b64 v[16:17], 4, v[16:17]
	s_delay_alu instid0(VALU_DEP_1) | instskip(NEXT) | instid1(VALU_DEP_2)
	v_add_co_u32 v16, vcc_lo, s0, v16
	v_add_co_ci_u32_e32 v17, vcc_lo, s1, v17, vcc_lo
	global_load_b128 v[21:24], v[13:14], off
	global_load_b128 v[25:28], v[16:17], off
	v_add_co_u32 v13, vcc_lo, 0x1900, v13
	v_add_co_ci_u32_e32 v14, vcc_lo, 0, v14, vcc_lo
	s_waitcnt vmcnt(0)
	v_fma_f64 v[0:1], v[21:22], v[25:26], v[0:1]
	v_fma_f64 v[2:3], v[23:24], v[25:26], v[2:3]
	s_delay_alu instid0(VALU_DEP_2) | instskip(NEXT) | instid1(VALU_DEP_2)
	v_fma_f64 v[0:1], -v[23:24], v[27:28], v[0:1]
	v_fma_f64 v[2:3], v[21:22], v[27:28], v[2:3]
	s_branch .LBB51_11
.LBB51_14:
	s_set_inst_prefetch_distance 0x2
	s_and_b32 vcc_lo, exec_lo, s10
	ds_store_b128 v18, v[0:3]
	s_waitcnt vmcnt(0) lgkmcnt(0)
	s_barrier
	buffer_gl0_inv
	s_cbranch_vccz .LBB51_26
; %bb.15:
	v_cmp_gt_u16_e32 vcc_lo, 4, v19
	s_and_saveexec_b32 s0, vcc_lo
	s_cbranch_execz .LBB51_17
; %bb.16:
	ds_load_b128 v[13:16], v18 offset:256
	ds_load_b128 v[20:23], v18
	s_waitcnt lgkmcnt(0)
	v_add_f64 v[13:14], v[13:14], v[20:21]
	v_add_f64 v[15:16], v[15:16], v[22:23]
	ds_store_b128 v18, v[13:16]
.LBB51_17:
	s_or_b32 exec_lo, exec_lo, s0
	s_delay_alu instid0(SALU_CYCLE_1)
	s_mov_b32 s1, exec_lo
	s_waitcnt lgkmcnt(0)
	s_barrier
	buffer_gl0_inv
	v_cmpx_gt_u16_e32 8, v19
	s_cbranch_execz .LBB51_19
; %bb.18:
	ds_load_b128 v[13:16], v18 offset:128
	ds_load_b128 v[20:23], v18
	s_waitcnt lgkmcnt(0)
	v_add_f64 v[13:14], v[13:14], v[20:21]
	v_add_f64 v[15:16], v[15:16], v[22:23]
	ds_store_b128 v18, v[13:16]
.LBB51_19:
	s_or_b32 exec_lo, exec_lo, s1
	s_waitcnt lgkmcnt(0)
	s_barrier
	buffer_gl0_inv
	s_and_saveexec_b32 s0, vcc_lo
	s_cbranch_execz .LBB51_21
; %bb.20:
	ds_load_b128 v[13:16], v18 offset:64
	ds_load_b128 v[20:23], v18
	s_waitcnt lgkmcnt(0)
	v_add_f64 v[13:14], v[13:14], v[20:21]
	v_add_f64 v[15:16], v[15:16], v[22:23]
	ds_store_b128 v18, v[13:16]
.LBB51_21:
	s_or_b32 exec_lo, exec_lo, s0
	s_delay_alu instid0(SALU_CYCLE_1)
	s_mov_b32 s0, exec_lo
	s_waitcnt lgkmcnt(0)
	s_barrier
	buffer_gl0_inv
	v_cmpx_gt_u16_e32 2, v19
	s_cbranch_execz .LBB51_23
; %bb.22:
	ds_load_b128 v[13:16], v18
	ds_load_b128 v[19:22], v18 offset:32
	s_waitcnt lgkmcnt(0)
	v_add_f64 v[13:14], v[19:20], v[13:14]
	v_add_f64 v[15:16], v[21:22], v[15:16]
	ds_store_b128 v18, v[13:16]
.LBB51_23:
	s_or_b32 exec_lo, exec_lo, s0
	v_dual_mov_b32 v16, v3 :: v_dual_mov_b32 v15, v2
	v_dual_mov_b32 v14, v1 :: v_dual_mov_b32 v13, v0
	s_mov_b32 s0, exec_lo
	s_waitcnt lgkmcnt(0)
	s_barrier
	buffer_gl0_inv
	v_cmpx_gt_u32_e32 20, v4
	s_cbranch_execz .LBB51_25
; %bb.24:
	v_mul_u32_u24_e32 v13, 20, v4
	s_delay_alu instid0(VALU_DEP_1)
	v_lshlrev_b32_e32 v17, 4, v13
	ds_load_b128 v[13:16], v17
	ds_load_b128 v[19:22], v17 offset:16
	s_waitcnt lgkmcnt(0)
	v_add_f64 v[13:14], v[19:20], v[13:14]
	v_add_f64 v[15:16], v[21:22], v[15:16]
.LBB51_25:
	s_or_b32 exec_lo, exec_lo, s0
	s_branch .LBB51_38
.LBB51_26:
                                        ; implicit-def: $vgpr15_vgpr16
                                        ; implicit-def: $vgpr13_vgpr14
	s_cbranch_execz .LBB51_38
; %bb.27:
	v_cmp_gt_u32_e32 vcc_lo, 0x50, v4
	s_and_saveexec_b32 s0, vcc_lo
	s_cbranch_execz .LBB51_29
; %bb.28:
	ds_load_b128 v[13:16], v18 offset:5120
	ds_load_b128 v[19:22], v18
	s_waitcnt lgkmcnt(0)
	v_add_f64 v[13:14], v[13:14], v[19:20]
	v_add_f64 v[15:16], v[15:16], v[21:22]
	ds_store_b128 v18, v[13:16]
.LBB51_29:
	s_or_b32 exec_lo, exec_lo, s0
	s_delay_alu instid0(SALU_CYCLE_1)
	s_mov_b32 s1, exec_lo
	s_waitcnt lgkmcnt(0)
	s_barrier
	buffer_gl0_inv
	v_cmpx_gt_u32_e32 0xa0, v4
	s_cbranch_execz .LBB51_31
; %bb.30:
	ds_load_b128 v[13:16], v18 offset:2560
	ds_load_b128 v[19:22], v18
	s_waitcnt lgkmcnt(0)
	v_add_f64 v[13:14], v[13:14], v[19:20]
	v_add_f64 v[15:16], v[15:16], v[21:22]
	ds_store_b128 v18, v[13:16]
.LBB51_31:
	s_or_b32 exec_lo, exec_lo, s1
	s_waitcnt lgkmcnt(0)
	s_barrier
	buffer_gl0_inv
	s_and_saveexec_b32 s0, vcc_lo
	s_cbranch_execz .LBB51_33
; %bb.32:
	ds_load_b128 v[13:16], v18 offset:1280
	ds_load_b128 v[19:22], v18
	s_waitcnt lgkmcnt(0)
	v_add_f64 v[13:14], v[13:14], v[19:20]
	v_add_f64 v[15:16], v[15:16], v[21:22]
	ds_store_b128 v18, v[13:16]
.LBB51_33:
	s_or_b32 exec_lo, exec_lo, s0
	s_delay_alu instid0(SALU_CYCLE_1)
	s_mov_b32 s0, exec_lo
	s_waitcnt lgkmcnt(0)
	s_barrier
	buffer_gl0_inv
	v_cmpx_gt_u32_e32 40, v4
	s_cbranch_execz .LBB51_35
; %bb.34:
	ds_load_b128 v[13:16], v18 offset:640
	ds_load_b128 v[19:22], v18
	s_waitcnt lgkmcnt(0)
	v_add_f64 v[13:14], v[13:14], v[19:20]
	v_add_f64 v[15:16], v[15:16], v[21:22]
	ds_store_b128 v18, v[13:16]
.LBB51_35:
	s_or_b32 exec_lo, exec_lo, s0
	s_delay_alu instid0(SALU_CYCLE_1)
	s_mov_b32 s0, exec_lo
	s_waitcnt lgkmcnt(0)
	buffer_gl0_inv
	v_cmpx_gt_u32_e32 20, v4
	s_cbranch_execz .LBB51_37
; %bb.36:
	ds_load_b128 v[0:3], v18 offset:320
	ds_load_b128 v[13:16], v18
	s_waitcnt lgkmcnt(0)
	v_add_f64 v[0:1], v[0:1], v[13:14]
	v_add_f64 v[2:3], v[2:3], v[15:16]
.LBB51_37:
	s_or_b32 exec_lo, exec_lo, s0
	s_delay_alu instid0(VALU_DEP_1) | instskip(NEXT) | instid1(VALU_DEP_3)
	v_dual_mov_b32 v16, v3 :: v_dual_mov_b32 v15, v2
	v_dual_mov_b32 v14, v1 :: v_dual_mov_b32 v13, v0
.LBB51_38:
	v_cmp_gt_u32_e32 vcc_lo, 20, v4
	s_and_b32 exec_lo, exec_lo, vcc_lo
	s_cbranch_execz .LBB51_43
; %bb.39:
	s_delay_alu instid0(VALU_DEP_2) | instskip(SKIP_3) | instid1(VALU_DEP_4)
	v_mul_f64 v[0:1], v[15:16], -v[11:12]
	v_mul_f64 v[2:3], v[9:10], v[15:16]
	v_cmp_eq_f64_e32 vcc_lo, 0, v[5:6]
	v_cmp_eq_f64_e64 s0, 0, v[7:8]
	v_fma_f64 v[0:1], v[9:10], v[13:14], v[0:1]
	s_delay_alu instid0(VALU_DEP_4) | instskip(NEXT) | instid1(VALU_DEP_3)
	v_fma_f64 v[2:3], v[11:12], v[13:14], v[2:3]
	s_and_b32 s0, vcc_lo, s0
	s_delay_alu instid0(SALU_CYCLE_1) | instskip(NEXT) | instid1(SALU_CYCLE_1)
	s_and_saveexec_b32 s1, s0
	s_xor_b32 s0, exec_lo, s1
	s_cbranch_execz .LBB51_41
; %bb.40:
	v_mad_u64_u32 v[5:6], null, s12, 20, v[4:5]
	v_mov_b32_e32 v6, 0
                                        ; implicit-def: $vgpr7_vgpr8
	s_delay_alu instid0(VALU_DEP_1) | instskip(NEXT) | instid1(VALU_DEP_1)
	v_lshlrev_b64 v[4:5], 4, v[5:6]
	v_add_co_u32 v4, vcc_lo, s8, v4
	s_delay_alu instid0(VALU_DEP_2)
	v_add_co_ci_u32_e32 v5, vcc_lo, s9, v5, vcc_lo
	global_store_b128 v[4:5], v[0:3], off
                                        ; implicit-def: $vgpr4
                                        ; implicit-def: $vgpr5_vgpr6
                                        ; implicit-def: $vgpr0_vgpr1
.LBB51_41:
	s_and_not1_saveexec_b32 s0, s0
	s_cbranch_execz .LBB51_43
; %bb.42:
	v_mad_u64_u32 v[9:10], null, s12, 20, v[4:5]
	v_mov_b32_e32 v10, 0
	s_delay_alu instid0(VALU_DEP_1) | instskip(NEXT) | instid1(VALU_DEP_1)
	v_lshlrev_b64 v[9:10], 4, v[9:10]
	v_add_co_u32 v13, vcc_lo, s8, v9
	s_delay_alu instid0(VALU_DEP_2) | instskip(SKIP_4) | instid1(VALU_DEP_2)
	v_add_co_ci_u32_e32 v14, vcc_lo, s9, v10, vcc_lo
	global_load_b128 v[9:12], v[13:14], off
	s_waitcnt vmcnt(0)
	v_fma_f64 v[0:1], v[5:6], v[9:10], v[0:1]
	v_fma_f64 v[2:3], v[7:8], v[9:10], v[2:3]
	v_fma_f64 v[0:1], -v[7:8], v[11:12], v[0:1]
	s_delay_alu instid0(VALU_DEP_2)
	v_fma_f64 v[2:3], v[5:6], v[11:12], v[2:3]
	global_store_b128 v[13:14], v[0:3], off
.LBB51_43:
	s_nop 0
	s_sendmsg sendmsg(MSG_DEALLOC_VGPRS)
	s_endpgm
	.section	.rodata,"a",@progbits
	.p2align	6, 0x0
	.amdhsa_kernel _ZN9rocsparseL20bsrxmvn_17_32_kernelILj20E21rocsparse_complex_numIdEiiS2_S2_S2_EEvT2_20rocsparse_direction_NS_24const_host_device_scalarIT0_EES3_PKS3_PKT1_SC_S9_PKT3_PKT4_S7_PT5_21rocsparse_index_base_b
		.amdhsa_group_segment_fixed_size 12800
		.amdhsa_private_segment_fixed_size 0
		.amdhsa_kernarg_size 112
		.amdhsa_user_sgpr_count 15
		.amdhsa_user_sgpr_dispatch_ptr 1
		.amdhsa_user_sgpr_queue_ptr 0
		.amdhsa_user_sgpr_kernarg_segment_ptr 1
		.amdhsa_user_sgpr_dispatch_id 0
		.amdhsa_user_sgpr_private_segment_size 0
		.amdhsa_wavefront_size32 1
		.amdhsa_uses_dynamic_stack 0
		.amdhsa_enable_private_segment 0
		.amdhsa_system_sgpr_workgroup_id_x 1
		.amdhsa_system_sgpr_workgroup_id_y 0
		.amdhsa_system_sgpr_workgroup_id_z 0
		.amdhsa_system_sgpr_workgroup_info 0
		.amdhsa_system_vgpr_workitem_id 2
		.amdhsa_next_free_vgpr 29
		.amdhsa_next_free_sgpr 18
		.amdhsa_reserve_vcc 1
		.amdhsa_float_round_mode_32 0
		.amdhsa_float_round_mode_16_64 0
		.amdhsa_float_denorm_mode_32 3
		.amdhsa_float_denorm_mode_16_64 3
		.amdhsa_dx10_clamp 1
		.amdhsa_ieee_mode 1
		.amdhsa_fp16_overflow 0
		.amdhsa_workgroup_processor_mode 1
		.amdhsa_memory_ordered 1
		.amdhsa_forward_progress 0
		.amdhsa_shared_vgpr_count 0
		.amdhsa_exception_fp_ieee_invalid_op 0
		.amdhsa_exception_fp_denorm_src 0
		.amdhsa_exception_fp_ieee_div_zero 0
		.amdhsa_exception_fp_ieee_overflow 0
		.amdhsa_exception_fp_ieee_underflow 0
		.amdhsa_exception_fp_ieee_inexact 0
		.amdhsa_exception_int_div_zero 0
	.end_amdhsa_kernel
	.section	.text._ZN9rocsparseL20bsrxmvn_17_32_kernelILj20E21rocsparse_complex_numIdEiiS2_S2_S2_EEvT2_20rocsparse_direction_NS_24const_host_device_scalarIT0_EES3_PKS3_PKT1_SC_S9_PKT3_PKT4_S7_PT5_21rocsparse_index_base_b,"axG",@progbits,_ZN9rocsparseL20bsrxmvn_17_32_kernelILj20E21rocsparse_complex_numIdEiiS2_S2_S2_EEvT2_20rocsparse_direction_NS_24const_host_device_scalarIT0_EES3_PKS3_PKT1_SC_S9_PKT3_PKT4_S7_PT5_21rocsparse_index_base_b,comdat
.Lfunc_end51:
	.size	_ZN9rocsparseL20bsrxmvn_17_32_kernelILj20E21rocsparse_complex_numIdEiiS2_S2_S2_EEvT2_20rocsparse_direction_NS_24const_host_device_scalarIT0_EES3_PKS3_PKT1_SC_S9_PKT3_PKT4_S7_PT5_21rocsparse_index_base_b, .Lfunc_end51-_ZN9rocsparseL20bsrxmvn_17_32_kernelILj20E21rocsparse_complex_numIdEiiS2_S2_S2_EEvT2_20rocsparse_direction_NS_24const_host_device_scalarIT0_EES3_PKS3_PKT1_SC_S9_PKT3_PKT4_S7_PT5_21rocsparse_index_base_b
                                        ; -- End function
	.section	.AMDGPU.csdata,"",@progbits
; Kernel info:
; codeLenInByte = 2052
; NumSgprs: 20
; NumVgprs: 29
; ScratchSize: 0
; MemoryBound: 0
; FloatMode: 240
; IeeeMode: 1
; LDSByteSize: 12800 bytes/workgroup (compile time only)
; SGPRBlocks: 2
; VGPRBlocks: 3
; NumSGPRsForWavesPerEU: 20
; NumVGPRsForWavesPerEU: 29
; Occupancy: 13
; WaveLimiterHint : 1
; COMPUTE_PGM_RSRC2:SCRATCH_EN: 0
; COMPUTE_PGM_RSRC2:USER_SGPR: 15
; COMPUTE_PGM_RSRC2:TRAP_HANDLER: 0
; COMPUTE_PGM_RSRC2:TGID_X_EN: 1
; COMPUTE_PGM_RSRC2:TGID_Y_EN: 0
; COMPUTE_PGM_RSRC2:TGID_Z_EN: 0
; COMPUTE_PGM_RSRC2:TIDIG_COMP_CNT: 2
	.section	.text._ZN9rocsparseL20bsrxmvn_17_32_kernelILj21E21rocsparse_complex_numIdEiiS2_S2_S2_EEvT2_20rocsparse_direction_NS_24const_host_device_scalarIT0_EES3_PKS3_PKT1_SC_S9_PKT3_PKT4_S7_PT5_21rocsparse_index_base_b,"axG",@progbits,_ZN9rocsparseL20bsrxmvn_17_32_kernelILj21E21rocsparse_complex_numIdEiiS2_S2_S2_EEvT2_20rocsparse_direction_NS_24const_host_device_scalarIT0_EES3_PKS3_PKT1_SC_S9_PKT3_PKT4_S7_PT5_21rocsparse_index_base_b,comdat
	.globl	_ZN9rocsparseL20bsrxmvn_17_32_kernelILj21E21rocsparse_complex_numIdEiiS2_S2_S2_EEvT2_20rocsparse_direction_NS_24const_host_device_scalarIT0_EES3_PKS3_PKT1_SC_S9_PKT3_PKT4_S7_PT5_21rocsparse_index_base_b ; -- Begin function _ZN9rocsparseL20bsrxmvn_17_32_kernelILj21E21rocsparse_complex_numIdEiiS2_S2_S2_EEvT2_20rocsparse_direction_NS_24const_host_device_scalarIT0_EES3_PKS3_PKT1_SC_S9_PKT3_PKT4_S7_PT5_21rocsparse_index_base_b
	.p2align	8
	.type	_ZN9rocsparseL20bsrxmvn_17_32_kernelILj21E21rocsparse_complex_numIdEiiS2_S2_S2_EEvT2_20rocsparse_direction_NS_24const_host_device_scalarIT0_EES3_PKS3_PKT1_SC_S9_PKT3_PKT4_S7_PT5_21rocsparse_index_base_b,@function
_ZN9rocsparseL20bsrxmvn_17_32_kernelILj21E21rocsparse_complex_numIdEiiS2_S2_S2_EEvT2_20rocsparse_direction_NS_24const_host_device_scalarIT0_EES3_PKS3_PKT1_SC_S9_PKT3_PKT4_S7_PT5_21rocsparse_index_base_b: ; @_ZN9rocsparseL20bsrxmvn_17_32_kernelILj21E21rocsparse_complex_numIdEiiS2_S2_S2_EEvT2_20rocsparse_direction_NS_24const_host_device_scalarIT0_EES3_PKS3_PKT1_SC_S9_PKT3_PKT4_S7_PT5_21rocsparse_index_base_b
; %bb.0:
	s_mov_b32 s12, s15
	s_clause 0x1
	s_load_b64 s[14:15], s[2:3], 0x68
	s_load_b128 s[4:7], s[2:3], 0x8
	s_load_b64 s[16:17], s[0:1], 0x4
	s_mov_b64 s[0:1], src_shared_base
	v_and_b32_e32 v4, 0x3ff, v0
	s_load_b128 s[8:11], s[2:3], 0x50
	v_bfe_u32 v2, v0, 10, 10
	v_bfe_u32 v0, v0, 20, 10
	s_waitcnt lgkmcnt(0)
	s_bitcmp1_b32 s15, 0
	v_mov_b32_e32 v12, s7
	s_cselect_b32 s0, -1, 0
	v_mov_b32_e32 v11, s6
	s_and_b32 vcc_lo, s0, exec_lo
	s_cselect_b32 s13, s1, s5
	s_lshr_b32 s15, s16, 16
	v_mov_b32_e32 v6, s13
	s_mul_i32 s15, s15, s17
	s_xor_b32 s6, s0, -1
	v_mul_lo_u32 v1, s15, v4
	s_delay_alu instid0(VALU_DEP_1) | instskip(SKIP_1) | instid1(VALU_DEP_2)
	v_mad_u32_u24 v1, v2, s17, v1
	v_dual_mov_b32 v2, s8 :: v_dual_mov_b32 v3, s9
	v_add_lshl_u32 v7, v1, v0, 3
	v_dual_mov_b32 v0, s4 :: v_dual_mov_b32 v1, s5
	ds_store_b64 v7, v[0:1] offset:10584
	ds_store_b64 v7, v[2:3] offset:7056
	v_add_nc_u32_e32 v5, 0x2958, v7
	v_add_nc_u32_e32 v0, 0x1b90, v7
	s_delay_alu instid0(VALU_DEP_2)
	v_cndmask_b32_e64 v5, s4, v5, s0
	flat_load_b64 v[9:10], v[5:6]
	s_cbranch_vccnz .LBB52_2
; %bb.1:
	v_dual_mov_b32 v1, s4 :: v_dual_mov_b32 v2, s5
	flat_load_b64 v[11:12], v[1:2] offset:8
.LBB52_2:
	s_and_b32 s4, s0, exec_lo
	s_cselect_b32 s1, s1, s9
	v_cndmask_b32_e64 v0, s8, v0, s0
	v_mov_b32_e32 v1, s1
	v_dual_mov_b32 v7, s10 :: v_dual_mov_b32 v8, s11
	s_and_not1_b32 vcc_lo, exec_lo, s6
	flat_load_b64 v[5:6], v[0:1]
	s_cbranch_vccnz .LBB52_4
; %bb.3:
	v_dual_mov_b32 v0, s8 :: v_dual_mov_b32 v1, s9
	flat_load_b64 v[7:8], v[0:1] offset:8
.LBB52_4:
	s_waitcnt vmcnt(1) lgkmcnt(1)
	v_cmp_eq_f64_e32 vcc_lo, 0, v[9:10]
	v_cmp_eq_f64_e64 s0, 0, v[11:12]
	s_delay_alu instid0(VALU_DEP_1)
	s_and_b32 s4, vcc_lo, s0
	s_mov_b32 s0, -1
	s_and_saveexec_b32 s1, s4
	s_cbranch_execz .LBB52_6
; %bb.5:
	s_waitcnt vmcnt(0) lgkmcnt(0)
	v_cmp_neq_f64_e32 vcc_lo, 1.0, v[5:6]
	v_cmp_neq_f64_e64 s0, 0, v[7:8]
	s_delay_alu instid0(VALU_DEP_1) | instskip(NEXT) | instid1(SALU_CYCLE_1)
	s_or_b32 s0, vcc_lo, s0
	s_or_not1_b32 s0, s0, exec_lo
.LBB52_6:
	s_or_b32 exec_lo, exec_lo, s1
	s_and_saveexec_b32 s1, s0
	s_cbranch_execz .LBB52_43
; %bb.7:
	s_clause 0x1
	s_load_b128 s[4:7], s[2:3], 0x20
	s_load_b64 s[0:1], s[2:3], 0x30
	s_waitcnt lgkmcnt(0)
	s_cmp_eq_u64 s[4:5], 0
	s_cbranch_scc1 .LBB52_9
; %bb.8:
	s_ashr_i32 s13, s12, 31
	s_delay_alu instid0(SALU_CYCLE_1) | instskip(NEXT) | instid1(SALU_CYCLE_1)
	s_lshl_b64 s[8:9], s[12:13], 2
	s_add_u32 s4, s4, s8
	s_addc_u32 s5, s5, s9
	s_load_b32 s4, s[4:5], 0x0
	s_waitcnt lgkmcnt(0)
	s_sub_i32 s12, s4, s14
.LBB52_9:
	s_load_b32 s4, s[2:3], 0x4
	v_mul_u32_u24_e32 v0, 0xc31, v4
	v_mov_b32_e32 v2, 0
	v_dual_mov_b32 v3, 0 :: v_dual_lshlrev_b32 v18, 4, v4
	s_delay_alu instid0(VALU_DEP_3) | instskip(NEXT) | instid1(VALU_DEP_1)
	v_lshrrev_b32_e32 v13, 16, v0
	v_mul_lo_u16 v0, v13, 21
	s_delay_alu instid0(VALU_DEP_1) | instskip(NEXT) | instid1(VALU_DEP_4)
	v_sub_nc_u16 v19, v4, v0
	v_dual_mov_b32 v0, v2 :: v_dual_mov_b32 v1, v3
	s_waitcnt lgkmcnt(0)
	s_cmp_eq_u32 s4, 1
	s_cselect_b32 vcc_lo, -1, 0
	s_cmp_lg_u32 s4, 1
	s_cselect_b32 s10, -1, 0
	s_ashr_i32 s13, s12, 31
	s_delay_alu instid0(SALU_CYCLE_1) | instskip(NEXT) | instid1(SALU_CYCLE_1)
	s_lshl_b64 s[4:5], s[12:13], 2
	s_add_u32 s6, s6, s4
	s_addc_u32 s7, s7, s5
	s_add_u32 s8, s6, 4
	s_addc_u32 s9, s7, 0
	;; [unrolled: 2-line block ×3, first 2 shown]
	s_cmp_eq_u64 s[0:1], 0
	s_cselect_b32 s1, s9, s5
	s_cselect_b32 s0, s8, s4
	s_load_b32 s11, s[6:7], 0x0
	s_load_b32 s13, s[0:1], 0x0
	s_load_b64 s[8:9], s[2:3], 0x60
	s_waitcnt lgkmcnt(0)
	s_cmp_ge_i32 s11, s13
	s_cbranch_scc1 .LBB52_14
; %bb.10:
	v_mul_lo_u16 v0, v13, 25
	s_clause 0x1
	s_load_b128 s[4:7], s[2:3], 0x38
	s_load_b64 s[0:1], s[2:3], 0x48
	v_dual_mov_b32 v2, 0 :: v_dual_and_b32 v1, 0xffff, v4
	v_lshrrev_b16 v0, 9, v0
	s_sub_i32 s3, s11, s14
	s_sub_i32 s2, s13, s14
	s_delay_alu instid0(VALU_DEP_2) | instskip(SKIP_3) | instid1(VALU_DEP_2)
	v_mul_u32_u24_e32 v1, 0x253, v1
	s_mul_i32 s13, s3, 0x1b90
	v_mul_lo_u16 v0, v0, 21
	s_mul_hi_i32 s11, s3, 0x1b90
	v_lshrrev_b32_e32 v20, 18, v1
	s_delay_alu instid0(VALU_DEP_2) | instskip(NEXT) | instid1(VALU_DEP_1)
	v_sub_nc_u16 v0, v13, v0
	v_dual_mov_b32 v3, 0 :: v_dual_and_b32 v0, 0xff, v0
	v_and_b32_e32 v15, 0xffff, v19
	s_waitcnt lgkmcnt(0)
	s_add_u32 s6, s6, s13
	s_addc_u32 s7, s7, s11
	v_add_co_u32 v13, s6, s6, v18
	v_dual_cndmask_b32 v15, v15, v0 :: v_dual_mov_b32 v0, v2
	v_add_co_ci_u32_e64 v14, null, s7, 0, s6
	v_mov_b32_e32 v1, v3
	s_set_inst_prefetch_distance 0x1
	s_branch .LBB52_12
	.p2align	6
.LBB52_11:                              ;   in Loop: Header=BB52_12 Depth=1
	s_or_b32 exec_lo, exec_lo, s6
	s_add_i32 s3, s3, 1
	s_delay_alu instid0(SALU_CYCLE_1)
	s_cmp_lt_i32 s3, s2
	s_cbranch_scc0 .LBB52_14
.LBB52_12:                              ; =>This Inner Loop Header: Depth=1
	v_add_nc_u32_e32 v16, s3, v20
	s_mov_b32 s6, exec_lo
	s_delay_alu instid0(VALU_DEP_1)
	v_cmpx_gt_i32_e64 s2, v16
	s_cbranch_execz .LBB52_11
; %bb.13:                               ;   in Loop: Header=BB52_12 Depth=1
	v_ashrrev_i32_e32 v17, 31, v16
	s_delay_alu instid0(VALU_DEP_1) | instskip(NEXT) | instid1(VALU_DEP_1)
	v_lshlrev_b64 v[16:17], 2, v[16:17]
	v_add_co_u32 v16, vcc_lo, s4, v16
	s_delay_alu instid0(VALU_DEP_2) | instskip(SKIP_3) | instid1(VALU_DEP_1)
	v_add_co_ci_u32_e32 v17, vcc_lo, s5, v17, vcc_lo
	global_load_b32 v16, v[16:17], off
	s_waitcnt vmcnt(0)
	v_subrev_nc_u32_e32 v21, s14, v16
	v_mad_u64_u32 v[16:17], null, v21, 21, v[15:16]
	s_delay_alu instid0(VALU_DEP_1) | instskip(NEXT) | instid1(VALU_DEP_1)
	v_ashrrev_i32_e32 v17, 31, v16
	v_lshlrev_b64 v[16:17], 4, v[16:17]
	s_delay_alu instid0(VALU_DEP_1) | instskip(NEXT) | instid1(VALU_DEP_2)
	v_add_co_u32 v16, vcc_lo, s0, v16
	v_add_co_ci_u32_e32 v17, vcc_lo, s1, v17, vcc_lo
	global_load_b128 v[21:24], v[13:14], off
	global_load_b128 v[25:28], v[16:17], off
	v_add_co_u32 v13, vcc_lo, 0x1b90, v13
	v_add_co_ci_u32_e32 v14, vcc_lo, 0, v14, vcc_lo
	s_waitcnt vmcnt(0)
	v_fma_f64 v[0:1], v[21:22], v[25:26], v[0:1]
	v_fma_f64 v[2:3], v[23:24], v[25:26], v[2:3]
	s_delay_alu instid0(VALU_DEP_2) | instskip(NEXT) | instid1(VALU_DEP_2)
	v_fma_f64 v[0:1], -v[23:24], v[27:28], v[0:1]
	v_fma_f64 v[2:3], v[21:22], v[27:28], v[2:3]
	s_branch .LBB52_11
.LBB52_14:
	s_set_inst_prefetch_distance 0x2
	s_and_b32 vcc_lo, exec_lo, s10
	ds_store_b128 v18, v[0:3]
	s_waitcnt vmcnt(0) lgkmcnt(0)
	s_barrier
	buffer_gl0_inv
	s_cbranch_vccz .LBB52_26
; %bb.15:
	s_mov_b32 s0, exec_lo
	v_cmpx_gt_u16_e32 5, v19
	s_cbranch_execz .LBB52_17
; %bb.16:
	ds_load_b128 v[13:16], v18 offset:256
	ds_load_b128 v[20:23], v18
	s_waitcnt lgkmcnt(0)
	v_add_f64 v[13:14], v[13:14], v[20:21]
	v_add_f64 v[15:16], v[15:16], v[22:23]
	ds_store_b128 v18, v[13:16]
.LBB52_17:
	s_or_b32 exec_lo, exec_lo, s0
	s_delay_alu instid0(SALU_CYCLE_1)
	s_mov_b32 s0, exec_lo
	s_waitcnt lgkmcnt(0)
	s_barrier
	buffer_gl0_inv
	v_cmpx_gt_u16_e32 8, v19
	s_cbranch_execz .LBB52_19
; %bb.18:
	ds_load_b128 v[13:16], v18 offset:128
	ds_load_b128 v[20:23], v18
	s_waitcnt lgkmcnt(0)
	v_add_f64 v[13:14], v[13:14], v[20:21]
	v_add_f64 v[15:16], v[15:16], v[22:23]
	ds_store_b128 v18, v[13:16]
.LBB52_19:
	s_or_b32 exec_lo, exec_lo, s0
	s_delay_alu instid0(SALU_CYCLE_1)
	s_mov_b32 s0, exec_lo
	s_waitcnt lgkmcnt(0)
	s_barrier
	buffer_gl0_inv
	;; [unrolled: 16-line block ×3, first 2 shown]
	v_cmpx_gt_u16_e32 2, v19
	s_cbranch_execz .LBB52_23
; %bb.22:
	ds_load_b128 v[13:16], v18
	ds_load_b128 v[19:22], v18 offset:32
	s_waitcnt lgkmcnt(0)
	v_add_f64 v[13:14], v[19:20], v[13:14]
	v_add_f64 v[15:16], v[21:22], v[15:16]
	ds_store_b128 v18, v[13:16]
.LBB52_23:
	s_or_b32 exec_lo, exec_lo, s0
	v_dual_mov_b32 v16, v3 :: v_dual_mov_b32 v15, v2
	v_dual_mov_b32 v14, v1 :: v_dual_mov_b32 v13, v0
	s_mov_b32 s0, exec_lo
	s_waitcnt lgkmcnt(0)
	s_barrier
	buffer_gl0_inv
	v_cmpx_gt_u32_e32 21, v4
	s_cbranch_execz .LBB52_25
; %bb.24:
	v_mul_u32_u24_e32 v13, 21, v4
	s_delay_alu instid0(VALU_DEP_1)
	v_lshlrev_b32_e32 v17, 4, v13
	ds_load_b128 v[13:16], v17
	ds_load_b128 v[19:22], v17 offset:16
	s_waitcnt lgkmcnt(0)
	v_add_f64 v[13:14], v[19:20], v[13:14]
	v_add_f64 v[15:16], v[21:22], v[15:16]
.LBB52_25:
	s_or_b32 exec_lo, exec_lo, s0
	s_branch .LBB52_38
.LBB52_26:
                                        ; implicit-def: $vgpr15_vgpr16
                                        ; implicit-def: $vgpr13_vgpr14
	s_cbranch_execz .LBB52_38
; %bb.27:
	s_mov_b32 s0, exec_lo
	v_cmpx_gt_u32_e32 0x69, v4
	s_cbranch_execz .LBB52_29
; %bb.28:
	ds_load_b128 v[13:16], v18 offset:5376
	ds_load_b128 v[19:22], v18
	s_waitcnt lgkmcnt(0)
	v_add_f64 v[13:14], v[13:14], v[19:20]
	v_add_f64 v[15:16], v[15:16], v[21:22]
	ds_store_b128 v18, v[13:16]
.LBB52_29:
	s_or_b32 exec_lo, exec_lo, s0
	s_delay_alu instid0(SALU_CYCLE_1)
	s_mov_b32 s0, exec_lo
	s_waitcnt lgkmcnt(0)
	s_barrier
	buffer_gl0_inv
	v_cmpx_gt_u32_e32 0xa8, v4
	s_cbranch_execz .LBB52_31
; %bb.30:
	ds_load_b128 v[13:16], v18 offset:2688
	ds_load_b128 v[19:22], v18
	s_waitcnt lgkmcnt(0)
	v_add_f64 v[13:14], v[13:14], v[19:20]
	v_add_f64 v[15:16], v[15:16], v[21:22]
	ds_store_b128 v18, v[13:16]
.LBB52_31:
	s_or_b32 exec_lo, exec_lo, s0
	s_delay_alu instid0(SALU_CYCLE_1)
	s_mov_b32 s0, exec_lo
	s_waitcnt lgkmcnt(0)
	s_barrier
	buffer_gl0_inv
	;; [unrolled: 16-line block ×3, first 2 shown]
	v_cmpx_gt_u32_e32 42, v4
	s_cbranch_execz .LBB52_35
; %bb.34:
	ds_load_b128 v[13:16], v18 offset:672
	ds_load_b128 v[19:22], v18
	s_waitcnt lgkmcnt(0)
	v_add_f64 v[13:14], v[13:14], v[19:20]
	v_add_f64 v[15:16], v[15:16], v[21:22]
	ds_store_b128 v18, v[13:16]
.LBB52_35:
	s_or_b32 exec_lo, exec_lo, s0
	s_delay_alu instid0(SALU_CYCLE_1)
	s_mov_b32 s0, exec_lo
	s_waitcnt lgkmcnt(0)
	buffer_gl0_inv
	v_cmpx_gt_u32_e32 21, v4
	s_cbranch_execz .LBB52_37
; %bb.36:
	ds_load_b128 v[0:3], v18 offset:336
	ds_load_b128 v[13:16], v18
	s_waitcnt lgkmcnt(0)
	v_add_f64 v[0:1], v[0:1], v[13:14]
	v_add_f64 v[2:3], v[2:3], v[15:16]
.LBB52_37:
	s_or_b32 exec_lo, exec_lo, s0
	s_delay_alu instid0(VALU_DEP_1) | instskip(NEXT) | instid1(VALU_DEP_3)
	v_dual_mov_b32 v16, v3 :: v_dual_mov_b32 v15, v2
	v_dual_mov_b32 v14, v1 :: v_dual_mov_b32 v13, v0
.LBB52_38:
	v_cmp_gt_u32_e32 vcc_lo, 21, v4
	s_and_b32 exec_lo, exec_lo, vcc_lo
	s_cbranch_execz .LBB52_43
; %bb.39:
	s_delay_alu instid0(VALU_DEP_2) | instskip(SKIP_3) | instid1(VALU_DEP_4)
	v_mul_f64 v[0:1], v[15:16], -v[11:12]
	v_mul_f64 v[2:3], v[9:10], v[15:16]
	v_cmp_eq_f64_e32 vcc_lo, 0, v[5:6]
	v_cmp_eq_f64_e64 s0, 0, v[7:8]
	v_fma_f64 v[0:1], v[9:10], v[13:14], v[0:1]
	s_delay_alu instid0(VALU_DEP_4) | instskip(NEXT) | instid1(VALU_DEP_3)
	v_fma_f64 v[2:3], v[11:12], v[13:14], v[2:3]
	s_and_b32 s0, vcc_lo, s0
	s_delay_alu instid0(SALU_CYCLE_1) | instskip(NEXT) | instid1(SALU_CYCLE_1)
	s_and_saveexec_b32 s1, s0
	s_xor_b32 s0, exec_lo, s1
	s_cbranch_execz .LBB52_41
; %bb.40:
	v_mad_u64_u32 v[5:6], null, s12, 21, v[4:5]
	v_mov_b32_e32 v6, 0
                                        ; implicit-def: $vgpr7_vgpr8
	s_delay_alu instid0(VALU_DEP_1) | instskip(NEXT) | instid1(VALU_DEP_1)
	v_lshlrev_b64 v[4:5], 4, v[5:6]
	v_add_co_u32 v4, vcc_lo, s8, v4
	s_delay_alu instid0(VALU_DEP_2)
	v_add_co_ci_u32_e32 v5, vcc_lo, s9, v5, vcc_lo
	global_store_b128 v[4:5], v[0:3], off
                                        ; implicit-def: $vgpr4
                                        ; implicit-def: $vgpr5_vgpr6
                                        ; implicit-def: $vgpr0_vgpr1
.LBB52_41:
	s_and_not1_saveexec_b32 s0, s0
	s_cbranch_execz .LBB52_43
; %bb.42:
	v_mad_u64_u32 v[9:10], null, s12, 21, v[4:5]
	v_mov_b32_e32 v10, 0
	s_delay_alu instid0(VALU_DEP_1) | instskip(NEXT) | instid1(VALU_DEP_1)
	v_lshlrev_b64 v[9:10], 4, v[9:10]
	v_add_co_u32 v13, vcc_lo, s8, v9
	s_delay_alu instid0(VALU_DEP_2) | instskip(SKIP_4) | instid1(VALU_DEP_2)
	v_add_co_ci_u32_e32 v14, vcc_lo, s9, v10, vcc_lo
	global_load_b128 v[9:12], v[13:14], off
	s_waitcnt vmcnt(0)
	v_fma_f64 v[0:1], v[5:6], v[9:10], v[0:1]
	v_fma_f64 v[2:3], v[7:8], v[9:10], v[2:3]
	v_fma_f64 v[0:1], -v[7:8], v[11:12], v[0:1]
	s_delay_alu instid0(VALU_DEP_2)
	v_fma_f64 v[2:3], v[5:6], v[11:12], v[2:3]
	global_store_b128 v[13:14], v[0:3], off
.LBB52_43:
	s_nop 0
	s_sendmsg sendmsg(MSG_DEALLOC_VGPRS)
	s_endpgm
	.section	.rodata,"a",@progbits
	.p2align	6, 0x0
	.amdhsa_kernel _ZN9rocsparseL20bsrxmvn_17_32_kernelILj21E21rocsparse_complex_numIdEiiS2_S2_S2_EEvT2_20rocsparse_direction_NS_24const_host_device_scalarIT0_EES3_PKS3_PKT1_SC_S9_PKT3_PKT4_S7_PT5_21rocsparse_index_base_b
		.amdhsa_group_segment_fixed_size 14112
		.amdhsa_private_segment_fixed_size 0
		.amdhsa_kernarg_size 112
		.amdhsa_user_sgpr_count 15
		.amdhsa_user_sgpr_dispatch_ptr 1
		.amdhsa_user_sgpr_queue_ptr 0
		.amdhsa_user_sgpr_kernarg_segment_ptr 1
		.amdhsa_user_sgpr_dispatch_id 0
		.amdhsa_user_sgpr_private_segment_size 0
		.amdhsa_wavefront_size32 1
		.amdhsa_uses_dynamic_stack 0
		.amdhsa_enable_private_segment 0
		.amdhsa_system_sgpr_workgroup_id_x 1
		.amdhsa_system_sgpr_workgroup_id_y 0
		.amdhsa_system_sgpr_workgroup_id_z 0
		.amdhsa_system_sgpr_workgroup_info 0
		.amdhsa_system_vgpr_workitem_id 2
		.amdhsa_next_free_vgpr 29
		.amdhsa_next_free_sgpr 18
		.amdhsa_reserve_vcc 1
		.amdhsa_float_round_mode_32 0
		.amdhsa_float_round_mode_16_64 0
		.amdhsa_float_denorm_mode_32 3
		.amdhsa_float_denorm_mode_16_64 3
		.amdhsa_dx10_clamp 1
		.amdhsa_ieee_mode 1
		.amdhsa_fp16_overflow 0
		.amdhsa_workgroup_processor_mode 1
		.amdhsa_memory_ordered 1
		.amdhsa_forward_progress 0
		.amdhsa_shared_vgpr_count 0
		.amdhsa_exception_fp_ieee_invalid_op 0
		.amdhsa_exception_fp_denorm_src 0
		.amdhsa_exception_fp_ieee_div_zero 0
		.amdhsa_exception_fp_ieee_overflow 0
		.amdhsa_exception_fp_ieee_underflow 0
		.amdhsa_exception_fp_ieee_inexact 0
		.amdhsa_exception_int_div_zero 0
	.end_amdhsa_kernel
	.section	.text._ZN9rocsparseL20bsrxmvn_17_32_kernelILj21E21rocsparse_complex_numIdEiiS2_S2_S2_EEvT2_20rocsparse_direction_NS_24const_host_device_scalarIT0_EES3_PKS3_PKT1_SC_S9_PKT3_PKT4_S7_PT5_21rocsparse_index_base_b,"axG",@progbits,_ZN9rocsparseL20bsrxmvn_17_32_kernelILj21E21rocsparse_complex_numIdEiiS2_S2_S2_EEvT2_20rocsparse_direction_NS_24const_host_device_scalarIT0_EES3_PKS3_PKT1_SC_S9_PKT3_PKT4_S7_PT5_21rocsparse_index_base_b,comdat
.Lfunc_end52:
	.size	_ZN9rocsparseL20bsrxmvn_17_32_kernelILj21E21rocsparse_complex_numIdEiiS2_S2_S2_EEvT2_20rocsparse_direction_NS_24const_host_device_scalarIT0_EES3_PKS3_PKT1_SC_S9_PKT3_PKT4_S7_PT5_21rocsparse_index_base_b, .Lfunc_end52-_ZN9rocsparseL20bsrxmvn_17_32_kernelILj21E21rocsparse_complex_numIdEiiS2_S2_S2_EEvT2_20rocsparse_direction_NS_24const_host_device_scalarIT0_EES3_PKS3_PKT1_SC_S9_PKT3_PKT4_S7_PT5_21rocsparse_index_base_b
                                        ; -- End function
	.section	.AMDGPU.csdata,"",@progbits
; Kernel info:
; codeLenInByte = 2072
; NumSgprs: 20
; NumVgprs: 29
; ScratchSize: 0
; MemoryBound: 0
; FloatMode: 240
; IeeeMode: 1
; LDSByteSize: 14112 bytes/workgroup (compile time only)
; SGPRBlocks: 2
; VGPRBlocks: 3
; NumSGPRsForWavesPerEU: 20
; NumVGPRsForWavesPerEU: 29
; Occupancy: 14
; WaveLimiterHint : 1
; COMPUTE_PGM_RSRC2:SCRATCH_EN: 0
; COMPUTE_PGM_RSRC2:USER_SGPR: 15
; COMPUTE_PGM_RSRC2:TRAP_HANDLER: 0
; COMPUTE_PGM_RSRC2:TGID_X_EN: 1
; COMPUTE_PGM_RSRC2:TGID_Y_EN: 0
; COMPUTE_PGM_RSRC2:TGID_Z_EN: 0
; COMPUTE_PGM_RSRC2:TIDIG_COMP_CNT: 2
	.section	.text._ZN9rocsparseL20bsrxmvn_17_32_kernelILj22E21rocsparse_complex_numIdEiiS2_S2_S2_EEvT2_20rocsparse_direction_NS_24const_host_device_scalarIT0_EES3_PKS3_PKT1_SC_S9_PKT3_PKT4_S7_PT5_21rocsparse_index_base_b,"axG",@progbits,_ZN9rocsparseL20bsrxmvn_17_32_kernelILj22E21rocsparse_complex_numIdEiiS2_S2_S2_EEvT2_20rocsparse_direction_NS_24const_host_device_scalarIT0_EES3_PKS3_PKT1_SC_S9_PKT3_PKT4_S7_PT5_21rocsparse_index_base_b,comdat
	.globl	_ZN9rocsparseL20bsrxmvn_17_32_kernelILj22E21rocsparse_complex_numIdEiiS2_S2_S2_EEvT2_20rocsparse_direction_NS_24const_host_device_scalarIT0_EES3_PKS3_PKT1_SC_S9_PKT3_PKT4_S7_PT5_21rocsparse_index_base_b ; -- Begin function _ZN9rocsparseL20bsrxmvn_17_32_kernelILj22E21rocsparse_complex_numIdEiiS2_S2_S2_EEvT2_20rocsparse_direction_NS_24const_host_device_scalarIT0_EES3_PKS3_PKT1_SC_S9_PKT3_PKT4_S7_PT5_21rocsparse_index_base_b
	.p2align	8
	.type	_ZN9rocsparseL20bsrxmvn_17_32_kernelILj22E21rocsparse_complex_numIdEiiS2_S2_S2_EEvT2_20rocsparse_direction_NS_24const_host_device_scalarIT0_EES3_PKS3_PKT1_SC_S9_PKT3_PKT4_S7_PT5_21rocsparse_index_base_b,@function
_ZN9rocsparseL20bsrxmvn_17_32_kernelILj22E21rocsparse_complex_numIdEiiS2_S2_S2_EEvT2_20rocsparse_direction_NS_24const_host_device_scalarIT0_EES3_PKS3_PKT1_SC_S9_PKT3_PKT4_S7_PT5_21rocsparse_index_base_b: ; @_ZN9rocsparseL20bsrxmvn_17_32_kernelILj22E21rocsparse_complex_numIdEiiS2_S2_S2_EEvT2_20rocsparse_direction_NS_24const_host_device_scalarIT0_EES3_PKS3_PKT1_SC_S9_PKT3_PKT4_S7_PT5_21rocsparse_index_base_b
; %bb.0:
	s_mov_b32 s12, s15
	s_clause 0x1
	s_load_b64 s[14:15], s[2:3], 0x68
	s_load_b128 s[4:7], s[2:3], 0x8
	s_load_b64 s[16:17], s[0:1], 0x4
	s_mov_b64 s[0:1], src_shared_base
	v_and_b32_e32 v4, 0x3ff, v0
	s_load_b128 s[8:11], s[2:3], 0x50
	v_bfe_u32 v2, v0, 10, 10
	v_bfe_u32 v0, v0, 20, 10
	s_waitcnt lgkmcnt(0)
	s_bitcmp1_b32 s15, 0
	v_mov_b32_e32 v12, s7
	s_cselect_b32 s0, -1, 0
	v_mov_b32_e32 v11, s6
	s_and_b32 vcc_lo, s0, exec_lo
	s_cselect_b32 s13, s1, s5
	s_lshr_b32 s15, s16, 16
	v_mov_b32_e32 v6, s13
	s_mul_i32 s15, s15, s17
	s_xor_b32 s6, s0, -1
	v_mul_lo_u32 v1, s15, v4
	s_delay_alu instid0(VALU_DEP_1) | instskip(SKIP_1) | instid1(VALU_DEP_2)
	v_mad_u32_u24 v1, v2, s17, v1
	v_dual_mov_b32 v2, s8 :: v_dual_mov_b32 v3, s9
	v_add_lshl_u32 v7, v1, v0, 3
	v_dual_mov_b32 v0, s4 :: v_dual_mov_b32 v1, s5
	ds_store_b64 v7, v[0:1] offset:11616
	ds_store_b64 v7, v[2:3] offset:7744
	v_add_nc_u32_e32 v5, 0x2d60, v7
	v_add_nc_u32_e32 v0, 0x1e40, v7
	s_delay_alu instid0(VALU_DEP_2)
	v_cndmask_b32_e64 v5, s4, v5, s0
	flat_load_b64 v[9:10], v[5:6]
	s_cbranch_vccnz .LBB53_2
; %bb.1:
	v_dual_mov_b32 v1, s4 :: v_dual_mov_b32 v2, s5
	flat_load_b64 v[11:12], v[1:2] offset:8
.LBB53_2:
	s_and_b32 s4, s0, exec_lo
	s_cselect_b32 s1, s1, s9
	v_cndmask_b32_e64 v0, s8, v0, s0
	v_mov_b32_e32 v1, s1
	v_dual_mov_b32 v7, s10 :: v_dual_mov_b32 v8, s11
	s_and_not1_b32 vcc_lo, exec_lo, s6
	flat_load_b64 v[5:6], v[0:1]
	s_cbranch_vccnz .LBB53_4
; %bb.3:
	v_dual_mov_b32 v0, s8 :: v_dual_mov_b32 v1, s9
	flat_load_b64 v[7:8], v[0:1] offset:8
.LBB53_4:
	s_waitcnt vmcnt(1) lgkmcnt(1)
	v_cmp_eq_f64_e32 vcc_lo, 0, v[9:10]
	v_cmp_eq_f64_e64 s0, 0, v[11:12]
	s_delay_alu instid0(VALU_DEP_1)
	s_and_b32 s4, vcc_lo, s0
	s_mov_b32 s0, -1
	s_and_saveexec_b32 s1, s4
	s_cbranch_execz .LBB53_6
; %bb.5:
	s_waitcnt vmcnt(0) lgkmcnt(0)
	v_cmp_neq_f64_e32 vcc_lo, 1.0, v[5:6]
	v_cmp_neq_f64_e64 s0, 0, v[7:8]
	s_delay_alu instid0(VALU_DEP_1) | instskip(NEXT) | instid1(SALU_CYCLE_1)
	s_or_b32 s0, vcc_lo, s0
	s_or_not1_b32 s0, s0, exec_lo
.LBB53_6:
	s_or_b32 exec_lo, exec_lo, s1
	s_and_saveexec_b32 s1, s0
	s_cbranch_execz .LBB53_43
; %bb.7:
	s_clause 0x1
	s_load_b128 s[4:7], s[2:3], 0x20
	s_load_b64 s[0:1], s[2:3], 0x30
	s_waitcnt lgkmcnt(0)
	s_cmp_eq_u64 s[4:5], 0
	s_cbranch_scc1 .LBB53_9
; %bb.8:
	s_ashr_i32 s13, s12, 31
	s_delay_alu instid0(SALU_CYCLE_1) | instskip(NEXT) | instid1(SALU_CYCLE_1)
	s_lshl_b64 s[8:9], s[12:13], 2
	s_add_u32 s4, s4, s8
	s_addc_u32 s5, s5, s9
	s_load_b32 s4, s[4:5], 0x0
	s_waitcnt lgkmcnt(0)
	s_sub_i32 s12, s4, s14
.LBB53_9:
	s_load_b32 s4, s[2:3], 0x4
	v_mul_u32_u24_e32 v0, 0xba3, v4
	v_mov_b32_e32 v2, 0
	v_dual_mov_b32 v3, 0 :: v_dual_lshlrev_b32 v18, 4, v4
	s_delay_alu instid0(VALU_DEP_3) | instskip(NEXT) | instid1(VALU_DEP_1)
	v_lshrrev_b32_e32 v13, 16, v0
	v_mul_lo_u16 v0, v13, 22
	s_delay_alu instid0(VALU_DEP_1) | instskip(NEXT) | instid1(VALU_DEP_4)
	v_sub_nc_u16 v19, v4, v0
	v_dual_mov_b32 v0, v2 :: v_dual_mov_b32 v1, v3
	s_waitcnt lgkmcnt(0)
	s_cmp_eq_u32 s4, 1
	s_cselect_b32 vcc_lo, -1, 0
	s_cmp_lg_u32 s4, 1
	s_cselect_b32 s10, -1, 0
	s_ashr_i32 s13, s12, 31
	s_delay_alu instid0(SALU_CYCLE_1) | instskip(NEXT) | instid1(SALU_CYCLE_1)
	s_lshl_b64 s[4:5], s[12:13], 2
	s_add_u32 s6, s6, s4
	s_addc_u32 s7, s7, s5
	s_add_u32 s8, s6, 4
	s_addc_u32 s9, s7, 0
	;; [unrolled: 2-line block ×3, first 2 shown]
	s_cmp_eq_u64 s[0:1], 0
	s_cselect_b32 s1, s9, s5
	s_cselect_b32 s0, s8, s4
	s_load_b32 s11, s[6:7], 0x0
	s_load_b32 s13, s[0:1], 0x0
	s_load_b64 s[8:9], s[2:3], 0x60
	s_waitcnt lgkmcnt(0)
	s_cmp_ge_i32 s11, s13
	s_cbranch_scc1 .LBB53_14
; %bb.10:
	v_mul_lo_u16 v0, v13, 12
	s_clause 0x1
	s_load_b128 s[4:7], s[2:3], 0x38
	s_load_b64 s[0:1], s[2:3], 0x48
	v_dual_mov_b32 v2, 0 :: v_dual_and_b32 v1, 0xffff, v4
	v_lshrrev_b16 v0, 8, v0
	s_sub_i32 s3, s11, s14
	s_sub_i32 s2, s13, s14
	s_delay_alu instid0(VALU_DEP_2) | instskip(SKIP_3) | instid1(VALU_DEP_2)
	v_mul_u32_u24_e32 v1, 0x10f, v1
	s_mul_i32 s13, s3, 0x1e40
	v_mul_lo_u16 v0, v0, 22
	s_mul_hi_i32 s11, s3, 0x1e40
	v_lshrrev_b32_e32 v20, 17, v1
	s_delay_alu instid0(VALU_DEP_2) | instskip(NEXT) | instid1(VALU_DEP_1)
	v_sub_nc_u16 v0, v13, v0
	v_dual_mov_b32 v3, 0 :: v_dual_and_b32 v0, 0xff, v0
	v_and_b32_e32 v15, 0xffff, v19
	s_waitcnt lgkmcnt(0)
	s_add_u32 s6, s6, s13
	s_addc_u32 s7, s7, s11
	v_add_co_u32 v13, s6, s6, v18
	v_dual_cndmask_b32 v15, v15, v0 :: v_dual_mov_b32 v0, v2
	v_add_co_ci_u32_e64 v14, null, s7, 0, s6
	v_mov_b32_e32 v1, v3
	s_set_inst_prefetch_distance 0x1
	s_branch .LBB53_12
	.p2align	6
.LBB53_11:                              ;   in Loop: Header=BB53_12 Depth=1
	s_or_b32 exec_lo, exec_lo, s6
	s_add_i32 s3, s3, 1
	s_delay_alu instid0(SALU_CYCLE_1)
	s_cmp_lt_i32 s3, s2
	s_cbranch_scc0 .LBB53_14
.LBB53_12:                              ; =>This Inner Loop Header: Depth=1
	v_add_nc_u32_e32 v16, s3, v20
	s_mov_b32 s6, exec_lo
	s_delay_alu instid0(VALU_DEP_1)
	v_cmpx_gt_i32_e64 s2, v16
	s_cbranch_execz .LBB53_11
; %bb.13:                               ;   in Loop: Header=BB53_12 Depth=1
	v_ashrrev_i32_e32 v17, 31, v16
	s_delay_alu instid0(VALU_DEP_1) | instskip(NEXT) | instid1(VALU_DEP_1)
	v_lshlrev_b64 v[16:17], 2, v[16:17]
	v_add_co_u32 v16, vcc_lo, s4, v16
	s_delay_alu instid0(VALU_DEP_2) | instskip(SKIP_3) | instid1(VALU_DEP_1)
	v_add_co_ci_u32_e32 v17, vcc_lo, s5, v17, vcc_lo
	global_load_b32 v16, v[16:17], off
	s_waitcnt vmcnt(0)
	v_subrev_nc_u32_e32 v21, s14, v16
	v_mad_u64_u32 v[16:17], null, v21, 22, v[15:16]
	s_delay_alu instid0(VALU_DEP_1) | instskip(NEXT) | instid1(VALU_DEP_1)
	v_ashrrev_i32_e32 v17, 31, v16
	v_lshlrev_b64 v[16:17], 4, v[16:17]
	s_delay_alu instid0(VALU_DEP_1) | instskip(NEXT) | instid1(VALU_DEP_2)
	v_add_co_u32 v16, vcc_lo, s0, v16
	v_add_co_ci_u32_e32 v17, vcc_lo, s1, v17, vcc_lo
	global_load_b128 v[21:24], v[13:14], off
	global_load_b128 v[25:28], v[16:17], off
	v_add_co_u32 v13, vcc_lo, 0x1e40, v13
	v_add_co_ci_u32_e32 v14, vcc_lo, 0, v14, vcc_lo
	s_waitcnt vmcnt(0)
	v_fma_f64 v[0:1], v[21:22], v[25:26], v[0:1]
	v_fma_f64 v[2:3], v[23:24], v[25:26], v[2:3]
	s_delay_alu instid0(VALU_DEP_2) | instskip(NEXT) | instid1(VALU_DEP_2)
	v_fma_f64 v[0:1], -v[23:24], v[27:28], v[0:1]
	v_fma_f64 v[2:3], v[21:22], v[27:28], v[2:3]
	s_branch .LBB53_11
.LBB53_14:
	s_set_inst_prefetch_distance 0x2
	s_and_b32 vcc_lo, exec_lo, s10
	ds_store_b128 v18, v[0:3]
	s_waitcnt vmcnt(0) lgkmcnt(0)
	s_barrier
	buffer_gl0_inv
	s_cbranch_vccz .LBB53_26
; %bb.15:
	s_mov_b32 s0, exec_lo
	v_cmpx_gt_u16_e32 6, v19
	s_cbranch_execz .LBB53_17
; %bb.16:
	ds_load_b128 v[13:16], v18 offset:256
	ds_load_b128 v[20:23], v18
	s_waitcnt lgkmcnt(0)
	v_add_f64 v[13:14], v[13:14], v[20:21]
	v_add_f64 v[15:16], v[15:16], v[22:23]
	ds_store_b128 v18, v[13:16]
.LBB53_17:
	s_or_b32 exec_lo, exec_lo, s0
	s_delay_alu instid0(SALU_CYCLE_1)
	s_mov_b32 s0, exec_lo
	s_waitcnt lgkmcnt(0)
	s_barrier
	buffer_gl0_inv
	v_cmpx_gt_u16_e32 8, v19
	s_cbranch_execz .LBB53_19
; %bb.18:
	ds_load_b128 v[13:16], v18 offset:128
	ds_load_b128 v[20:23], v18
	s_waitcnt lgkmcnt(0)
	v_add_f64 v[13:14], v[13:14], v[20:21]
	v_add_f64 v[15:16], v[15:16], v[22:23]
	ds_store_b128 v18, v[13:16]
.LBB53_19:
	s_or_b32 exec_lo, exec_lo, s0
	s_delay_alu instid0(SALU_CYCLE_1)
	s_mov_b32 s0, exec_lo
	s_waitcnt lgkmcnt(0)
	s_barrier
	buffer_gl0_inv
	;; [unrolled: 16-line block ×3, first 2 shown]
	v_cmpx_gt_u16_e32 2, v19
	s_cbranch_execz .LBB53_23
; %bb.22:
	ds_load_b128 v[13:16], v18
	ds_load_b128 v[19:22], v18 offset:32
	s_waitcnt lgkmcnt(0)
	v_add_f64 v[13:14], v[19:20], v[13:14]
	v_add_f64 v[15:16], v[21:22], v[15:16]
	ds_store_b128 v18, v[13:16]
.LBB53_23:
	s_or_b32 exec_lo, exec_lo, s0
	v_dual_mov_b32 v16, v3 :: v_dual_mov_b32 v15, v2
	v_dual_mov_b32 v14, v1 :: v_dual_mov_b32 v13, v0
	s_mov_b32 s0, exec_lo
	s_waitcnt lgkmcnt(0)
	s_barrier
	buffer_gl0_inv
	v_cmpx_gt_u32_e32 22, v4
	s_cbranch_execz .LBB53_25
; %bb.24:
	v_mul_u32_u24_e32 v13, 22, v4
	s_delay_alu instid0(VALU_DEP_1)
	v_lshlrev_b32_e32 v17, 4, v13
	ds_load_b128 v[13:16], v17
	ds_load_b128 v[19:22], v17 offset:16
	s_waitcnt lgkmcnt(0)
	v_add_f64 v[13:14], v[19:20], v[13:14]
	v_add_f64 v[15:16], v[21:22], v[15:16]
.LBB53_25:
	s_or_b32 exec_lo, exec_lo, s0
	s_branch .LBB53_38
.LBB53_26:
                                        ; implicit-def: $vgpr15_vgpr16
                                        ; implicit-def: $vgpr13_vgpr14
	s_cbranch_execz .LBB53_38
; %bb.27:
	s_mov_b32 s0, exec_lo
	v_cmpx_gt_u32_e32 0x84, v4
	s_cbranch_execz .LBB53_29
; %bb.28:
	ds_load_b128 v[13:16], v18 offset:5632
	ds_load_b128 v[19:22], v18
	s_waitcnt lgkmcnt(0)
	v_add_f64 v[13:14], v[13:14], v[19:20]
	v_add_f64 v[15:16], v[15:16], v[21:22]
	ds_store_b128 v18, v[13:16]
.LBB53_29:
	s_or_b32 exec_lo, exec_lo, s0
	s_delay_alu instid0(SALU_CYCLE_1)
	s_mov_b32 s0, exec_lo
	s_waitcnt lgkmcnt(0)
	s_barrier
	buffer_gl0_inv
	v_cmpx_gt_u32_e32 0xb0, v4
	s_cbranch_execz .LBB53_31
; %bb.30:
	ds_load_b128 v[13:16], v18 offset:2816
	ds_load_b128 v[19:22], v18
	s_waitcnt lgkmcnt(0)
	v_add_f64 v[13:14], v[13:14], v[19:20]
	v_add_f64 v[15:16], v[15:16], v[21:22]
	ds_store_b128 v18, v[13:16]
.LBB53_31:
	s_or_b32 exec_lo, exec_lo, s0
	s_delay_alu instid0(SALU_CYCLE_1)
	s_mov_b32 s0, exec_lo
	s_waitcnt lgkmcnt(0)
	s_barrier
	buffer_gl0_inv
	;; [unrolled: 16-line block ×3, first 2 shown]
	v_cmpx_gt_u32_e32 44, v4
	s_cbranch_execz .LBB53_35
; %bb.34:
	ds_load_b128 v[13:16], v18 offset:704
	ds_load_b128 v[19:22], v18
	s_waitcnt lgkmcnt(0)
	v_add_f64 v[13:14], v[13:14], v[19:20]
	v_add_f64 v[15:16], v[15:16], v[21:22]
	ds_store_b128 v18, v[13:16]
.LBB53_35:
	s_or_b32 exec_lo, exec_lo, s0
	s_delay_alu instid0(SALU_CYCLE_1)
	s_mov_b32 s0, exec_lo
	s_waitcnt lgkmcnt(0)
	buffer_gl0_inv
	v_cmpx_gt_u32_e32 22, v4
	s_cbranch_execz .LBB53_37
; %bb.36:
	ds_load_b128 v[0:3], v18 offset:352
	ds_load_b128 v[13:16], v18
	s_waitcnt lgkmcnt(0)
	v_add_f64 v[0:1], v[0:1], v[13:14]
	v_add_f64 v[2:3], v[2:3], v[15:16]
.LBB53_37:
	s_or_b32 exec_lo, exec_lo, s0
	s_delay_alu instid0(VALU_DEP_1) | instskip(NEXT) | instid1(VALU_DEP_3)
	v_dual_mov_b32 v16, v3 :: v_dual_mov_b32 v15, v2
	v_dual_mov_b32 v14, v1 :: v_dual_mov_b32 v13, v0
.LBB53_38:
	v_cmp_gt_u32_e32 vcc_lo, 22, v4
	s_and_b32 exec_lo, exec_lo, vcc_lo
	s_cbranch_execz .LBB53_43
; %bb.39:
	s_delay_alu instid0(VALU_DEP_2) | instskip(SKIP_3) | instid1(VALU_DEP_4)
	v_mul_f64 v[0:1], v[15:16], -v[11:12]
	v_mul_f64 v[2:3], v[9:10], v[15:16]
	v_cmp_eq_f64_e32 vcc_lo, 0, v[5:6]
	v_cmp_eq_f64_e64 s0, 0, v[7:8]
	v_fma_f64 v[0:1], v[9:10], v[13:14], v[0:1]
	s_delay_alu instid0(VALU_DEP_4) | instskip(NEXT) | instid1(VALU_DEP_3)
	v_fma_f64 v[2:3], v[11:12], v[13:14], v[2:3]
	s_and_b32 s0, vcc_lo, s0
	s_delay_alu instid0(SALU_CYCLE_1) | instskip(NEXT) | instid1(SALU_CYCLE_1)
	s_and_saveexec_b32 s1, s0
	s_xor_b32 s0, exec_lo, s1
	s_cbranch_execz .LBB53_41
; %bb.40:
	v_mad_u64_u32 v[5:6], null, s12, 22, v[4:5]
	v_mov_b32_e32 v6, 0
                                        ; implicit-def: $vgpr7_vgpr8
	s_delay_alu instid0(VALU_DEP_1) | instskip(NEXT) | instid1(VALU_DEP_1)
	v_lshlrev_b64 v[4:5], 4, v[5:6]
	v_add_co_u32 v4, vcc_lo, s8, v4
	s_delay_alu instid0(VALU_DEP_2)
	v_add_co_ci_u32_e32 v5, vcc_lo, s9, v5, vcc_lo
	global_store_b128 v[4:5], v[0:3], off
                                        ; implicit-def: $vgpr4
                                        ; implicit-def: $vgpr5_vgpr6
                                        ; implicit-def: $vgpr0_vgpr1
.LBB53_41:
	s_and_not1_saveexec_b32 s0, s0
	s_cbranch_execz .LBB53_43
; %bb.42:
	v_mad_u64_u32 v[9:10], null, s12, 22, v[4:5]
	v_mov_b32_e32 v10, 0
	s_delay_alu instid0(VALU_DEP_1) | instskip(NEXT) | instid1(VALU_DEP_1)
	v_lshlrev_b64 v[9:10], 4, v[9:10]
	v_add_co_u32 v13, vcc_lo, s8, v9
	s_delay_alu instid0(VALU_DEP_2) | instskip(SKIP_4) | instid1(VALU_DEP_2)
	v_add_co_ci_u32_e32 v14, vcc_lo, s9, v10, vcc_lo
	global_load_b128 v[9:12], v[13:14], off
	s_waitcnt vmcnt(0)
	v_fma_f64 v[0:1], v[5:6], v[9:10], v[0:1]
	v_fma_f64 v[2:3], v[7:8], v[9:10], v[2:3]
	v_fma_f64 v[0:1], -v[7:8], v[11:12], v[0:1]
	s_delay_alu instid0(VALU_DEP_2)
	v_fma_f64 v[2:3], v[5:6], v[11:12], v[2:3]
	global_store_b128 v[13:14], v[0:3], off
.LBB53_43:
	s_nop 0
	s_sendmsg sendmsg(MSG_DEALLOC_VGPRS)
	s_endpgm
	.section	.rodata,"a",@progbits
	.p2align	6, 0x0
	.amdhsa_kernel _ZN9rocsparseL20bsrxmvn_17_32_kernelILj22E21rocsparse_complex_numIdEiiS2_S2_S2_EEvT2_20rocsparse_direction_NS_24const_host_device_scalarIT0_EES3_PKS3_PKT1_SC_S9_PKT3_PKT4_S7_PT5_21rocsparse_index_base_b
		.amdhsa_group_segment_fixed_size 15488
		.amdhsa_private_segment_fixed_size 0
		.amdhsa_kernarg_size 112
		.amdhsa_user_sgpr_count 15
		.amdhsa_user_sgpr_dispatch_ptr 1
		.amdhsa_user_sgpr_queue_ptr 0
		.amdhsa_user_sgpr_kernarg_segment_ptr 1
		.amdhsa_user_sgpr_dispatch_id 0
		.amdhsa_user_sgpr_private_segment_size 0
		.amdhsa_wavefront_size32 1
		.amdhsa_uses_dynamic_stack 0
		.amdhsa_enable_private_segment 0
		.amdhsa_system_sgpr_workgroup_id_x 1
		.amdhsa_system_sgpr_workgroup_id_y 0
		.amdhsa_system_sgpr_workgroup_id_z 0
		.amdhsa_system_sgpr_workgroup_info 0
		.amdhsa_system_vgpr_workitem_id 2
		.amdhsa_next_free_vgpr 29
		.amdhsa_next_free_sgpr 18
		.amdhsa_reserve_vcc 1
		.amdhsa_float_round_mode_32 0
		.amdhsa_float_round_mode_16_64 0
		.amdhsa_float_denorm_mode_32 3
		.amdhsa_float_denorm_mode_16_64 3
		.amdhsa_dx10_clamp 1
		.amdhsa_ieee_mode 1
		.amdhsa_fp16_overflow 0
		.amdhsa_workgroup_processor_mode 1
		.amdhsa_memory_ordered 1
		.amdhsa_forward_progress 0
		.amdhsa_shared_vgpr_count 0
		.amdhsa_exception_fp_ieee_invalid_op 0
		.amdhsa_exception_fp_denorm_src 0
		.amdhsa_exception_fp_ieee_div_zero 0
		.amdhsa_exception_fp_ieee_overflow 0
		.amdhsa_exception_fp_ieee_underflow 0
		.amdhsa_exception_fp_ieee_inexact 0
		.amdhsa_exception_int_div_zero 0
	.end_amdhsa_kernel
	.section	.text._ZN9rocsparseL20bsrxmvn_17_32_kernelILj22E21rocsparse_complex_numIdEiiS2_S2_S2_EEvT2_20rocsparse_direction_NS_24const_host_device_scalarIT0_EES3_PKS3_PKT1_SC_S9_PKT3_PKT4_S7_PT5_21rocsparse_index_base_b,"axG",@progbits,_ZN9rocsparseL20bsrxmvn_17_32_kernelILj22E21rocsparse_complex_numIdEiiS2_S2_S2_EEvT2_20rocsparse_direction_NS_24const_host_device_scalarIT0_EES3_PKS3_PKT1_SC_S9_PKT3_PKT4_S7_PT5_21rocsparse_index_base_b,comdat
.Lfunc_end53:
	.size	_ZN9rocsparseL20bsrxmvn_17_32_kernelILj22E21rocsparse_complex_numIdEiiS2_S2_S2_EEvT2_20rocsparse_direction_NS_24const_host_device_scalarIT0_EES3_PKS3_PKT1_SC_S9_PKT3_PKT4_S7_PT5_21rocsparse_index_base_b, .Lfunc_end53-_ZN9rocsparseL20bsrxmvn_17_32_kernelILj22E21rocsparse_complex_numIdEiiS2_S2_S2_EEvT2_20rocsparse_direction_NS_24const_host_device_scalarIT0_EES3_PKS3_PKT1_SC_S9_PKT3_PKT4_S7_PT5_21rocsparse_index_base_b
                                        ; -- End function
	.section	.AMDGPU.csdata,"",@progbits
; Kernel info:
; codeLenInByte = 2072
; NumSgprs: 20
; NumVgprs: 29
; ScratchSize: 0
; MemoryBound: 0
; FloatMode: 240
; IeeeMode: 1
; LDSByteSize: 15488 bytes/workgroup (compile time only)
; SGPRBlocks: 2
; VGPRBlocks: 3
; NumSGPRsForWavesPerEU: 20
; NumVGPRsForWavesPerEU: 29
; Occupancy: 16
; WaveLimiterHint : 1
; COMPUTE_PGM_RSRC2:SCRATCH_EN: 0
; COMPUTE_PGM_RSRC2:USER_SGPR: 15
; COMPUTE_PGM_RSRC2:TRAP_HANDLER: 0
; COMPUTE_PGM_RSRC2:TGID_X_EN: 1
; COMPUTE_PGM_RSRC2:TGID_Y_EN: 0
; COMPUTE_PGM_RSRC2:TGID_Z_EN: 0
; COMPUTE_PGM_RSRC2:TIDIG_COMP_CNT: 2
	.section	.text._ZN9rocsparseL20bsrxmvn_17_32_kernelILj23E21rocsparse_complex_numIdEiiS2_S2_S2_EEvT2_20rocsparse_direction_NS_24const_host_device_scalarIT0_EES3_PKS3_PKT1_SC_S9_PKT3_PKT4_S7_PT5_21rocsparse_index_base_b,"axG",@progbits,_ZN9rocsparseL20bsrxmvn_17_32_kernelILj23E21rocsparse_complex_numIdEiiS2_S2_S2_EEvT2_20rocsparse_direction_NS_24const_host_device_scalarIT0_EES3_PKS3_PKT1_SC_S9_PKT3_PKT4_S7_PT5_21rocsparse_index_base_b,comdat
	.globl	_ZN9rocsparseL20bsrxmvn_17_32_kernelILj23E21rocsparse_complex_numIdEiiS2_S2_S2_EEvT2_20rocsparse_direction_NS_24const_host_device_scalarIT0_EES3_PKS3_PKT1_SC_S9_PKT3_PKT4_S7_PT5_21rocsparse_index_base_b ; -- Begin function _ZN9rocsparseL20bsrxmvn_17_32_kernelILj23E21rocsparse_complex_numIdEiiS2_S2_S2_EEvT2_20rocsparse_direction_NS_24const_host_device_scalarIT0_EES3_PKS3_PKT1_SC_S9_PKT3_PKT4_S7_PT5_21rocsparse_index_base_b
	.p2align	8
	.type	_ZN9rocsparseL20bsrxmvn_17_32_kernelILj23E21rocsparse_complex_numIdEiiS2_S2_S2_EEvT2_20rocsparse_direction_NS_24const_host_device_scalarIT0_EES3_PKS3_PKT1_SC_S9_PKT3_PKT4_S7_PT5_21rocsparse_index_base_b,@function
_ZN9rocsparseL20bsrxmvn_17_32_kernelILj23E21rocsparse_complex_numIdEiiS2_S2_S2_EEvT2_20rocsparse_direction_NS_24const_host_device_scalarIT0_EES3_PKS3_PKT1_SC_S9_PKT3_PKT4_S7_PT5_21rocsparse_index_base_b: ; @_ZN9rocsparseL20bsrxmvn_17_32_kernelILj23E21rocsparse_complex_numIdEiiS2_S2_S2_EEvT2_20rocsparse_direction_NS_24const_host_device_scalarIT0_EES3_PKS3_PKT1_SC_S9_PKT3_PKT4_S7_PT5_21rocsparse_index_base_b
; %bb.0:
	s_mov_b32 s12, s15
	s_clause 0x1
	s_load_b64 s[14:15], s[2:3], 0x68
	s_load_b128 s[4:7], s[2:3], 0x8
	s_load_b64 s[16:17], s[0:1], 0x4
	s_mov_b64 s[0:1], src_shared_base
	v_and_b32_e32 v4, 0x3ff, v0
	s_load_b128 s[8:11], s[2:3], 0x50
	v_bfe_u32 v2, v0, 10, 10
	v_bfe_u32 v0, v0, 20, 10
	s_waitcnt lgkmcnt(0)
	s_bitcmp1_b32 s15, 0
	v_mov_b32_e32 v12, s7
	s_cselect_b32 s0, -1, 0
	v_mov_b32_e32 v11, s6
	s_and_b32 vcc_lo, s0, exec_lo
	s_cselect_b32 s13, s1, s5
	s_lshr_b32 s15, s16, 16
	v_mov_b32_e32 v6, s13
	s_mul_i32 s15, s15, s17
	s_xor_b32 s6, s0, -1
	v_mul_lo_u32 v1, s15, v4
	s_delay_alu instid0(VALU_DEP_1) | instskip(SKIP_1) | instid1(VALU_DEP_2)
	v_mad_u32_u24 v1, v2, s17, v1
	v_dual_mov_b32 v2, s8 :: v_dual_mov_b32 v3, s9
	v_add_lshl_u32 v7, v1, v0, 3
	v_dual_mov_b32 v0, s4 :: v_dual_mov_b32 v1, s5
	ds_store_b64 v7, v[0:1] offset:12696
	ds_store_b64 v7, v[2:3] offset:8464
	v_add_nc_u32_e32 v5, 0x3198, v7
	v_add_nc_u32_e32 v0, 0x2110, v7
	s_delay_alu instid0(VALU_DEP_2)
	v_cndmask_b32_e64 v5, s4, v5, s0
	flat_load_b64 v[9:10], v[5:6]
	s_cbranch_vccnz .LBB54_2
; %bb.1:
	v_dual_mov_b32 v1, s4 :: v_dual_mov_b32 v2, s5
	flat_load_b64 v[11:12], v[1:2] offset:8
.LBB54_2:
	s_and_b32 s4, s0, exec_lo
	s_cselect_b32 s1, s1, s9
	v_cndmask_b32_e64 v0, s8, v0, s0
	v_mov_b32_e32 v1, s1
	v_dual_mov_b32 v7, s10 :: v_dual_mov_b32 v8, s11
	s_and_not1_b32 vcc_lo, exec_lo, s6
	flat_load_b64 v[5:6], v[0:1]
	s_cbranch_vccnz .LBB54_4
; %bb.3:
	v_dual_mov_b32 v0, s8 :: v_dual_mov_b32 v1, s9
	flat_load_b64 v[7:8], v[0:1] offset:8
.LBB54_4:
	s_waitcnt vmcnt(1) lgkmcnt(1)
	v_cmp_eq_f64_e32 vcc_lo, 0, v[9:10]
	v_cmp_eq_f64_e64 s0, 0, v[11:12]
	s_delay_alu instid0(VALU_DEP_1)
	s_and_b32 s4, vcc_lo, s0
	s_mov_b32 s0, -1
	s_and_saveexec_b32 s1, s4
	s_cbranch_execz .LBB54_6
; %bb.5:
	s_waitcnt vmcnt(0) lgkmcnt(0)
	v_cmp_neq_f64_e32 vcc_lo, 1.0, v[5:6]
	v_cmp_neq_f64_e64 s0, 0, v[7:8]
	s_delay_alu instid0(VALU_DEP_1) | instskip(NEXT) | instid1(SALU_CYCLE_1)
	s_or_b32 s0, vcc_lo, s0
	s_or_not1_b32 s0, s0, exec_lo
.LBB54_6:
	s_or_b32 exec_lo, exec_lo, s1
	s_and_saveexec_b32 s1, s0
	s_cbranch_execz .LBB54_43
; %bb.7:
	s_clause 0x1
	s_load_b128 s[4:7], s[2:3], 0x20
	s_load_b64 s[0:1], s[2:3], 0x30
	s_waitcnt lgkmcnt(0)
	s_cmp_eq_u64 s[4:5], 0
	s_cbranch_scc1 .LBB54_9
; %bb.8:
	s_ashr_i32 s13, s12, 31
	s_delay_alu instid0(SALU_CYCLE_1) | instskip(NEXT) | instid1(SALU_CYCLE_1)
	s_lshl_b64 s[8:9], s[12:13], 2
	s_add_u32 s4, s4, s8
	s_addc_u32 s5, s5, s9
	s_load_b32 s4, s[4:5], 0x0
	s_waitcnt lgkmcnt(0)
	s_sub_i32 s12, s4, s14
.LBB54_9:
	s_load_b32 s4, s[2:3], 0x4
	v_mul_u32_u24_e32 v0, 0xb22, v4
	v_dual_mov_b32 v2, 0 :: v_dual_lshlrev_b32 v17, 4, v4
	v_mov_b32_e32 v3, 0
	s_delay_alu instid0(VALU_DEP_3) | instskip(NEXT) | instid1(VALU_DEP_1)
	v_lshrrev_b32_e32 v13, 16, v0
	v_mul_lo_u16 v0, v13, 23
	s_delay_alu instid0(VALU_DEP_1) | instskip(NEXT) | instid1(VALU_DEP_4)
	v_sub_nc_u16 v16, v4, v0
	v_dual_mov_b32 v0, v2 :: v_dual_mov_b32 v1, v3
	s_waitcnt lgkmcnt(0)
	s_cmp_eq_u32 s4, 1
	s_cselect_b32 vcc_lo, -1, 0
	s_cmp_lg_u32 s4, 1
	s_cselect_b32 s8, -1, 0
	s_ashr_i32 s13, s12, 31
	s_delay_alu instid0(SALU_CYCLE_1) | instskip(NEXT) | instid1(SALU_CYCLE_1)
	s_lshl_b64 s[4:5], s[12:13], 2
	s_add_u32 s6, s6, s4
	s_addc_u32 s7, s7, s5
	s_add_u32 s9, s6, 4
	s_addc_u32 s10, s7, 0
	;; [unrolled: 2-line block ×3, first 2 shown]
	s_cmp_eq_u64 s[0:1], 0
	s_cselect_b32 s1, s10, s5
	s_cselect_b32 s0, s9, s4
	s_load_b32 s6, s[6:7], 0x0
	s_load_b32 s7, s[0:1], 0x0
	s_load_b64 s[4:5], s[2:3], 0x60
	s_waitcnt lgkmcnt(0)
	s_cmp_ge_i32 s6, s7
	s_cbranch_scc1 .LBB54_14
; %bb.10:
	s_clause 0x1
	s_load_b128 s[16:19], s[2:3], 0x38
	s_load_b64 s[0:1], s[2:3], 0x48
	s_sub_i32 s2, s6, s14
	s_sub_i32 s9, s7, s14
	v_and_b32_e32 v0, 0xffff, v16
	v_dual_mov_b32 v2, 0 :: v_dual_and_b32 v1, 0xffff, v13
	s_mul_i32 s7, s2, 0x2110
	v_mov_b32_e32 v3, 0
	s_ashr_i32 s3, s2, 31
	s_mul_hi_i32 s6, s2, 0x2110
	v_dual_cndmask_b32 v13, v0, v1 :: v_dual_mov_b32 v0, v2
	s_delay_alu instid0(VALU_DEP_2)
	v_mov_b32_e32 v1, v3
	s_waitcnt lgkmcnt(0)
	s_add_u32 s10, s18, s7
	s_addc_u32 s11, s19, s6
	s_lshl_b64 s[6:7], s[2:3], 2
	v_add_co_u32 v14, s3, s10, v17
	s_delay_alu instid0(VALU_DEP_1)
	v_add_co_ci_u32_e64 v15, null, s11, 0, s3
	s_add_u32 s6, s16, s6
	s_addc_u32 s7, s17, s7
	s_set_inst_prefetch_distance 0x1
	s_branch .LBB54_12
	.p2align	6
.LBB54_11:                              ;   in Loop: Header=BB54_12 Depth=1
	s_add_i32 s2, s2, 1
	s_add_u32 s6, s6, 4
	s_addc_u32 s7, s7, 0
	s_cmp_lt_i32 s2, s9
	s_cbranch_scc0 .LBB54_14
.LBB54_12:                              ; =>This Inner Loop Header: Depth=1
	s_cmp_ge_i32 s2, s9
	s_cbranch_scc1 .LBB54_11
; %bb.13:                               ;   in Loop: Header=BB54_12 Depth=1
	s_load_b32 s3, s[6:7], 0x0
	s_waitcnt lgkmcnt(0)
	s_sub_i32 s3, s3, s14
	s_delay_alu instid0(SALU_CYCLE_1) | instskip(NEXT) | instid1(VALU_DEP_1)
	v_mad_u64_u32 v[18:19], null, s3, 23, v[13:14]
	v_ashrrev_i32_e32 v19, 31, v18
	s_delay_alu instid0(VALU_DEP_1) | instskip(NEXT) | instid1(VALU_DEP_1)
	v_lshlrev_b64 v[18:19], 4, v[18:19]
	v_add_co_u32 v22, vcc_lo, s0, v18
	s_delay_alu instid0(VALU_DEP_2)
	v_add_co_ci_u32_e32 v23, vcc_lo, s1, v19, vcc_lo
	global_load_b128 v[18:21], v[14:15], off
	global_load_b128 v[22:25], v[22:23], off
	v_add_co_u32 v14, vcc_lo, 0x2110, v14
	v_add_co_ci_u32_e32 v15, vcc_lo, 0, v15, vcc_lo
	s_waitcnt vmcnt(0)
	v_fma_f64 v[0:1], v[18:19], v[22:23], v[0:1]
	v_fma_f64 v[2:3], v[20:21], v[22:23], v[2:3]
	s_delay_alu instid0(VALU_DEP_2) | instskip(NEXT) | instid1(VALU_DEP_2)
	v_fma_f64 v[0:1], -v[20:21], v[24:25], v[0:1]
	v_fma_f64 v[2:3], v[18:19], v[24:25], v[2:3]
	s_branch .LBB54_11
.LBB54_14:
	s_set_inst_prefetch_distance 0x2
	s_and_b32 vcc_lo, exec_lo, s8
	ds_store_b128 v17, v[0:3]
	s_waitcnt vmcnt(0) lgkmcnt(0)
	s_barrier
	buffer_gl0_inv
	s_cbranch_vccz .LBB54_26
; %bb.15:
	s_mov_b32 s0, exec_lo
	v_cmpx_gt_u16_e32 7, v16
	s_cbranch_execz .LBB54_17
; %bb.16:
	ds_load_b128 v[18:21], v17 offset:256
	ds_load_b128 v[22:25], v17
	s_waitcnt lgkmcnt(0)
	v_add_f64 v[18:19], v[18:19], v[22:23]
	v_add_f64 v[20:21], v[20:21], v[24:25]
	ds_store_b128 v17, v[18:21]
.LBB54_17:
	s_or_b32 exec_lo, exec_lo, s0
	s_delay_alu instid0(SALU_CYCLE_1)
	s_mov_b32 s0, exec_lo
	s_waitcnt lgkmcnt(0)
	s_barrier
	buffer_gl0_inv
	v_cmpx_gt_u16_e32 8, v16
	s_cbranch_execz .LBB54_19
; %bb.18:
	ds_load_b128 v[18:21], v17 offset:128
	ds_load_b128 v[22:25], v17
	s_waitcnt lgkmcnt(0)
	v_add_f64 v[18:19], v[18:19], v[22:23]
	v_add_f64 v[20:21], v[20:21], v[24:25]
	ds_store_b128 v17, v[18:21]
.LBB54_19:
	s_or_b32 exec_lo, exec_lo, s0
	s_delay_alu instid0(SALU_CYCLE_1)
	s_mov_b32 s0, exec_lo
	s_waitcnt lgkmcnt(0)
	s_barrier
	buffer_gl0_inv
	;; [unrolled: 16-line block ×3, first 2 shown]
	v_cmpx_gt_u16_e32 2, v16
	s_cbranch_execz .LBB54_23
; %bb.22:
	ds_load_b128 v[13:16], v17
	ds_load_b128 v[18:21], v17 offset:32
	s_waitcnt lgkmcnt(0)
	v_add_f64 v[13:14], v[18:19], v[13:14]
	v_add_f64 v[15:16], v[20:21], v[15:16]
	ds_store_b128 v17, v[13:16]
.LBB54_23:
	s_or_b32 exec_lo, exec_lo, s0
	v_dual_mov_b32 v16, v3 :: v_dual_mov_b32 v15, v2
	v_dual_mov_b32 v14, v1 :: v_dual_mov_b32 v13, v0
	s_mov_b32 s0, exec_lo
	s_waitcnt lgkmcnt(0)
	s_barrier
	buffer_gl0_inv
	v_cmpx_gt_u32_e32 23, v4
	s_cbranch_execz .LBB54_25
; %bb.24:
	v_mul_u32_u24_e32 v13, 23, v4
	s_delay_alu instid0(VALU_DEP_1)
	v_lshlrev_b32_e32 v18, 4, v13
	ds_load_b128 v[13:16], v18
	ds_load_b128 v[18:21], v18 offset:16
	s_waitcnt lgkmcnt(0)
	v_add_f64 v[13:14], v[18:19], v[13:14]
	v_add_f64 v[15:16], v[20:21], v[15:16]
.LBB54_25:
	s_or_b32 exec_lo, exec_lo, s0
	s_branch .LBB54_38
.LBB54_26:
                                        ; implicit-def: $vgpr15_vgpr16
                                        ; implicit-def: $vgpr13_vgpr14
	s_cbranch_execz .LBB54_38
; %bb.27:
	s_mov_b32 s0, exec_lo
	v_cmpx_gt_u32_e32 0xa1, v4
	s_cbranch_execz .LBB54_29
; %bb.28:
	ds_load_b128 v[13:16], v17 offset:5888
	ds_load_b128 v[18:21], v17
	s_waitcnt lgkmcnt(0)
	v_add_f64 v[13:14], v[13:14], v[18:19]
	v_add_f64 v[15:16], v[15:16], v[20:21]
	ds_store_b128 v17, v[13:16]
.LBB54_29:
	s_or_b32 exec_lo, exec_lo, s0
	s_delay_alu instid0(SALU_CYCLE_1)
	s_mov_b32 s0, exec_lo
	s_waitcnt lgkmcnt(0)
	s_barrier
	buffer_gl0_inv
	v_cmpx_gt_u32_e32 0xb8, v4
	s_cbranch_execz .LBB54_31
; %bb.30:
	ds_load_b128 v[13:16], v17 offset:2944
	ds_load_b128 v[18:21], v17
	s_waitcnt lgkmcnt(0)
	v_add_f64 v[13:14], v[13:14], v[18:19]
	v_add_f64 v[15:16], v[15:16], v[20:21]
	ds_store_b128 v17, v[13:16]
.LBB54_31:
	s_or_b32 exec_lo, exec_lo, s0
	s_delay_alu instid0(SALU_CYCLE_1)
	s_mov_b32 s0, exec_lo
	s_waitcnt lgkmcnt(0)
	s_barrier
	buffer_gl0_inv
	;; [unrolled: 16-line block ×3, first 2 shown]
	v_cmpx_gt_u32_e32 46, v4
	s_cbranch_execz .LBB54_35
; %bb.34:
	ds_load_b128 v[13:16], v17 offset:736
	ds_load_b128 v[18:21], v17
	s_waitcnt lgkmcnt(0)
	v_add_f64 v[13:14], v[13:14], v[18:19]
	v_add_f64 v[15:16], v[15:16], v[20:21]
	ds_store_b128 v17, v[13:16]
.LBB54_35:
	s_or_b32 exec_lo, exec_lo, s0
	s_delay_alu instid0(SALU_CYCLE_1)
	s_mov_b32 s0, exec_lo
	s_waitcnt lgkmcnt(0)
	buffer_gl0_inv
	v_cmpx_gt_u32_e32 23, v4
	s_cbranch_execz .LBB54_37
; %bb.36:
	ds_load_b128 v[0:3], v17 offset:368
	ds_load_b128 v[13:16], v17
	s_waitcnt lgkmcnt(0)
	v_add_f64 v[0:1], v[0:1], v[13:14]
	v_add_f64 v[2:3], v[2:3], v[15:16]
.LBB54_37:
	s_or_b32 exec_lo, exec_lo, s0
	s_delay_alu instid0(VALU_DEP_1) | instskip(NEXT) | instid1(VALU_DEP_3)
	v_dual_mov_b32 v16, v3 :: v_dual_mov_b32 v15, v2
	v_dual_mov_b32 v14, v1 :: v_dual_mov_b32 v13, v0
.LBB54_38:
	v_cmp_gt_u32_e32 vcc_lo, 23, v4
	s_and_b32 exec_lo, exec_lo, vcc_lo
	s_cbranch_execz .LBB54_43
; %bb.39:
	s_delay_alu instid0(VALU_DEP_2) | instskip(SKIP_3) | instid1(VALU_DEP_4)
	v_mul_f64 v[0:1], v[15:16], -v[11:12]
	v_mul_f64 v[2:3], v[9:10], v[15:16]
	v_cmp_eq_f64_e32 vcc_lo, 0, v[5:6]
	v_cmp_eq_f64_e64 s0, 0, v[7:8]
	v_fma_f64 v[0:1], v[9:10], v[13:14], v[0:1]
	s_delay_alu instid0(VALU_DEP_4) | instskip(NEXT) | instid1(VALU_DEP_3)
	v_fma_f64 v[2:3], v[11:12], v[13:14], v[2:3]
	s_and_b32 s0, vcc_lo, s0
	s_delay_alu instid0(SALU_CYCLE_1) | instskip(NEXT) | instid1(SALU_CYCLE_1)
	s_and_saveexec_b32 s1, s0
	s_xor_b32 s0, exec_lo, s1
	s_cbranch_execz .LBB54_41
; %bb.40:
	v_mad_u64_u32 v[5:6], null, s12, 23, v[4:5]
	v_mov_b32_e32 v6, 0
                                        ; implicit-def: $vgpr7_vgpr8
	s_delay_alu instid0(VALU_DEP_1) | instskip(NEXT) | instid1(VALU_DEP_1)
	v_lshlrev_b64 v[4:5], 4, v[5:6]
	v_add_co_u32 v4, vcc_lo, s4, v4
	s_delay_alu instid0(VALU_DEP_2)
	v_add_co_ci_u32_e32 v5, vcc_lo, s5, v5, vcc_lo
	global_store_b128 v[4:5], v[0:3], off
                                        ; implicit-def: $vgpr4
                                        ; implicit-def: $vgpr5_vgpr6
                                        ; implicit-def: $vgpr0_vgpr1
.LBB54_41:
	s_and_not1_saveexec_b32 s0, s0
	s_cbranch_execz .LBB54_43
; %bb.42:
	v_mad_u64_u32 v[9:10], null, s12, 23, v[4:5]
	v_mov_b32_e32 v10, 0
	s_delay_alu instid0(VALU_DEP_1) | instskip(NEXT) | instid1(VALU_DEP_1)
	v_lshlrev_b64 v[9:10], 4, v[9:10]
	v_add_co_u32 v13, vcc_lo, s4, v9
	s_delay_alu instid0(VALU_DEP_2) | instskip(SKIP_4) | instid1(VALU_DEP_2)
	v_add_co_ci_u32_e32 v14, vcc_lo, s5, v10, vcc_lo
	global_load_b128 v[9:12], v[13:14], off
	s_waitcnt vmcnt(0)
	v_fma_f64 v[0:1], v[5:6], v[9:10], v[0:1]
	v_fma_f64 v[2:3], v[7:8], v[9:10], v[2:3]
	v_fma_f64 v[0:1], -v[7:8], v[11:12], v[0:1]
	s_delay_alu instid0(VALU_DEP_2)
	v_fma_f64 v[2:3], v[5:6], v[11:12], v[2:3]
	global_store_b128 v[13:14], v[0:3], off
.LBB54_43:
	s_nop 0
	s_sendmsg sendmsg(MSG_DEALLOC_VGPRS)
	s_endpgm
	.section	.rodata,"a",@progbits
	.p2align	6, 0x0
	.amdhsa_kernel _ZN9rocsparseL20bsrxmvn_17_32_kernelILj23E21rocsparse_complex_numIdEiiS2_S2_S2_EEvT2_20rocsparse_direction_NS_24const_host_device_scalarIT0_EES3_PKS3_PKT1_SC_S9_PKT3_PKT4_S7_PT5_21rocsparse_index_base_b
		.amdhsa_group_segment_fixed_size 16928
		.amdhsa_private_segment_fixed_size 0
		.amdhsa_kernarg_size 112
		.amdhsa_user_sgpr_count 15
		.amdhsa_user_sgpr_dispatch_ptr 1
		.amdhsa_user_sgpr_queue_ptr 0
		.amdhsa_user_sgpr_kernarg_segment_ptr 1
		.amdhsa_user_sgpr_dispatch_id 0
		.amdhsa_user_sgpr_private_segment_size 0
		.amdhsa_wavefront_size32 1
		.amdhsa_uses_dynamic_stack 0
		.amdhsa_enable_private_segment 0
		.amdhsa_system_sgpr_workgroup_id_x 1
		.amdhsa_system_sgpr_workgroup_id_y 0
		.amdhsa_system_sgpr_workgroup_id_z 0
		.amdhsa_system_sgpr_workgroup_info 0
		.amdhsa_system_vgpr_workitem_id 2
		.amdhsa_next_free_vgpr 26
		.amdhsa_next_free_sgpr 20
		.amdhsa_reserve_vcc 1
		.amdhsa_float_round_mode_32 0
		.amdhsa_float_round_mode_16_64 0
		.amdhsa_float_denorm_mode_32 3
		.amdhsa_float_denorm_mode_16_64 3
		.amdhsa_dx10_clamp 1
		.amdhsa_ieee_mode 1
		.amdhsa_fp16_overflow 0
		.amdhsa_workgroup_processor_mode 1
		.amdhsa_memory_ordered 1
		.amdhsa_forward_progress 0
		.amdhsa_shared_vgpr_count 0
		.amdhsa_exception_fp_ieee_invalid_op 0
		.amdhsa_exception_fp_denorm_src 0
		.amdhsa_exception_fp_ieee_div_zero 0
		.amdhsa_exception_fp_ieee_overflow 0
		.amdhsa_exception_fp_ieee_underflow 0
		.amdhsa_exception_fp_ieee_inexact 0
		.amdhsa_exception_int_div_zero 0
	.end_amdhsa_kernel
	.section	.text._ZN9rocsparseL20bsrxmvn_17_32_kernelILj23E21rocsparse_complex_numIdEiiS2_S2_S2_EEvT2_20rocsparse_direction_NS_24const_host_device_scalarIT0_EES3_PKS3_PKT1_SC_S9_PKT3_PKT4_S7_PT5_21rocsparse_index_base_b,"axG",@progbits,_ZN9rocsparseL20bsrxmvn_17_32_kernelILj23E21rocsparse_complex_numIdEiiS2_S2_S2_EEvT2_20rocsparse_direction_NS_24const_host_device_scalarIT0_EES3_PKS3_PKT1_SC_S9_PKT3_PKT4_S7_PT5_21rocsparse_index_base_b,comdat
.Lfunc_end54:
	.size	_ZN9rocsparseL20bsrxmvn_17_32_kernelILj23E21rocsparse_complex_numIdEiiS2_S2_S2_EEvT2_20rocsparse_direction_NS_24const_host_device_scalarIT0_EES3_PKS3_PKT1_SC_S9_PKT3_PKT4_S7_PT5_21rocsparse_index_base_b, .Lfunc_end54-_ZN9rocsparseL20bsrxmvn_17_32_kernelILj23E21rocsparse_complex_numIdEiiS2_S2_S2_EEvT2_20rocsparse_direction_NS_24const_host_device_scalarIT0_EES3_PKS3_PKT1_SC_S9_PKT3_PKT4_S7_PT5_21rocsparse_index_base_b
                                        ; -- End function
	.section	.AMDGPU.csdata,"",@progbits
; Kernel info:
; codeLenInByte = 1992
; NumSgprs: 22
; NumVgprs: 26
; ScratchSize: 0
; MemoryBound: 0
; FloatMode: 240
; IeeeMode: 1
; LDSByteSize: 16928 bytes/workgroup (compile time only)
; SGPRBlocks: 2
; VGPRBlocks: 3
; NumSGPRsForWavesPerEU: 22
; NumVGPRsForWavesPerEU: 26
; Occupancy: 13
; WaveLimiterHint : 1
; COMPUTE_PGM_RSRC2:SCRATCH_EN: 0
; COMPUTE_PGM_RSRC2:USER_SGPR: 15
; COMPUTE_PGM_RSRC2:TRAP_HANDLER: 0
; COMPUTE_PGM_RSRC2:TGID_X_EN: 1
; COMPUTE_PGM_RSRC2:TGID_Y_EN: 0
; COMPUTE_PGM_RSRC2:TGID_Z_EN: 0
; COMPUTE_PGM_RSRC2:TIDIG_COMP_CNT: 2
	.section	.text._ZN9rocsparseL20bsrxmvn_17_32_kernelILj24E21rocsparse_complex_numIdEiiS2_S2_S2_EEvT2_20rocsparse_direction_NS_24const_host_device_scalarIT0_EES3_PKS3_PKT1_SC_S9_PKT3_PKT4_S7_PT5_21rocsparse_index_base_b,"axG",@progbits,_ZN9rocsparseL20bsrxmvn_17_32_kernelILj24E21rocsparse_complex_numIdEiiS2_S2_S2_EEvT2_20rocsparse_direction_NS_24const_host_device_scalarIT0_EES3_PKS3_PKT1_SC_S9_PKT3_PKT4_S7_PT5_21rocsparse_index_base_b,comdat
	.globl	_ZN9rocsparseL20bsrxmvn_17_32_kernelILj24E21rocsparse_complex_numIdEiiS2_S2_S2_EEvT2_20rocsparse_direction_NS_24const_host_device_scalarIT0_EES3_PKS3_PKT1_SC_S9_PKT3_PKT4_S7_PT5_21rocsparse_index_base_b ; -- Begin function _ZN9rocsparseL20bsrxmvn_17_32_kernelILj24E21rocsparse_complex_numIdEiiS2_S2_S2_EEvT2_20rocsparse_direction_NS_24const_host_device_scalarIT0_EES3_PKS3_PKT1_SC_S9_PKT3_PKT4_S7_PT5_21rocsparse_index_base_b
	.p2align	8
	.type	_ZN9rocsparseL20bsrxmvn_17_32_kernelILj24E21rocsparse_complex_numIdEiiS2_S2_S2_EEvT2_20rocsparse_direction_NS_24const_host_device_scalarIT0_EES3_PKS3_PKT1_SC_S9_PKT3_PKT4_S7_PT5_21rocsparse_index_base_b,@function
_ZN9rocsparseL20bsrxmvn_17_32_kernelILj24E21rocsparse_complex_numIdEiiS2_S2_S2_EEvT2_20rocsparse_direction_NS_24const_host_device_scalarIT0_EES3_PKS3_PKT1_SC_S9_PKT3_PKT4_S7_PT5_21rocsparse_index_base_b: ; @_ZN9rocsparseL20bsrxmvn_17_32_kernelILj24E21rocsparse_complex_numIdEiiS2_S2_S2_EEvT2_20rocsparse_direction_NS_24const_host_device_scalarIT0_EES3_PKS3_PKT1_SC_S9_PKT3_PKT4_S7_PT5_21rocsparse_index_base_b
; %bb.0:
	s_mov_b32 s12, s15
	s_clause 0x1
	s_load_b64 s[14:15], s[2:3], 0x68
	s_load_b128 s[4:7], s[2:3], 0x8
	s_load_b64 s[16:17], s[0:1], 0x4
	s_mov_b64 s[0:1], src_shared_base
	v_and_b32_e32 v4, 0x3ff, v0
	s_load_b128 s[8:11], s[2:3], 0x50
	v_bfe_u32 v2, v0, 10, 10
	v_bfe_u32 v0, v0, 20, 10
	s_waitcnt lgkmcnt(0)
	s_bitcmp1_b32 s15, 0
	v_mov_b32_e32 v12, s7
	s_cselect_b32 s0, -1, 0
	v_mov_b32_e32 v11, s6
	s_and_b32 vcc_lo, s0, exec_lo
	s_cselect_b32 s13, s1, s5
	s_lshr_b32 s15, s16, 16
	v_mov_b32_e32 v6, s13
	s_mul_i32 s15, s15, s17
	s_xor_b32 s6, s0, -1
	v_mul_lo_u32 v1, s15, v4
	s_delay_alu instid0(VALU_DEP_1) | instskip(SKIP_1) | instid1(VALU_DEP_2)
	v_mad_u32_u24 v1, v2, s17, v1
	v_dual_mov_b32 v2, s8 :: v_dual_mov_b32 v3, s9
	v_add_lshl_u32 v7, v1, v0, 3
	v_dual_mov_b32 v0, s4 :: v_dual_mov_b32 v1, s5
	s_delay_alu instid0(VALU_DEP_2)
	v_add_nc_u32_e32 v5, 0x3600, v7
	ds_store_2addr_stride64_b64 v7, v[2:3], v[0:1] offset0:18 offset1:27
	v_add_nc_u32_e32 v0, 0x2400, v7
	v_cndmask_b32_e64 v5, s4, v5, s0
	flat_load_b64 v[9:10], v[5:6]
	s_cbranch_vccnz .LBB55_2
; %bb.1:
	v_dual_mov_b32 v1, s4 :: v_dual_mov_b32 v2, s5
	flat_load_b64 v[11:12], v[1:2] offset:8
.LBB55_2:
	s_and_b32 s4, s0, exec_lo
	s_cselect_b32 s1, s1, s9
	v_cndmask_b32_e64 v0, s8, v0, s0
	v_mov_b32_e32 v1, s1
	v_dual_mov_b32 v7, s10 :: v_dual_mov_b32 v8, s11
	s_and_not1_b32 vcc_lo, exec_lo, s6
	flat_load_b64 v[5:6], v[0:1]
	s_cbranch_vccnz .LBB55_4
; %bb.3:
	v_dual_mov_b32 v0, s8 :: v_dual_mov_b32 v1, s9
	flat_load_b64 v[7:8], v[0:1] offset:8
.LBB55_4:
	s_waitcnt vmcnt(1) lgkmcnt(1)
	v_cmp_eq_f64_e32 vcc_lo, 0, v[9:10]
	v_cmp_eq_f64_e64 s0, 0, v[11:12]
	s_delay_alu instid0(VALU_DEP_1)
	s_and_b32 s4, vcc_lo, s0
	s_mov_b32 s0, -1
	s_and_saveexec_b32 s1, s4
	s_cbranch_execz .LBB55_6
; %bb.5:
	s_waitcnt vmcnt(0) lgkmcnt(0)
	v_cmp_neq_f64_e32 vcc_lo, 1.0, v[5:6]
	v_cmp_neq_f64_e64 s0, 0, v[7:8]
	s_delay_alu instid0(VALU_DEP_1) | instskip(NEXT) | instid1(SALU_CYCLE_1)
	s_or_b32 s0, vcc_lo, s0
	s_or_not1_b32 s0, s0, exec_lo
.LBB55_6:
	s_or_b32 exec_lo, exec_lo, s1
	s_and_saveexec_b32 s1, s0
	s_cbranch_execz .LBB55_43
; %bb.7:
	s_clause 0x1
	s_load_b128 s[4:7], s[2:3], 0x20
	s_load_b64 s[0:1], s[2:3], 0x30
	s_waitcnt lgkmcnt(0)
	s_cmp_eq_u64 s[4:5], 0
	s_cbranch_scc1 .LBB55_9
; %bb.8:
	s_ashr_i32 s13, s12, 31
	s_delay_alu instid0(SALU_CYCLE_1) | instskip(NEXT) | instid1(SALU_CYCLE_1)
	s_lshl_b64 s[8:9], s[12:13], 2
	s_add_u32 s4, s4, s8
	s_addc_u32 s5, s5, s9
	s_load_b32 s4, s[4:5], 0x0
	s_waitcnt lgkmcnt(0)
	s_sub_i32 s12, s4, s14
.LBB55_9:
	s_load_b32 s4, s[2:3], 0x4
	v_mul_u32_u24_e32 v0, 0xaab, v4
	v_dual_mov_b32 v2, 0 :: v_dual_lshlrev_b32 v17, 4, v4
	v_mov_b32_e32 v3, 0
	s_delay_alu instid0(VALU_DEP_3) | instskip(NEXT) | instid1(VALU_DEP_1)
	v_lshrrev_b32_e32 v13, 16, v0
	v_mul_lo_u16 v0, v13, 24
	s_delay_alu instid0(VALU_DEP_1) | instskip(NEXT) | instid1(VALU_DEP_4)
	v_sub_nc_u16 v16, v4, v0
	v_dual_mov_b32 v0, v2 :: v_dual_mov_b32 v1, v3
	s_waitcnt lgkmcnt(0)
	s_cmp_eq_u32 s4, 1
	s_cselect_b32 vcc_lo, -1, 0
	s_cmp_lg_u32 s4, 1
	s_cselect_b32 s8, -1, 0
	s_ashr_i32 s13, s12, 31
	s_delay_alu instid0(SALU_CYCLE_1) | instskip(NEXT) | instid1(SALU_CYCLE_1)
	s_lshl_b64 s[4:5], s[12:13], 2
	s_add_u32 s6, s6, s4
	s_addc_u32 s7, s7, s5
	s_add_u32 s9, s6, 4
	s_addc_u32 s10, s7, 0
	;; [unrolled: 2-line block ×3, first 2 shown]
	s_cmp_eq_u64 s[0:1], 0
	s_cselect_b32 s1, s10, s5
	s_cselect_b32 s0, s9, s4
	s_load_b32 s6, s[6:7], 0x0
	s_load_b32 s7, s[0:1], 0x0
	s_load_b64 s[4:5], s[2:3], 0x60
	s_waitcnt lgkmcnt(0)
	s_cmp_ge_i32 s6, s7
	s_cbranch_scc1 .LBB55_14
; %bb.10:
	s_clause 0x1
	s_load_b128 s[16:19], s[2:3], 0x38
	s_load_b64 s[0:1], s[2:3], 0x48
	s_sub_i32 s2, s6, s14
	s_sub_i32 s9, s7, s14
	v_and_b32_e32 v0, 0xffff, v16
	v_dual_mov_b32 v2, 0 :: v_dual_and_b32 v1, 0xffff, v13
	s_mul_i32 s7, s2, 0x2400
	v_mov_b32_e32 v3, 0
	s_ashr_i32 s3, s2, 31
	s_mul_hi_i32 s6, s2, 0x2400
	v_dual_cndmask_b32 v13, v0, v1 :: v_dual_mov_b32 v0, v2
	s_delay_alu instid0(VALU_DEP_2)
	v_mov_b32_e32 v1, v3
	s_waitcnt lgkmcnt(0)
	s_add_u32 s10, s18, s7
	s_addc_u32 s11, s19, s6
	s_lshl_b64 s[6:7], s[2:3], 2
	v_add_co_u32 v14, s3, s10, v17
	s_delay_alu instid0(VALU_DEP_1)
	v_add_co_ci_u32_e64 v15, null, s11, 0, s3
	s_add_u32 s6, s16, s6
	s_addc_u32 s7, s17, s7
	s_set_inst_prefetch_distance 0x1
	s_branch .LBB55_12
	.p2align	6
.LBB55_11:                              ;   in Loop: Header=BB55_12 Depth=1
	s_add_i32 s2, s2, 1
	s_add_u32 s6, s6, 4
	s_addc_u32 s7, s7, 0
	s_cmp_lt_i32 s2, s9
	s_cbranch_scc0 .LBB55_14
.LBB55_12:                              ; =>This Inner Loop Header: Depth=1
	s_cmp_ge_i32 s2, s9
	s_cbranch_scc1 .LBB55_11
; %bb.13:                               ;   in Loop: Header=BB55_12 Depth=1
	s_load_b32 s3, s[6:7], 0x0
	s_waitcnt lgkmcnt(0)
	s_sub_i32 s3, s3, s14
	s_delay_alu instid0(SALU_CYCLE_1) | instskip(NEXT) | instid1(VALU_DEP_1)
	v_mad_u64_u32 v[18:19], null, s3, 24, v[13:14]
	v_ashrrev_i32_e32 v19, 31, v18
	s_delay_alu instid0(VALU_DEP_1) | instskip(NEXT) | instid1(VALU_DEP_1)
	v_lshlrev_b64 v[18:19], 4, v[18:19]
	v_add_co_u32 v22, vcc_lo, s0, v18
	s_delay_alu instid0(VALU_DEP_2)
	v_add_co_ci_u32_e32 v23, vcc_lo, s1, v19, vcc_lo
	global_load_b128 v[18:21], v[14:15], off
	global_load_b128 v[22:25], v[22:23], off
	v_add_co_u32 v14, vcc_lo, 0x2400, v14
	v_add_co_ci_u32_e32 v15, vcc_lo, 0, v15, vcc_lo
	s_waitcnt vmcnt(0)
	v_fma_f64 v[0:1], v[18:19], v[22:23], v[0:1]
	v_fma_f64 v[2:3], v[20:21], v[22:23], v[2:3]
	s_delay_alu instid0(VALU_DEP_2) | instskip(NEXT) | instid1(VALU_DEP_2)
	v_fma_f64 v[0:1], -v[20:21], v[24:25], v[0:1]
	v_fma_f64 v[2:3], v[18:19], v[24:25], v[2:3]
	s_branch .LBB55_11
.LBB55_14:
	s_set_inst_prefetch_distance 0x2
	s_and_b32 vcc_lo, exec_lo, s8
	ds_store_b128 v17, v[0:3]
	s_waitcnt vmcnt(0) lgkmcnt(0)
	s_barrier
	buffer_gl0_inv
	s_cbranch_vccz .LBB55_26
; %bb.15:
	v_cmp_gt_u16_e32 vcc_lo, 8, v16
	s_and_saveexec_b32 s0, vcc_lo
	s_cbranch_execz .LBB55_17
; %bb.16:
	ds_load_b128 v[18:21], v17 offset:256
	ds_load_b128 v[22:25], v17
	s_waitcnt lgkmcnt(0)
	v_add_f64 v[18:19], v[18:19], v[22:23]
	v_add_f64 v[20:21], v[20:21], v[24:25]
	ds_store_b128 v17, v[18:21]
.LBB55_17:
	s_or_b32 exec_lo, exec_lo, s0
	s_waitcnt lgkmcnt(0)
	s_barrier
	buffer_gl0_inv
	s_and_saveexec_b32 s0, vcc_lo
	s_cbranch_execz .LBB55_19
; %bb.18:
	ds_load_b128 v[18:21], v17 offset:128
	ds_load_b128 v[22:25], v17
	s_waitcnt lgkmcnt(0)
	v_add_f64 v[18:19], v[18:19], v[22:23]
	v_add_f64 v[20:21], v[20:21], v[24:25]
	ds_store_b128 v17, v[18:21]
.LBB55_19:
	s_or_b32 exec_lo, exec_lo, s0
	s_delay_alu instid0(SALU_CYCLE_1)
	s_mov_b32 s0, exec_lo
	s_waitcnt lgkmcnt(0)
	s_barrier
	buffer_gl0_inv
	v_cmpx_gt_u16_e32 4, v16
	s_cbranch_execz .LBB55_21
; %bb.20:
	ds_load_b128 v[18:21], v17 offset:64
	ds_load_b128 v[22:25], v17
	s_waitcnt lgkmcnt(0)
	v_add_f64 v[18:19], v[18:19], v[22:23]
	v_add_f64 v[20:21], v[20:21], v[24:25]
	ds_store_b128 v17, v[18:21]
.LBB55_21:
	s_or_b32 exec_lo, exec_lo, s0
	s_delay_alu instid0(SALU_CYCLE_1)
	s_mov_b32 s0, exec_lo
	s_waitcnt lgkmcnt(0)
	s_barrier
	buffer_gl0_inv
	v_cmpx_gt_u16_e32 2, v16
	s_cbranch_execz .LBB55_23
; %bb.22:
	ds_load_b128 v[13:16], v17
	ds_load_b128 v[18:21], v17 offset:32
	s_waitcnt lgkmcnt(0)
	v_add_f64 v[13:14], v[18:19], v[13:14]
	v_add_f64 v[15:16], v[20:21], v[15:16]
	ds_store_b128 v17, v[13:16]
.LBB55_23:
	s_or_b32 exec_lo, exec_lo, s0
	v_dual_mov_b32 v16, v3 :: v_dual_mov_b32 v15, v2
	v_dual_mov_b32 v14, v1 :: v_dual_mov_b32 v13, v0
	s_mov_b32 s0, exec_lo
	s_waitcnt lgkmcnt(0)
	s_barrier
	buffer_gl0_inv
	v_cmpx_gt_u32_e32 24, v4
	s_cbranch_execz .LBB55_25
; %bb.24:
	v_mul_u32_u24_e32 v13, 24, v4
	s_delay_alu instid0(VALU_DEP_1)
	v_lshlrev_b32_e32 v18, 4, v13
	ds_load_b128 v[13:16], v18
	ds_load_b128 v[18:21], v18 offset:16
	s_waitcnt lgkmcnt(0)
	v_add_f64 v[13:14], v[18:19], v[13:14]
	v_add_f64 v[15:16], v[20:21], v[15:16]
.LBB55_25:
	s_or_b32 exec_lo, exec_lo, s0
	s_branch .LBB55_38
.LBB55_26:
                                        ; implicit-def: $vgpr15_vgpr16
                                        ; implicit-def: $vgpr13_vgpr14
	s_cbranch_execz .LBB55_38
; %bb.27:
	v_cmp_gt_u32_e32 vcc_lo, 0xc0, v4
	s_and_saveexec_b32 s0, vcc_lo
	s_cbranch_execz .LBB55_29
; %bb.28:
	ds_load_b128 v[13:16], v17 offset:6144
	ds_load_b128 v[18:21], v17
	s_waitcnt lgkmcnt(0)
	v_add_f64 v[13:14], v[13:14], v[18:19]
	v_add_f64 v[15:16], v[15:16], v[20:21]
	ds_store_b128 v17, v[13:16]
.LBB55_29:
	s_or_b32 exec_lo, exec_lo, s0
	s_waitcnt lgkmcnt(0)
	s_barrier
	buffer_gl0_inv
	s_and_saveexec_b32 s0, vcc_lo
	s_cbranch_execz .LBB55_31
; %bb.30:
	ds_load_b128 v[13:16], v17 offset:3072
	ds_load_b128 v[18:21], v17
	s_waitcnt lgkmcnt(0)
	v_add_f64 v[13:14], v[13:14], v[18:19]
	v_add_f64 v[15:16], v[15:16], v[20:21]
	ds_store_b128 v17, v[13:16]
.LBB55_31:
	s_or_b32 exec_lo, exec_lo, s0
	s_delay_alu instid0(SALU_CYCLE_1)
	s_mov_b32 s0, exec_lo
	s_waitcnt lgkmcnt(0)
	s_barrier
	buffer_gl0_inv
	v_cmpx_gt_u32_e32 0x60, v4
	s_cbranch_execz .LBB55_33
; %bb.32:
	ds_load_b128 v[13:16], v17 offset:1536
	ds_load_b128 v[18:21], v17
	s_waitcnt lgkmcnt(0)
	v_add_f64 v[13:14], v[13:14], v[18:19]
	v_add_f64 v[15:16], v[15:16], v[20:21]
	ds_store_b128 v17, v[13:16]
.LBB55_33:
	s_or_b32 exec_lo, exec_lo, s0
	s_delay_alu instid0(SALU_CYCLE_1)
	s_mov_b32 s0, exec_lo
	s_waitcnt lgkmcnt(0)
	s_barrier
	buffer_gl0_inv
	v_cmpx_gt_u32_e32 48, v4
	s_cbranch_execz .LBB55_35
; %bb.34:
	ds_load_b128 v[13:16], v17 offset:768
	ds_load_b128 v[18:21], v17
	s_waitcnt lgkmcnt(0)
	v_add_f64 v[13:14], v[13:14], v[18:19]
	v_add_f64 v[15:16], v[15:16], v[20:21]
	ds_store_b128 v17, v[13:16]
.LBB55_35:
	s_or_b32 exec_lo, exec_lo, s0
	s_delay_alu instid0(SALU_CYCLE_1)
	s_mov_b32 s0, exec_lo
	s_waitcnt lgkmcnt(0)
	buffer_gl0_inv
	v_cmpx_gt_u32_e32 24, v4
	s_cbranch_execz .LBB55_37
; %bb.36:
	ds_load_b128 v[0:3], v17 offset:384
	ds_load_b128 v[13:16], v17
	s_waitcnt lgkmcnt(0)
	v_add_f64 v[0:1], v[0:1], v[13:14]
	v_add_f64 v[2:3], v[2:3], v[15:16]
.LBB55_37:
	s_or_b32 exec_lo, exec_lo, s0
	s_delay_alu instid0(VALU_DEP_1) | instskip(NEXT) | instid1(VALU_DEP_3)
	v_dual_mov_b32 v16, v3 :: v_dual_mov_b32 v15, v2
	v_dual_mov_b32 v14, v1 :: v_dual_mov_b32 v13, v0
.LBB55_38:
	v_cmp_gt_u32_e32 vcc_lo, 24, v4
	s_and_b32 exec_lo, exec_lo, vcc_lo
	s_cbranch_execz .LBB55_43
; %bb.39:
	s_delay_alu instid0(VALU_DEP_2) | instskip(SKIP_3) | instid1(VALU_DEP_4)
	v_mul_f64 v[0:1], v[15:16], -v[11:12]
	v_mul_f64 v[2:3], v[9:10], v[15:16]
	v_cmp_eq_f64_e32 vcc_lo, 0, v[5:6]
	v_cmp_eq_f64_e64 s0, 0, v[7:8]
	v_fma_f64 v[0:1], v[9:10], v[13:14], v[0:1]
	s_delay_alu instid0(VALU_DEP_4) | instskip(NEXT) | instid1(VALU_DEP_3)
	v_fma_f64 v[2:3], v[11:12], v[13:14], v[2:3]
	s_and_b32 s0, vcc_lo, s0
	s_delay_alu instid0(SALU_CYCLE_1) | instskip(NEXT) | instid1(SALU_CYCLE_1)
	s_and_saveexec_b32 s1, s0
	s_xor_b32 s0, exec_lo, s1
	s_cbranch_execz .LBB55_41
; %bb.40:
	v_mad_u64_u32 v[5:6], null, s12, 24, v[4:5]
	v_mov_b32_e32 v6, 0
                                        ; implicit-def: $vgpr7_vgpr8
	s_delay_alu instid0(VALU_DEP_1) | instskip(NEXT) | instid1(VALU_DEP_1)
	v_lshlrev_b64 v[4:5], 4, v[5:6]
	v_add_co_u32 v4, vcc_lo, s4, v4
	s_delay_alu instid0(VALU_DEP_2)
	v_add_co_ci_u32_e32 v5, vcc_lo, s5, v5, vcc_lo
	global_store_b128 v[4:5], v[0:3], off
                                        ; implicit-def: $vgpr4
                                        ; implicit-def: $vgpr5_vgpr6
                                        ; implicit-def: $vgpr0_vgpr1
.LBB55_41:
	s_and_not1_saveexec_b32 s0, s0
	s_cbranch_execz .LBB55_43
; %bb.42:
	v_mad_u64_u32 v[9:10], null, s12, 24, v[4:5]
	v_mov_b32_e32 v10, 0
	s_delay_alu instid0(VALU_DEP_1) | instskip(NEXT) | instid1(VALU_DEP_1)
	v_lshlrev_b64 v[9:10], 4, v[9:10]
	v_add_co_u32 v13, vcc_lo, s4, v9
	s_delay_alu instid0(VALU_DEP_2) | instskip(SKIP_4) | instid1(VALU_DEP_2)
	v_add_co_ci_u32_e32 v14, vcc_lo, s5, v10, vcc_lo
	global_load_b128 v[9:12], v[13:14], off
	s_waitcnt vmcnt(0)
	v_fma_f64 v[0:1], v[5:6], v[9:10], v[0:1]
	v_fma_f64 v[2:3], v[7:8], v[9:10], v[2:3]
	v_fma_f64 v[0:1], -v[7:8], v[11:12], v[0:1]
	s_delay_alu instid0(VALU_DEP_2)
	v_fma_f64 v[2:3], v[5:6], v[11:12], v[2:3]
	global_store_b128 v[13:14], v[0:3], off
.LBB55_43:
	s_nop 0
	s_sendmsg sendmsg(MSG_DEALLOC_VGPRS)
	s_endpgm
	.section	.rodata,"a",@progbits
	.p2align	6, 0x0
	.amdhsa_kernel _ZN9rocsparseL20bsrxmvn_17_32_kernelILj24E21rocsparse_complex_numIdEiiS2_S2_S2_EEvT2_20rocsparse_direction_NS_24const_host_device_scalarIT0_EES3_PKS3_PKT1_SC_S9_PKT3_PKT4_S7_PT5_21rocsparse_index_base_b
		.amdhsa_group_segment_fixed_size 18432
		.amdhsa_private_segment_fixed_size 0
		.amdhsa_kernarg_size 112
		.amdhsa_user_sgpr_count 15
		.amdhsa_user_sgpr_dispatch_ptr 1
		.amdhsa_user_sgpr_queue_ptr 0
		.amdhsa_user_sgpr_kernarg_segment_ptr 1
		.amdhsa_user_sgpr_dispatch_id 0
		.amdhsa_user_sgpr_private_segment_size 0
		.amdhsa_wavefront_size32 1
		.amdhsa_uses_dynamic_stack 0
		.amdhsa_enable_private_segment 0
		.amdhsa_system_sgpr_workgroup_id_x 1
		.amdhsa_system_sgpr_workgroup_id_y 0
		.amdhsa_system_sgpr_workgroup_id_z 0
		.amdhsa_system_sgpr_workgroup_info 0
		.amdhsa_system_vgpr_workitem_id 2
		.amdhsa_next_free_vgpr 26
		.amdhsa_next_free_sgpr 20
		.amdhsa_reserve_vcc 1
		.amdhsa_float_round_mode_32 0
		.amdhsa_float_round_mode_16_64 0
		.amdhsa_float_denorm_mode_32 3
		.amdhsa_float_denorm_mode_16_64 3
		.amdhsa_dx10_clamp 1
		.amdhsa_ieee_mode 1
		.amdhsa_fp16_overflow 0
		.amdhsa_workgroup_processor_mode 1
		.amdhsa_memory_ordered 1
		.amdhsa_forward_progress 0
		.amdhsa_shared_vgpr_count 0
		.amdhsa_exception_fp_ieee_invalid_op 0
		.amdhsa_exception_fp_denorm_src 0
		.amdhsa_exception_fp_ieee_div_zero 0
		.amdhsa_exception_fp_ieee_overflow 0
		.amdhsa_exception_fp_ieee_underflow 0
		.amdhsa_exception_fp_ieee_inexact 0
		.amdhsa_exception_int_div_zero 0
	.end_amdhsa_kernel
	.section	.text._ZN9rocsparseL20bsrxmvn_17_32_kernelILj24E21rocsparse_complex_numIdEiiS2_S2_S2_EEvT2_20rocsparse_direction_NS_24const_host_device_scalarIT0_EES3_PKS3_PKT1_SC_S9_PKT3_PKT4_S7_PT5_21rocsparse_index_base_b,"axG",@progbits,_ZN9rocsparseL20bsrxmvn_17_32_kernelILj24E21rocsparse_complex_numIdEiiS2_S2_S2_EEvT2_20rocsparse_direction_NS_24const_host_device_scalarIT0_EES3_PKS3_PKT1_SC_S9_PKT3_PKT4_S7_PT5_21rocsparse_index_base_b,comdat
.Lfunc_end55:
	.size	_ZN9rocsparseL20bsrxmvn_17_32_kernelILj24E21rocsparse_complex_numIdEiiS2_S2_S2_EEvT2_20rocsparse_direction_NS_24const_host_device_scalarIT0_EES3_PKS3_PKT1_SC_S9_PKT3_PKT4_S7_PT5_21rocsparse_index_base_b, .Lfunc_end55-_ZN9rocsparseL20bsrxmvn_17_32_kernelILj24E21rocsparse_complex_numIdEiiS2_S2_S2_EEvT2_20rocsparse_direction_NS_24const_host_device_scalarIT0_EES3_PKS3_PKT1_SC_S9_PKT3_PKT4_S7_PT5_21rocsparse_index_base_b
                                        ; -- End function
	.section	.AMDGPU.csdata,"",@progbits
; Kernel info:
; codeLenInByte = 1964
; NumSgprs: 22
; NumVgprs: 26
; ScratchSize: 0
; MemoryBound: 0
; FloatMode: 240
; IeeeMode: 1
; LDSByteSize: 18432 bytes/workgroup (compile time only)
; SGPRBlocks: 2
; VGPRBlocks: 3
; NumSGPRsForWavesPerEU: 22
; NumVGPRsForWavesPerEU: 26
; Occupancy: 14
; WaveLimiterHint : 1
; COMPUTE_PGM_RSRC2:SCRATCH_EN: 0
; COMPUTE_PGM_RSRC2:USER_SGPR: 15
; COMPUTE_PGM_RSRC2:TRAP_HANDLER: 0
; COMPUTE_PGM_RSRC2:TGID_X_EN: 1
; COMPUTE_PGM_RSRC2:TGID_Y_EN: 0
; COMPUTE_PGM_RSRC2:TGID_Z_EN: 0
; COMPUTE_PGM_RSRC2:TIDIG_COMP_CNT: 2
	.section	.text._ZN9rocsparseL20bsrxmvn_17_32_kernelILj25E21rocsparse_complex_numIdEiiS2_S2_S2_EEvT2_20rocsparse_direction_NS_24const_host_device_scalarIT0_EES3_PKS3_PKT1_SC_S9_PKT3_PKT4_S7_PT5_21rocsparse_index_base_b,"axG",@progbits,_ZN9rocsparseL20bsrxmvn_17_32_kernelILj25E21rocsparse_complex_numIdEiiS2_S2_S2_EEvT2_20rocsparse_direction_NS_24const_host_device_scalarIT0_EES3_PKS3_PKT1_SC_S9_PKT3_PKT4_S7_PT5_21rocsparse_index_base_b,comdat
	.globl	_ZN9rocsparseL20bsrxmvn_17_32_kernelILj25E21rocsparse_complex_numIdEiiS2_S2_S2_EEvT2_20rocsparse_direction_NS_24const_host_device_scalarIT0_EES3_PKS3_PKT1_SC_S9_PKT3_PKT4_S7_PT5_21rocsparse_index_base_b ; -- Begin function _ZN9rocsparseL20bsrxmvn_17_32_kernelILj25E21rocsparse_complex_numIdEiiS2_S2_S2_EEvT2_20rocsparse_direction_NS_24const_host_device_scalarIT0_EES3_PKS3_PKT1_SC_S9_PKT3_PKT4_S7_PT5_21rocsparse_index_base_b
	.p2align	8
	.type	_ZN9rocsparseL20bsrxmvn_17_32_kernelILj25E21rocsparse_complex_numIdEiiS2_S2_S2_EEvT2_20rocsparse_direction_NS_24const_host_device_scalarIT0_EES3_PKS3_PKT1_SC_S9_PKT3_PKT4_S7_PT5_21rocsparse_index_base_b,@function
_ZN9rocsparseL20bsrxmvn_17_32_kernelILj25E21rocsparse_complex_numIdEiiS2_S2_S2_EEvT2_20rocsparse_direction_NS_24const_host_device_scalarIT0_EES3_PKS3_PKT1_SC_S9_PKT3_PKT4_S7_PT5_21rocsparse_index_base_b: ; @_ZN9rocsparseL20bsrxmvn_17_32_kernelILj25E21rocsparse_complex_numIdEiiS2_S2_S2_EEvT2_20rocsparse_direction_NS_24const_host_device_scalarIT0_EES3_PKS3_PKT1_SC_S9_PKT3_PKT4_S7_PT5_21rocsparse_index_base_b
; %bb.0:
	s_mov_b32 s12, s15
	s_clause 0x1
	s_load_b64 s[14:15], s[2:3], 0x68
	s_load_b128 s[4:7], s[2:3], 0x8
	s_load_b64 s[16:17], s[0:1], 0x4
	s_mov_b64 s[0:1], src_shared_base
	v_and_b32_e32 v4, 0x3ff, v0
	s_load_b128 s[8:11], s[2:3], 0x50
	v_bfe_u32 v2, v0, 10, 10
	v_bfe_u32 v0, v0, 20, 10
	s_waitcnt lgkmcnt(0)
	s_bitcmp1_b32 s15, 0
	v_mov_b32_e32 v12, s7
	s_cselect_b32 s0, -1, 0
	v_mov_b32_e32 v11, s6
	s_and_b32 vcc_lo, s0, exec_lo
	s_cselect_b32 s13, s1, s5
	s_lshr_b32 s15, s16, 16
	v_mov_b32_e32 v6, s13
	s_mul_i32 s15, s15, s17
	s_xor_b32 s6, s0, -1
	v_mul_lo_u32 v1, s15, v4
	s_delay_alu instid0(VALU_DEP_1) | instskip(SKIP_1) | instid1(VALU_DEP_2)
	v_mad_u32_u24 v1, v2, s17, v1
	v_dual_mov_b32 v2, s8 :: v_dual_mov_b32 v3, s9
	v_add_lshl_u32 v7, v1, v0, 3
	v_dual_mov_b32 v0, s4 :: v_dual_mov_b32 v1, s5
	ds_store_b64 v7, v[0:1] offset:15000
	ds_store_b64 v7, v[2:3] offset:10000
	v_add_nc_u32_e32 v5, 0x3a98, v7
	v_add_nc_u32_e32 v0, 0x2710, v7
	s_delay_alu instid0(VALU_DEP_2)
	v_cndmask_b32_e64 v5, s4, v5, s0
	flat_load_b64 v[9:10], v[5:6]
	s_cbranch_vccnz .LBB56_2
; %bb.1:
	v_dual_mov_b32 v1, s4 :: v_dual_mov_b32 v2, s5
	flat_load_b64 v[11:12], v[1:2] offset:8
.LBB56_2:
	s_and_b32 s4, s0, exec_lo
	s_cselect_b32 s1, s1, s9
	v_cndmask_b32_e64 v0, s8, v0, s0
	v_mov_b32_e32 v1, s1
	v_dual_mov_b32 v7, s10 :: v_dual_mov_b32 v8, s11
	s_and_not1_b32 vcc_lo, exec_lo, s6
	flat_load_b64 v[5:6], v[0:1]
	s_cbranch_vccnz .LBB56_4
; %bb.3:
	v_dual_mov_b32 v0, s8 :: v_dual_mov_b32 v1, s9
	flat_load_b64 v[7:8], v[0:1] offset:8
.LBB56_4:
	s_waitcnt vmcnt(1) lgkmcnt(1)
	v_cmp_eq_f64_e32 vcc_lo, 0, v[9:10]
	v_cmp_eq_f64_e64 s0, 0, v[11:12]
	s_delay_alu instid0(VALU_DEP_1)
	s_and_b32 s4, vcc_lo, s0
	s_mov_b32 s0, -1
	s_and_saveexec_b32 s1, s4
	s_cbranch_execz .LBB56_6
; %bb.5:
	s_waitcnt vmcnt(0) lgkmcnt(0)
	v_cmp_neq_f64_e32 vcc_lo, 1.0, v[5:6]
	v_cmp_neq_f64_e64 s0, 0, v[7:8]
	s_delay_alu instid0(VALU_DEP_1) | instskip(NEXT) | instid1(SALU_CYCLE_1)
	s_or_b32 s0, vcc_lo, s0
	s_or_not1_b32 s0, s0, exec_lo
.LBB56_6:
	s_or_b32 exec_lo, exec_lo, s1
	s_and_saveexec_b32 s1, s0
	s_cbranch_execz .LBB56_43
; %bb.7:
	s_clause 0x1
	s_load_b128 s[4:7], s[2:3], 0x20
	s_load_b64 s[0:1], s[2:3], 0x30
	s_waitcnt lgkmcnt(0)
	s_cmp_eq_u64 s[4:5], 0
	s_cbranch_scc1 .LBB56_9
; %bb.8:
	s_ashr_i32 s13, s12, 31
	s_delay_alu instid0(SALU_CYCLE_1) | instskip(NEXT) | instid1(SALU_CYCLE_1)
	s_lshl_b64 s[8:9], s[12:13], 2
	s_add_u32 s4, s4, s8
	s_addc_u32 s5, s5, s9
	s_load_b32 s4, s[4:5], 0x0
	s_waitcnt lgkmcnt(0)
	s_sub_i32 s12, s4, s14
.LBB56_9:
	s_load_b32 s4, s[2:3], 0x4
	v_mul_u32_u24_e32 v0, 0xa3e, v4
	v_dual_mov_b32 v2, 0 :: v_dual_lshlrev_b32 v17, 4, v4
	v_mov_b32_e32 v3, 0
	s_delay_alu instid0(VALU_DEP_3) | instskip(NEXT) | instid1(VALU_DEP_1)
	v_lshrrev_b32_e32 v13, 16, v0
	v_mul_lo_u16 v0, v13, 25
	s_delay_alu instid0(VALU_DEP_1) | instskip(NEXT) | instid1(VALU_DEP_4)
	v_sub_nc_u16 v16, v4, v0
	v_dual_mov_b32 v0, v2 :: v_dual_mov_b32 v1, v3
	s_waitcnt lgkmcnt(0)
	s_cmp_eq_u32 s4, 1
	s_cselect_b32 vcc_lo, -1, 0
	s_cmp_lg_u32 s4, 1
	s_cselect_b32 s8, -1, 0
	s_ashr_i32 s13, s12, 31
	s_delay_alu instid0(SALU_CYCLE_1) | instskip(NEXT) | instid1(SALU_CYCLE_1)
	s_lshl_b64 s[4:5], s[12:13], 2
	s_add_u32 s6, s6, s4
	s_addc_u32 s7, s7, s5
	s_add_u32 s9, s6, 4
	s_addc_u32 s10, s7, 0
	;; [unrolled: 2-line block ×3, first 2 shown]
	s_cmp_eq_u64 s[0:1], 0
	s_cselect_b32 s1, s10, s5
	s_cselect_b32 s0, s9, s4
	s_load_b32 s6, s[6:7], 0x0
	s_load_b32 s7, s[0:1], 0x0
	s_load_b64 s[4:5], s[2:3], 0x60
	s_waitcnt lgkmcnt(0)
	s_cmp_ge_i32 s6, s7
	s_cbranch_scc1 .LBB56_14
; %bb.10:
	s_clause 0x1
	s_load_b128 s[16:19], s[2:3], 0x38
	s_load_b64 s[0:1], s[2:3], 0x48
	s_sub_i32 s2, s6, s14
	s_sub_i32 s9, s7, s14
	v_and_b32_e32 v0, 0xffff, v16
	v_dual_mov_b32 v2, 0 :: v_dual_and_b32 v1, 0xffff, v13
	s_mul_i32 s7, s2, 0x2710
	v_mov_b32_e32 v3, 0
	s_ashr_i32 s3, s2, 31
	s_mul_hi_i32 s6, s2, 0x2710
	v_dual_cndmask_b32 v13, v0, v1 :: v_dual_mov_b32 v0, v2
	s_delay_alu instid0(VALU_DEP_2)
	v_mov_b32_e32 v1, v3
	s_waitcnt lgkmcnt(0)
	s_add_u32 s10, s18, s7
	s_addc_u32 s11, s19, s6
	s_lshl_b64 s[6:7], s[2:3], 2
	v_add_co_u32 v14, s3, s10, v17
	s_delay_alu instid0(VALU_DEP_1)
	v_add_co_ci_u32_e64 v15, null, s11, 0, s3
	s_add_u32 s6, s16, s6
	s_addc_u32 s7, s17, s7
	s_set_inst_prefetch_distance 0x1
	s_branch .LBB56_12
	.p2align	6
.LBB56_11:                              ;   in Loop: Header=BB56_12 Depth=1
	s_add_i32 s2, s2, 1
	s_add_u32 s6, s6, 4
	s_addc_u32 s7, s7, 0
	s_cmp_lt_i32 s2, s9
	s_cbranch_scc0 .LBB56_14
.LBB56_12:                              ; =>This Inner Loop Header: Depth=1
	s_cmp_ge_i32 s2, s9
	s_cbranch_scc1 .LBB56_11
; %bb.13:                               ;   in Loop: Header=BB56_12 Depth=1
	s_load_b32 s3, s[6:7], 0x0
	s_waitcnt lgkmcnt(0)
	s_sub_i32 s3, s3, s14
	s_delay_alu instid0(SALU_CYCLE_1) | instskip(NEXT) | instid1(VALU_DEP_1)
	v_mad_u64_u32 v[18:19], null, s3, 25, v[13:14]
	v_ashrrev_i32_e32 v19, 31, v18
	s_delay_alu instid0(VALU_DEP_1) | instskip(NEXT) | instid1(VALU_DEP_1)
	v_lshlrev_b64 v[18:19], 4, v[18:19]
	v_add_co_u32 v22, vcc_lo, s0, v18
	s_delay_alu instid0(VALU_DEP_2)
	v_add_co_ci_u32_e32 v23, vcc_lo, s1, v19, vcc_lo
	global_load_b128 v[18:21], v[14:15], off
	global_load_b128 v[22:25], v[22:23], off
	v_add_co_u32 v14, vcc_lo, 0x2710, v14
	v_add_co_ci_u32_e32 v15, vcc_lo, 0, v15, vcc_lo
	s_waitcnt vmcnt(0)
	v_fma_f64 v[0:1], v[18:19], v[22:23], v[0:1]
	v_fma_f64 v[2:3], v[20:21], v[22:23], v[2:3]
	s_delay_alu instid0(VALU_DEP_2) | instskip(NEXT) | instid1(VALU_DEP_2)
	v_fma_f64 v[0:1], -v[20:21], v[24:25], v[0:1]
	v_fma_f64 v[2:3], v[18:19], v[24:25], v[2:3]
	s_branch .LBB56_11
.LBB56_14:
	s_set_inst_prefetch_distance 0x2
	s_and_b32 vcc_lo, exec_lo, s8
	ds_store_b128 v17, v[0:3]
	s_waitcnt vmcnt(0) lgkmcnt(0)
	s_barrier
	buffer_gl0_inv
	s_cbranch_vccz .LBB56_26
; %bb.15:
	s_mov_b32 s0, exec_lo
	v_cmpx_gt_u16_e32 9, v16
	s_cbranch_execz .LBB56_17
; %bb.16:
	ds_load_b128 v[18:21], v17 offset:256
	ds_load_b128 v[22:25], v17
	s_waitcnt lgkmcnt(0)
	v_add_f64 v[18:19], v[18:19], v[22:23]
	v_add_f64 v[20:21], v[20:21], v[24:25]
	ds_store_b128 v17, v[18:21]
.LBB56_17:
	s_or_b32 exec_lo, exec_lo, s0
	s_delay_alu instid0(SALU_CYCLE_1)
	s_mov_b32 s0, exec_lo
	s_waitcnt lgkmcnt(0)
	s_barrier
	buffer_gl0_inv
	v_cmpx_gt_u16_e32 8, v16
	s_cbranch_execz .LBB56_19
; %bb.18:
	ds_load_b128 v[18:21], v17 offset:128
	ds_load_b128 v[22:25], v17
	s_waitcnt lgkmcnt(0)
	v_add_f64 v[18:19], v[18:19], v[22:23]
	v_add_f64 v[20:21], v[20:21], v[24:25]
	ds_store_b128 v17, v[18:21]
.LBB56_19:
	s_or_b32 exec_lo, exec_lo, s0
	s_delay_alu instid0(SALU_CYCLE_1)
	s_mov_b32 s0, exec_lo
	s_waitcnt lgkmcnt(0)
	s_barrier
	buffer_gl0_inv
	;; [unrolled: 16-line block ×3, first 2 shown]
	v_cmpx_gt_u16_e32 2, v16
	s_cbranch_execz .LBB56_23
; %bb.22:
	ds_load_b128 v[13:16], v17
	ds_load_b128 v[18:21], v17 offset:32
	s_waitcnt lgkmcnt(0)
	v_add_f64 v[13:14], v[18:19], v[13:14]
	v_add_f64 v[15:16], v[20:21], v[15:16]
	ds_store_b128 v17, v[13:16]
.LBB56_23:
	s_or_b32 exec_lo, exec_lo, s0
	v_dual_mov_b32 v16, v3 :: v_dual_mov_b32 v15, v2
	v_dual_mov_b32 v14, v1 :: v_dual_mov_b32 v13, v0
	s_mov_b32 s0, exec_lo
	s_waitcnt lgkmcnt(0)
	s_barrier
	buffer_gl0_inv
	v_cmpx_gt_u32_e32 25, v4
	s_cbranch_execz .LBB56_25
; %bb.24:
	v_mul_u32_u24_e32 v13, 25, v4
	s_delay_alu instid0(VALU_DEP_1)
	v_lshlrev_b32_e32 v18, 4, v13
	ds_load_b128 v[13:16], v18
	ds_load_b128 v[18:21], v18 offset:16
	s_waitcnt lgkmcnt(0)
	v_add_f64 v[13:14], v[18:19], v[13:14]
	v_add_f64 v[15:16], v[20:21], v[15:16]
.LBB56_25:
	s_or_b32 exec_lo, exec_lo, s0
	s_branch .LBB56_38
.LBB56_26:
                                        ; implicit-def: $vgpr15_vgpr16
                                        ; implicit-def: $vgpr13_vgpr14
	s_cbranch_execz .LBB56_38
; %bb.27:
	s_mov_b32 s0, exec_lo
	v_cmpx_gt_u32_e32 0xe1, v4
	s_cbranch_execz .LBB56_29
; %bb.28:
	ds_load_b128 v[13:16], v17 offset:6400
	ds_load_b128 v[18:21], v17
	s_waitcnt lgkmcnt(0)
	v_add_f64 v[13:14], v[13:14], v[18:19]
	v_add_f64 v[15:16], v[15:16], v[20:21]
	ds_store_b128 v17, v[13:16]
.LBB56_29:
	s_or_b32 exec_lo, exec_lo, s0
	s_delay_alu instid0(SALU_CYCLE_1)
	s_mov_b32 s0, exec_lo
	s_waitcnt lgkmcnt(0)
	s_barrier
	buffer_gl0_inv
	v_cmpx_gt_u32_e32 0xc8, v4
	s_cbranch_execz .LBB56_31
; %bb.30:
	ds_load_b128 v[13:16], v17 offset:3200
	ds_load_b128 v[18:21], v17
	s_waitcnt lgkmcnt(0)
	v_add_f64 v[13:14], v[13:14], v[18:19]
	v_add_f64 v[15:16], v[15:16], v[20:21]
	ds_store_b128 v17, v[13:16]
.LBB56_31:
	s_or_b32 exec_lo, exec_lo, s0
	s_delay_alu instid0(SALU_CYCLE_1)
	s_mov_b32 s0, exec_lo
	s_waitcnt lgkmcnt(0)
	s_barrier
	buffer_gl0_inv
	;; [unrolled: 16-line block ×3, first 2 shown]
	v_cmpx_gt_u32_e32 50, v4
	s_cbranch_execz .LBB56_35
; %bb.34:
	ds_load_b128 v[13:16], v17 offset:800
	ds_load_b128 v[18:21], v17
	s_waitcnt lgkmcnt(0)
	v_add_f64 v[13:14], v[13:14], v[18:19]
	v_add_f64 v[15:16], v[15:16], v[20:21]
	ds_store_b128 v17, v[13:16]
.LBB56_35:
	s_or_b32 exec_lo, exec_lo, s0
	s_delay_alu instid0(SALU_CYCLE_1)
	s_mov_b32 s0, exec_lo
	s_waitcnt lgkmcnt(0)
	buffer_gl0_inv
	v_cmpx_gt_u32_e32 25, v4
	s_cbranch_execz .LBB56_37
; %bb.36:
	ds_load_b128 v[0:3], v17 offset:400
	ds_load_b128 v[13:16], v17
	s_waitcnt lgkmcnt(0)
	v_add_f64 v[0:1], v[0:1], v[13:14]
	v_add_f64 v[2:3], v[2:3], v[15:16]
.LBB56_37:
	s_or_b32 exec_lo, exec_lo, s0
	s_delay_alu instid0(VALU_DEP_1) | instskip(NEXT) | instid1(VALU_DEP_3)
	v_dual_mov_b32 v16, v3 :: v_dual_mov_b32 v15, v2
	v_dual_mov_b32 v14, v1 :: v_dual_mov_b32 v13, v0
.LBB56_38:
	v_cmp_gt_u32_e32 vcc_lo, 25, v4
	s_and_b32 exec_lo, exec_lo, vcc_lo
	s_cbranch_execz .LBB56_43
; %bb.39:
	s_delay_alu instid0(VALU_DEP_2) | instskip(SKIP_3) | instid1(VALU_DEP_4)
	v_mul_f64 v[0:1], v[15:16], -v[11:12]
	v_mul_f64 v[2:3], v[9:10], v[15:16]
	v_cmp_eq_f64_e32 vcc_lo, 0, v[5:6]
	v_cmp_eq_f64_e64 s0, 0, v[7:8]
	v_fma_f64 v[0:1], v[9:10], v[13:14], v[0:1]
	s_delay_alu instid0(VALU_DEP_4) | instskip(NEXT) | instid1(VALU_DEP_3)
	v_fma_f64 v[2:3], v[11:12], v[13:14], v[2:3]
	s_and_b32 s0, vcc_lo, s0
	s_delay_alu instid0(SALU_CYCLE_1) | instskip(NEXT) | instid1(SALU_CYCLE_1)
	s_and_saveexec_b32 s1, s0
	s_xor_b32 s0, exec_lo, s1
	s_cbranch_execz .LBB56_41
; %bb.40:
	v_mad_u64_u32 v[5:6], null, s12, 25, v[4:5]
	v_mov_b32_e32 v6, 0
                                        ; implicit-def: $vgpr7_vgpr8
	s_delay_alu instid0(VALU_DEP_1) | instskip(NEXT) | instid1(VALU_DEP_1)
	v_lshlrev_b64 v[4:5], 4, v[5:6]
	v_add_co_u32 v4, vcc_lo, s4, v4
	s_delay_alu instid0(VALU_DEP_2)
	v_add_co_ci_u32_e32 v5, vcc_lo, s5, v5, vcc_lo
	global_store_b128 v[4:5], v[0:3], off
                                        ; implicit-def: $vgpr4
                                        ; implicit-def: $vgpr5_vgpr6
                                        ; implicit-def: $vgpr0_vgpr1
.LBB56_41:
	s_and_not1_saveexec_b32 s0, s0
	s_cbranch_execz .LBB56_43
; %bb.42:
	v_mad_u64_u32 v[9:10], null, s12, 25, v[4:5]
	v_mov_b32_e32 v10, 0
	s_delay_alu instid0(VALU_DEP_1) | instskip(NEXT) | instid1(VALU_DEP_1)
	v_lshlrev_b64 v[9:10], 4, v[9:10]
	v_add_co_u32 v13, vcc_lo, s4, v9
	s_delay_alu instid0(VALU_DEP_2) | instskip(SKIP_4) | instid1(VALU_DEP_2)
	v_add_co_ci_u32_e32 v14, vcc_lo, s5, v10, vcc_lo
	global_load_b128 v[9:12], v[13:14], off
	s_waitcnt vmcnt(0)
	v_fma_f64 v[0:1], v[5:6], v[9:10], v[0:1]
	v_fma_f64 v[2:3], v[7:8], v[9:10], v[2:3]
	v_fma_f64 v[0:1], -v[7:8], v[11:12], v[0:1]
	s_delay_alu instid0(VALU_DEP_2)
	v_fma_f64 v[2:3], v[5:6], v[11:12], v[2:3]
	global_store_b128 v[13:14], v[0:3], off
.LBB56_43:
	s_nop 0
	s_sendmsg sendmsg(MSG_DEALLOC_VGPRS)
	s_endpgm
	.section	.rodata,"a",@progbits
	.p2align	6, 0x0
	.amdhsa_kernel _ZN9rocsparseL20bsrxmvn_17_32_kernelILj25E21rocsparse_complex_numIdEiiS2_S2_S2_EEvT2_20rocsparse_direction_NS_24const_host_device_scalarIT0_EES3_PKS3_PKT1_SC_S9_PKT3_PKT4_S7_PT5_21rocsparse_index_base_b
		.amdhsa_group_segment_fixed_size 20000
		.amdhsa_private_segment_fixed_size 0
		.amdhsa_kernarg_size 112
		.amdhsa_user_sgpr_count 15
		.amdhsa_user_sgpr_dispatch_ptr 1
		.amdhsa_user_sgpr_queue_ptr 0
		.amdhsa_user_sgpr_kernarg_segment_ptr 1
		.amdhsa_user_sgpr_dispatch_id 0
		.amdhsa_user_sgpr_private_segment_size 0
		.amdhsa_wavefront_size32 1
		.amdhsa_uses_dynamic_stack 0
		.amdhsa_enable_private_segment 0
		.amdhsa_system_sgpr_workgroup_id_x 1
		.amdhsa_system_sgpr_workgroup_id_y 0
		.amdhsa_system_sgpr_workgroup_id_z 0
		.amdhsa_system_sgpr_workgroup_info 0
		.amdhsa_system_vgpr_workitem_id 2
		.amdhsa_next_free_vgpr 26
		.amdhsa_next_free_sgpr 20
		.amdhsa_reserve_vcc 1
		.amdhsa_float_round_mode_32 0
		.amdhsa_float_round_mode_16_64 0
		.amdhsa_float_denorm_mode_32 3
		.amdhsa_float_denorm_mode_16_64 3
		.amdhsa_dx10_clamp 1
		.amdhsa_ieee_mode 1
		.amdhsa_fp16_overflow 0
		.amdhsa_workgroup_processor_mode 1
		.amdhsa_memory_ordered 1
		.amdhsa_forward_progress 0
		.amdhsa_shared_vgpr_count 0
		.amdhsa_exception_fp_ieee_invalid_op 0
		.amdhsa_exception_fp_denorm_src 0
		.amdhsa_exception_fp_ieee_div_zero 0
		.amdhsa_exception_fp_ieee_overflow 0
		.amdhsa_exception_fp_ieee_underflow 0
		.amdhsa_exception_fp_ieee_inexact 0
		.amdhsa_exception_int_div_zero 0
	.end_amdhsa_kernel
	.section	.text._ZN9rocsparseL20bsrxmvn_17_32_kernelILj25E21rocsparse_complex_numIdEiiS2_S2_S2_EEvT2_20rocsparse_direction_NS_24const_host_device_scalarIT0_EES3_PKS3_PKT1_SC_S9_PKT3_PKT4_S7_PT5_21rocsparse_index_base_b,"axG",@progbits,_ZN9rocsparseL20bsrxmvn_17_32_kernelILj25E21rocsparse_complex_numIdEiiS2_S2_S2_EEvT2_20rocsparse_direction_NS_24const_host_device_scalarIT0_EES3_PKS3_PKT1_SC_S9_PKT3_PKT4_S7_PT5_21rocsparse_index_base_b,comdat
.Lfunc_end56:
	.size	_ZN9rocsparseL20bsrxmvn_17_32_kernelILj25E21rocsparse_complex_numIdEiiS2_S2_S2_EEvT2_20rocsparse_direction_NS_24const_host_device_scalarIT0_EES3_PKS3_PKT1_SC_S9_PKT3_PKT4_S7_PT5_21rocsparse_index_base_b, .Lfunc_end56-_ZN9rocsparseL20bsrxmvn_17_32_kernelILj25E21rocsparse_complex_numIdEiiS2_S2_S2_EEvT2_20rocsparse_direction_NS_24const_host_device_scalarIT0_EES3_PKS3_PKT1_SC_S9_PKT3_PKT4_S7_PT5_21rocsparse_index_base_b
                                        ; -- End function
	.section	.AMDGPU.csdata,"",@progbits
; Kernel info:
; codeLenInByte = 1992
; NumSgprs: 22
; NumVgprs: 26
; ScratchSize: 0
; MemoryBound: 0
; FloatMode: 240
; IeeeMode: 1
; LDSByteSize: 20000 bytes/workgroup (compile time only)
; SGPRBlocks: 2
; VGPRBlocks: 3
; NumSGPRsForWavesPerEU: 22
; NumVGPRsForWavesPerEU: 26
; Occupancy: 15
; WaveLimiterHint : 1
; COMPUTE_PGM_RSRC2:SCRATCH_EN: 0
; COMPUTE_PGM_RSRC2:USER_SGPR: 15
; COMPUTE_PGM_RSRC2:TRAP_HANDLER: 0
; COMPUTE_PGM_RSRC2:TGID_X_EN: 1
; COMPUTE_PGM_RSRC2:TGID_Y_EN: 0
; COMPUTE_PGM_RSRC2:TGID_Z_EN: 0
; COMPUTE_PGM_RSRC2:TIDIG_COMP_CNT: 2
	.section	.text._ZN9rocsparseL20bsrxmvn_17_32_kernelILj26E21rocsparse_complex_numIdEiiS2_S2_S2_EEvT2_20rocsparse_direction_NS_24const_host_device_scalarIT0_EES3_PKS3_PKT1_SC_S9_PKT3_PKT4_S7_PT5_21rocsparse_index_base_b,"axG",@progbits,_ZN9rocsparseL20bsrxmvn_17_32_kernelILj26E21rocsparse_complex_numIdEiiS2_S2_S2_EEvT2_20rocsparse_direction_NS_24const_host_device_scalarIT0_EES3_PKS3_PKT1_SC_S9_PKT3_PKT4_S7_PT5_21rocsparse_index_base_b,comdat
	.globl	_ZN9rocsparseL20bsrxmvn_17_32_kernelILj26E21rocsparse_complex_numIdEiiS2_S2_S2_EEvT2_20rocsparse_direction_NS_24const_host_device_scalarIT0_EES3_PKS3_PKT1_SC_S9_PKT3_PKT4_S7_PT5_21rocsparse_index_base_b ; -- Begin function _ZN9rocsparseL20bsrxmvn_17_32_kernelILj26E21rocsparse_complex_numIdEiiS2_S2_S2_EEvT2_20rocsparse_direction_NS_24const_host_device_scalarIT0_EES3_PKS3_PKT1_SC_S9_PKT3_PKT4_S7_PT5_21rocsparse_index_base_b
	.p2align	8
	.type	_ZN9rocsparseL20bsrxmvn_17_32_kernelILj26E21rocsparse_complex_numIdEiiS2_S2_S2_EEvT2_20rocsparse_direction_NS_24const_host_device_scalarIT0_EES3_PKS3_PKT1_SC_S9_PKT3_PKT4_S7_PT5_21rocsparse_index_base_b,@function
_ZN9rocsparseL20bsrxmvn_17_32_kernelILj26E21rocsparse_complex_numIdEiiS2_S2_S2_EEvT2_20rocsparse_direction_NS_24const_host_device_scalarIT0_EES3_PKS3_PKT1_SC_S9_PKT3_PKT4_S7_PT5_21rocsparse_index_base_b: ; @_ZN9rocsparseL20bsrxmvn_17_32_kernelILj26E21rocsparse_complex_numIdEiiS2_S2_S2_EEvT2_20rocsparse_direction_NS_24const_host_device_scalarIT0_EES3_PKS3_PKT1_SC_S9_PKT3_PKT4_S7_PT5_21rocsparse_index_base_b
; %bb.0:
	s_mov_b32 s12, s15
	s_clause 0x1
	s_load_b64 s[14:15], s[2:3], 0x68
	s_load_b128 s[4:7], s[2:3], 0x8
	s_load_b64 s[16:17], s[0:1], 0x4
	s_mov_b64 s[0:1], src_shared_base
	v_and_b32_e32 v4, 0x3ff, v0
	s_load_b128 s[8:11], s[2:3], 0x50
	v_bfe_u32 v2, v0, 10, 10
	v_bfe_u32 v0, v0, 20, 10
	s_waitcnt lgkmcnt(0)
	s_bitcmp1_b32 s15, 0
	v_mov_b32_e32 v12, s7
	s_cselect_b32 s0, -1, 0
	v_mov_b32_e32 v11, s6
	s_and_b32 vcc_lo, s0, exec_lo
	s_cselect_b32 s13, s1, s5
	s_lshr_b32 s15, s16, 16
	v_mov_b32_e32 v6, s13
	s_mul_i32 s15, s15, s17
	s_xor_b32 s6, s0, -1
	v_mul_lo_u32 v1, s15, v4
	s_delay_alu instid0(VALU_DEP_1) | instskip(SKIP_1) | instid1(VALU_DEP_2)
	v_mad_u32_u24 v1, v2, s17, v1
	v_dual_mov_b32 v2, s8 :: v_dual_mov_b32 v3, s9
	v_add_lshl_u32 v7, v1, v0, 3
	v_dual_mov_b32 v0, s4 :: v_dual_mov_b32 v1, s5
	ds_store_b64 v7, v[0:1] offset:16224
	ds_store_b64 v7, v[2:3] offset:10816
	v_add_nc_u32_e32 v5, 0x3f60, v7
	v_add_nc_u32_e32 v0, 0x2a40, v7
	s_delay_alu instid0(VALU_DEP_2)
	v_cndmask_b32_e64 v5, s4, v5, s0
	flat_load_b64 v[9:10], v[5:6]
	s_cbranch_vccnz .LBB57_2
; %bb.1:
	v_dual_mov_b32 v1, s4 :: v_dual_mov_b32 v2, s5
	flat_load_b64 v[11:12], v[1:2] offset:8
.LBB57_2:
	s_and_b32 s4, s0, exec_lo
	s_cselect_b32 s1, s1, s9
	v_cndmask_b32_e64 v0, s8, v0, s0
	v_mov_b32_e32 v1, s1
	v_dual_mov_b32 v7, s10 :: v_dual_mov_b32 v8, s11
	s_and_not1_b32 vcc_lo, exec_lo, s6
	flat_load_b64 v[5:6], v[0:1]
	s_cbranch_vccnz .LBB57_4
; %bb.3:
	v_dual_mov_b32 v0, s8 :: v_dual_mov_b32 v1, s9
	flat_load_b64 v[7:8], v[0:1] offset:8
.LBB57_4:
	s_waitcnt vmcnt(1) lgkmcnt(1)
	v_cmp_eq_f64_e32 vcc_lo, 0, v[9:10]
	v_cmp_eq_f64_e64 s0, 0, v[11:12]
	s_delay_alu instid0(VALU_DEP_1)
	s_and_b32 s4, vcc_lo, s0
	s_mov_b32 s0, -1
	s_and_saveexec_b32 s1, s4
	s_cbranch_execz .LBB57_6
; %bb.5:
	s_waitcnt vmcnt(0) lgkmcnt(0)
	v_cmp_neq_f64_e32 vcc_lo, 1.0, v[5:6]
	v_cmp_neq_f64_e64 s0, 0, v[7:8]
	s_delay_alu instid0(VALU_DEP_1) | instskip(NEXT) | instid1(SALU_CYCLE_1)
	s_or_b32 s0, vcc_lo, s0
	s_or_not1_b32 s0, s0, exec_lo
.LBB57_6:
	s_or_b32 exec_lo, exec_lo, s1
	s_and_saveexec_b32 s1, s0
	s_cbranch_execz .LBB57_43
; %bb.7:
	s_clause 0x1
	s_load_b128 s[4:7], s[2:3], 0x20
	s_load_b64 s[0:1], s[2:3], 0x30
	s_waitcnt lgkmcnt(0)
	s_cmp_eq_u64 s[4:5], 0
	s_cbranch_scc1 .LBB57_9
; %bb.8:
	s_ashr_i32 s13, s12, 31
	s_delay_alu instid0(SALU_CYCLE_1) | instskip(NEXT) | instid1(SALU_CYCLE_1)
	s_lshl_b64 s[8:9], s[12:13], 2
	s_add_u32 s4, s4, s8
	s_addc_u32 s5, s5, s9
	s_load_b32 s4, s[4:5], 0x0
	s_waitcnt lgkmcnt(0)
	s_sub_i32 s12, s4, s14
.LBB57_9:
	s_load_b32 s4, s[2:3], 0x4
	v_mul_u32_u24_e32 v0, 0x9d9, v4
	v_dual_mov_b32 v2, 0 :: v_dual_lshlrev_b32 v17, 4, v4
	v_mov_b32_e32 v3, 0
	s_delay_alu instid0(VALU_DEP_3) | instskip(NEXT) | instid1(VALU_DEP_1)
	v_lshrrev_b32_e32 v13, 16, v0
	v_mul_lo_u16 v0, v13, 26
	s_delay_alu instid0(VALU_DEP_1) | instskip(NEXT) | instid1(VALU_DEP_4)
	v_sub_nc_u16 v16, v4, v0
	v_dual_mov_b32 v0, v2 :: v_dual_mov_b32 v1, v3
	s_waitcnt lgkmcnt(0)
	s_cmp_eq_u32 s4, 1
	s_cselect_b32 vcc_lo, -1, 0
	s_cmp_lg_u32 s4, 1
	s_cselect_b32 s8, -1, 0
	s_ashr_i32 s13, s12, 31
	s_delay_alu instid0(SALU_CYCLE_1) | instskip(NEXT) | instid1(SALU_CYCLE_1)
	s_lshl_b64 s[4:5], s[12:13], 2
	s_add_u32 s6, s6, s4
	s_addc_u32 s7, s7, s5
	s_add_u32 s9, s6, 4
	s_addc_u32 s10, s7, 0
	;; [unrolled: 2-line block ×3, first 2 shown]
	s_cmp_eq_u64 s[0:1], 0
	s_cselect_b32 s1, s10, s5
	s_cselect_b32 s0, s9, s4
	s_load_b32 s6, s[6:7], 0x0
	s_load_b32 s7, s[0:1], 0x0
	s_load_b64 s[4:5], s[2:3], 0x60
	s_waitcnt lgkmcnt(0)
	s_cmp_ge_i32 s6, s7
	s_cbranch_scc1 .LBB57_14
; %bb.10:
	s_clause 0x1
	s_load_b128 s[16:19], s[2:3], 0x38
	s_load_b64 s[0:1], s[2:3], 0x48
	s_sub_i32 s2, s6, s14
	s_sub_i32 s9, s7, s14
	v_and_b32_e32 v0, 0xffff, v16
	v_dual_mov_b32 v2, 0 :: v_dual_and_b32 v1, 0xffff, v13
	s_mul_i32 s7, s2, 0x2a40
	v_mov_b32_e32 v3, 0
	s_ashr_i32 s3, s2, 31
	s_mul_hi_i32 s6, s2, 0x2a40
	v_dual_cndmask_b32 v13, v0, v1 :: v_dual_mov_b32 v0, v2
	s_delay_alu instid0(VALU_DEP_2)
	v_mov_b32_e32 v1, v3
	s_waitcnt lgkmcnt(0)
	s_add_u32 s10, s18, s7
	s_addc_u32 s11, s19, s6
	s_lshl_b64 s[6:7], s[2:3], 2
	v_add_co_u32 v14, s3, s10, v17
	s_delay_alu instid0(VALU_DEP_1)
	v_add_co_ci_u32_e64 v15, null, s11, 0, s3
	s_add_u32 s6, s16, s6
	s_addc_u32 s7, s17, s7
	s_set_inst_prefetch_distance 0x1
	s_branch .LBB57_12
	.p2align	6
.LBB57_11:                              ;   in Loop: Header=BB57_12 Depth=1
	s_add_i32 s2, s2, 1
	s_add_u32 s6, s6, 4
	s_addc_u32 s7, s7, 0
	s_cmp_lt_i32 s2, s9
	s_cbranch_scc0 .LBB57_14
.LBB57_12:                              ; =>This Inner Loop Header: Depth=1
	s_cmp_ge_i32 s2, s9
	s_cbranch_scc1 .LBB57_11
; %bb.13:                               ;   in Loop: Header=BB57_12 Depth=1
	s_load_b32 s3, s[6:7], 0x0
	s_waitcnt lgkmcnt(0)
	s_sub_i32 s3, s3, s14
	s_delay_alu instid0(SALU_CYCLE_1) | instskip(NEXT) | instid1(VALU_DEP_1)
	v_mad_u64_u32 v[18:19], null, s3, 26, v[13:14]
	v_ashrrev_i32_e32 v19, 31, v18
	s_delay_alu instid0(VALU_DEP_1) | instskip(NEXT) | instid1(VALU_DEP_1)
	v_lshlrev_b64 v[18:19], 4, v[18:19]
	v_add_co_u32 v22, vcc_lo, s0, v18
	s_delay_alu instid0(VALU_DEP_2)
	v_add_co_ci_u32_e32 v23, vcc_lo, s1, v19, vcc_lo
	global_load_b128 v[18:21], v[14:15], off
	global_load_b128 v[22:25], v[22:23], off
	v_add_co_u32 v14, vcc_lo, 0x2a40, v14
	v_add_co_ci_u32_e32 v15, vcc_lo, 0, v15, vcc_lo
	s_waitcnt vmcnt(0)
	v_fma_f64 v[0:1], v[18:19], v[22:23], v[0:1]
	v_fma_f64 v[2:3], v[20:21], v[22:23], v[2:3]
	s_delay_alu instid0(VALU_DEP_2) | instskip(NEXT) | instid1(VALU_DEP_2)
	v_fma_f64 v[0:1], -v[20:21], v[24:25], v[0:1]
	v_fma_f64 v[2:3], v[18:19], v[24:25], v[2:3]
	s_branch .LBB57_11
.LBB57_14:
	s_set_inst_prefetch_distance 0x2
	s_and_b32 vcc_lo, exec_lo, s8
	ds_store_b128 v17, v[0:3]
	s_waitcnt vmcnt(0) lgkmcnt(0)
	s_barrier
	buffer_gl0_inv
	s_cbranch_vccz .LBB57_26
; %bb.15:
	s_mov_b32 s0, exec_lo
	v_cmpx_gt_u16_e32 10, v16
	s_cbranch_execz .LBB57_17
; %bb.16:
	ds_load_b128 v[18:21], v17 offset:256
	ds_load_b128 v[22:25], v17
	s_waitcnt lgkmcnt(0)
	v_add_f64 v[18:19], v[18:19], v[22:23]
	v_add_f64 v[20:21], v[20:21], v[24:25]
	ds_store_b128 v17, v[18:21]
.LBB57_17:
	s_or_b32 exec_lo, exec_lo, s0
	s_delay_alu instid0(SALU_CYCLE_1)
	s_mov_b32 s0, exec_lo
	s_waitcnt lgkmcnt(0)
	s_barrier
	buffer_gl0_inv
	v_cmpx_gt_u16_e32 8, v16
	s_cbranch_execz .LBB57_19
; %bb.18:
	ds_load_b128 v[18:21], v17 offset:128
	ds_load_b128 v[22:25], v17
	s_waitcnt lgkmcnt(0)
	v_add_f64 v[18:19], v[18:19], v[22:23]
	v_add_f64 v[20:21], v[20:21], v[24:25]
	ds_store_b128 v17, v[18:21]
.LBB57_19:
	s_or_b32 exec_lo, exec_lo, s0
	s_delay_alu instid0(SALU_CYCLE_1)
	s_mov_b32 s0, exec_lo
	s_waitcnt lgkmcnt(0)
	s_barrier
	buffer_gl0_inv
	;; [unrolled: 16-line block ×3, first 2 shown]
	v_cmpx_gt_u16_e32 2, v16
	s_cbranch_execz .LBB57_23
; %bb.22:
	ds_load_b128 v[13:16], v17
	ds_load_b128 v[18:21], v17 offset:32
	s_waitcnt lgkmcnt(0)
	v_add_f64 v[13:14], v[18:19], v[13:14]
	v_add_f64 v[15:16], v[20:21], v[15:16]
	ds_store_b128 v17, v[13:16]
.LBB57_23:
	s_or_b32 exec_lo, exec_lo, s0
	v_dual_mov_b32 v16, v3 :: v_dual_mov_b32 v15, v2
	v_dual_mov_b32 v14, v1 :: v_dual_mov_b32 v13, v0
	s_mov_b32 s0, exec_lo
	s_waitcnt lgkmcnt(0)
	s_barrier
	buffer_gl0_inv
	v_cmpx_gt_u32_e32 26, v4
	s_cbranch_execz .LBB57_25
; %bb.24:
	v_mul_u32_u24_e32 v13, 26, v4
	s_delay_alu instid0(VALU_DEP_1)
	v_lshlrev_b32_e32 v18, 4, v13
	ds_load_b128 v[13:16], v18
	ds_load_b128 v[18:21], v18 offset:16
	s_waitcnt lgkmcnt(0)
	v_add_f64 v[13:14], v[18:19], v[13:14]
	v_add_f64 v[15:16], v[20:21], v[15:16]
.LBB57_25:
	s_or_b32 exec_lo, exec_lo, s0
	s_branch .LBB57_38
.LBB57_26:
                                        ; implicit-def: $vgpr15_vgpr16
                                        ; implicit-def: $vgpr13_vgpr14
	s_cbranch_execz .LBB57_38
; %bb.27:
	s_mov_b32 s0, exec_lo
	v_cmpx_gt_u32_e32 0x104, v4
	s_cbranch_execz .LBB57_29
; %bb.28:
	ds_load_b128 v[13:16], v17 offset:6656
	ds_load_b128 v[18:21], v17
	s_waitcnt lgkmcnt(0)
	v_add_f64 v[13:14], v[13:14], v[18:19]
	v_add_f64 v[15:16], v[15:16], v[20:21]
	ds_store_b128 v17, v[13:16]
.LBB57_29:
	s_or_b32 exec_lo, exec_lo, s0
	s_delay_alu instid0(SALU_CYCLE_1)
	s_mov_b32 s0, exec_lo
	s_waitcnt lgkmcnt(0)
	s_barrier
	buffer_gl0_inv
	v_cmpx_gt_u32_e32 0xd0, v4
	s_cbranch_execz .LBB57_31
; %bb.30:
	ds_load_b128 v[13:16], v17 offset:3328
	ds_load_b128 v[18:21], v17
	s_waitcnt lgkmcnt(0)
	v_add_f64 v[13:14], v[13:14], v[18:19]
	v_add_f64 v[15:16], v[15:16], v[20:21]
	ds_store_b128 v17, v[13:16]
.LBB57_31:
	s_or_b32 exec_lo, exec_lo, s0
	s_delay_alu instid0(SALU_CYCLE_1)
	s_mov_b32 s0, exec_lo
	s_waitcnt lgkmcnt(0)
	s_barrier
	buffer_gl0_inv
	;; [unrolled: 16-line block ×3, first 2 shown]
	v_cmpx_gt_u32_e32 52, v4
	s_cbranch_execz .LBB57_35
; %bb.34:
	ds_load_b128 v[13:16], v17 offset:832
	ds_load_b128 v[18:21], v17
	s_waitcnt lgkmcnt(0)
	v_add_f64 v[13:14], v[13:14], v[18:19]
	v_add_f64 v[15:16], v[15:16], v[20:21]
	ds_store_b128 v17, v[13:16]
.LBB57_35:
	s_or_b32 exec_lo, exec_lo, s0
	s_delay_alu instid0(SALU_CYCLE_1)
	s_mov_b32 s0, exec_lo
	s_waitcnt lgkmcnt(0)
	buffer_gl0_inv
	v_cmpx_gt_u32_e32 26, v4
	s_cbranch_execz .LBB57_37
; %bb.36:
	ds_load_b128 v[0:3], v17 offset:416
	ds_load_b128 v[13:16], v17
	s_waitcnt lgkmcnt(0)
	v_add_f64 v[0:1], v[0:1], v[13:14]
	v_add_f64 v[2:3], v[2:3], v[15:16]
.LBB57_37:
	s_or_b32 exec_lo, exec_lo, s0
	s_delay_alu instid0(VALU_DEP_1) | instskip(NEXT) | instid1(VALU_DEP_3)
	v_dual_mov_b32 v16, v3 :: v_dual_mov_b32 v15, v2
	v_dual_mov_b32 v14, v1 :: v_dual_mov_b32 v13, v0
.LBB57_38:
	v_cmp_gt_u32_e32 vcc_lo, 26, v4
	s_and_b32 exec_lo, exec_lo, vcc_lo
	s_cbranch_execz .LBB57_43
; %bb.39:
	s_delay_alu instid0(VALU_DEP_2) | instskip(SKIP_3) | instid1(VALU_DEP_4)
	v_mul_f64 v[0:1], v[15:16], -v[11:12]
	v_mul_f64 v[2:3], v[9:10], v[15:16]
	v_cmp_eq_f64_e32 vcc_lo, 0, v[5:6]
	v_cmp_eq_f64_e64 s0, 0, v[7:8]
	v_fma_f64 v[0:1], v[9:10], v[13:14], v[0:1]
	s_delay_alu instid0(VALU_DEP_4) | instskip(NEXT) | instid1(VALU_DEP_3)
	v_fma_f64 v[2:3], v[11:12], v[13:14], v[2:3]
	s_and_b32 s0, vcc_lo, s0
	s_delay_alu instid0(SALU_CYCLE_1) | instskip(NEXT) | instid1(SALU_CYCLE_1)
	s_and_saveexec_b32 s1, s0
	s_xor_b32 s0, exec_lo, s1
	s_cbranch_execz .LBB57_41
; %bb.40:
	v_mad_u64_u32 v[5:6], null, s12, 26, v[4:5]
	v_mov_b32_e32 v6, 0
                                        ; implicit-def: $vgpr7_vgpr8
	s_delay_alu instid0(VALU_DEP_1) | instskip(NEXT) | instid1(VALU_DEP_1)
	v_lshlrev_b64 v[4:5], 4, v[5:6]
	v_add_co_u32 v4, vcc_lo, s4, v4
	s_delay_alu instid0(VALU_DEP_2)
	v_add_co_ci_u32_e32 v5, vcc_lo, s5, v5, vcc_lo
	global_store_b128 v[4:5], v[0:3], off
                                        ; implicit-def: $vgpr4
                                        ; implicit-def: $vgpr5_vgpr6
                                        ; implicit-def: $vgpr0_vgpr1
.LBB57_41:
	s_and_not1_saveexec_b32 s0, s0
	s_cbranch_execz .LBB57_43
; %bb.42:
	v_mad_u64_u32 v[9:10], null, s12, 26, v[4:5]
	v_mov_b32_e32 v10, 0
	s_delay_alu instid0(VALU_DEP_1) | instskip(NEXT) | instid1(VALU_DEP_1)
	v_lshlrev_b64 v[9:10], 4, v[9:10]
	v_add_co_u32 v13, vcc_lo, s4, v9
	s_delay_alu instid0(VALU_DEP_2) | instskip(SKIP_4) | instid1(VALU_DEP_2)
	v_add_co_ci_u32_e32 v14, vcc_lo, s5, v10, vcc_lo
	global_load_b128 v[9:12], v[13:14], off
	s_waitcnt vmcnt(0)
	v_fma_f64 v[0:1], v[5:6], v[9:10], v[0:1]
	v_fma_f64 v[2:3], v[7:8], v[9:10], v[2:3]
	v_fma_f64 v[0:1], -v[7:8], v[11:12], v[0:1]
	s_delay_alu instid0(VALU_DEP_2)
	v_fma_f64 v[2:3], v[5:6], v[11:12], v[2:3]
	global_store_b128 v[13:14], v[0:3], off
.LBB57_43:
	s_nop 0
	s_sendmsg sendmsg(MSG_DEALLOC_VGPRS)
	s_endpgm
	.section	.rodata,"a",@progbits
	.p2align	6, 0x0
	.amdhsa_kernel _ZN9rocsparseL20bsrxmvn_17_32_kernelILj26E21rocsparse_complex_numIdEiiS2_S2_S2_EEvT2_20rocsparse_direction_NS_24const_host_device_scalarIT0_EES3_PKS3_PKT1_SC_S9_PKT3_PKT4_S7_PT5_21rocsparse_index_base_b
		.amdhsa_group_segment_fixed_size 21632
		.amdhsa_private_segment_fixed_size 0
		.amdhsa_kernarg_size 112
		.amdhsa_user_sgpr_count 15
		.amdhsa_user_sgpr_dispatch_ptr 1
		.amdhsa_user_sgpr_queue_ptr 0
		.amdhsa_user_sgpr_kernarg_segment_ptr 1
		.amdhsa_user_sgpr_dispatch_id 0
		.amdhsa_user_sgpr_private_segment_size 0
		.amdhsa_wavefront_size32 1
		.amdhsa_uses_dynamic_stack 0
		.amdhsa_enable_private_segment 0
		.amdhsa_system_sgpr_workgroup_id_x 1
		.amdhsa_system_sgpr_workgroup_id_y 0
		.amdhsa_system_sgpr_workgroup_id_z 0
		.amdhsa_system_sgpr_workgroup_info 0
		.amdhsa_system_vgpr_workitem_id 2
		.amdhsa_next_free_vgpr 26
		.amdhsa_next_free_sgpr 20
		.amdhsa_reserve_vcc 1
		.amdhsa_float_round_mode_32 0
		.amdhsa_float_round_mode_16_64 0
		.amdhsa_float_denorm_mode_32 3
		.amdhsa_float_denorm_mode_16_64 3
		.amdhsa_dx10_clamp 1
		.amdhsa_ieee_mode 1
		.amdhsa_fp16_overflow 0
		.amdhsa_workgroup_processor_mode 1
		.amdhsa_memory_ordered 1
		.amdhsa_forward_progress 0
		.amdhsa_shared_vgpr_count 0
		.amdhsa_exception_fp_ieee_invalid_op 0
		.amdhsa_exception_fp_denorm_src 0
		.amdhsa_exception_fp_ieee_div_zero 0
		.amdhsa_exception_fp_ieee_overflow 0
		.amdhsa_exception_fp_ieee_underflow 0
		.amdhsa_exception_fp_ieee_inexact 0
		.amdhsa_exception_int_div_zero 0
	.end_amdhsa_kernel
	.section	.text._ZN9rocsparseL20bsrxmvn_17_32_kernelILj26E21rocsparse_complex_numIdEiiS2_S2_S2_EEvT2_20rocsparse_direction_NS_24const_host_device_scalarIT0_EES3_PKS3_PKT1_SC_S9_PKT3_PKT4_S7_PT5_21rocsparse_index_base_b,"axG",@progbits,_ZN9rocsparseL20bsrxmvn_17_32_kernelILj26E21rocsparse_complex_numIdEiiS2_S2_S2_EEvT2_20rocsparse_direction_NS_24const_host_device_scalarIT0_EES3_PKS3_PKT1_SC_S9_PKT3_PKT4_S7_PT5_21rocsparse_index_base_b,comdat
.Lfunc_end57:
	.size	_ZN9rocsparseL20bsrxmvn_17_32_kernelILj26E21rocsparse_complex_numIdEiiS2_S2_S2_EEvT2_20rocsparse_direction_NS_24const_host_device_scalarIT0_EES3_PKS3_PKT1_SC_S9_PKT3_PKT4_S7_PT5_21rocsparse_index_base_b, .Lfunc_end57-_ZN9rocsparseL20bsrxmvn_17_32_kernelILj26E21rocsparse_complex_numIdEiiS2_S2_S2_EEvT2_20rocsparse_direction_NS_24const_host_device_scalarIT0_EES3_PKS3_PKT1_SC_S9_PKT3_PKT4_S7_PT5_21rocsparse_index_base_b
                                        ; -- End function
	.section	.AMDGPU.csdata,"",@progbits
; Kernel info:
; codeLenInByte = 1992
; NumSgprs: 22
; NumVgprs: 26
; ScratchSize: 0
; MemoryBound: 0
; FloatMode: 240
; IeeeMode: 1
; LDSByteSize: 21632 bytes/workgroup (compile time only)
; SGPRBlocks: 2
; VGPRBlocks: 3
; NumSGPRsForWavesPerEU: 22
; NumVGPRsForWavesPerEU: 26
; Occupancy: 11
; WaveLimiterHint : 1
; COMPUTE_PGM_RSRC2:SCRATCH_EN: 0
; COMPUTE_PGM_RSRC2:USER_SGPR: 15
; COMPUTE_PGM_RSRC2:TRAP_HANDLER: 0
; COMPUTE_PGM_RSRC2:TGID_X_EN: 1
; COMPUTE_PGM_RSRC2:TGID_Y_EN: 0
; COMPUTE_PGM_RSRC2:TGID_Z_EN: 0
; COMPUTE_PGM_RSRC2:TIDIG_COMP_CNT: 2
	.section	.text._ZN9rocsparseL20bsrxmvn_17_32_kernelILj27E21rocsparse_complex_numIdEiiS2_S2_S2_EEvT2_20rocsparse_direction_NS_24const_host_device_scalarIT0_EES3_PKS3_PKT1_SC_S9_PKT3_PKT4_S7_PT5_21rocsparse_index_base_b,"axG",@progbits,_ZN9rocsparseL20bsrxmvn_17_32_kernelILj27E21rocsparse_complex_numIdEiiS2_S2_S2_EEvT2_20rocsparse_direction_NS_24const_host_device_scalarIT0_EES3_PKS3_PKT1_SC_S9_PKT3_PKT4_S7_PT5_21rocsparse_index_base_b,comdat
	.globl	_ZN9rocsparseL20bsrxmvn_17_32_kernelILj27E21rocsparse_complex_numIdEiiS2_S2_S2_EEvT2_20rocsparse_direction_NS_24const_host_device_scalarIT0_EES3_PKS3_PKT1_SC_S9_PKT3_PKT4_S7_PT5_21rocsparse_index_base_b ; -- Begin function _ZN9rocsparseL20bsrxmvn_17_32_kernelILj27E21rocsparse_complex_numIdEiiS2_S2_S2_EEvT2_20rocsparse_direction_NS_24const_host_device_scalarIT0_EES3_PKS3_PKT1_SC_S9_PKT3_PKT4_S7_PT5_21rocsparse_index_base_b
	.p2align	8
	.type	_ZN9rocsparseL20bsrxmvn_17_32_kernelILj27E21rocsparse_complex_numIdEiiS2_S2_S2_EEvT2_20rocsparse_direction_NS_24const_host_device_scalarIT0_EES3_PKS3_PKT1_SC_S9_PKT3_PKT4_S7_PT5_21rocsparse_index_base_b,@function
_ZN9rocsparseL20bsrxmvn_17_32_kernelILj27E21rocsparse_complex_numIdEiiS2_S2_S2_EEvT2_20rocsparse_direction_NS_24const_host_device_scalarIT0_EES3_PKS3_PKT1_SC_S9_PKT3_PKT4_S7_PT5_21rocsparse_index_base_b: ; @_ZN9rocsparseL20bsrxmvn_17_32_kernelILj27E21rocsparse_complex_numIdEiiS2_S2_S2_EEvT2_20rocsparse_direction_NS_24const_host_device_scalarIT0_EES3_PKS3_PKT1_SC_S9_PKT3_PKT4_S7_PT5_21rocsparse_index_base_b
; %bb.0:
	s_mov_b32 s12, s15
	s_clause 0x1
	s_load_b64 s[14:15], s[2:3], 0x68
	s_load_b128 s[4:7], s[2:3], 0x8
	s_load_b64 s[16:17], s[0:1], 0x4
	s_mov_b64 s[0:1], src_shared_base
	v_and_b32_e32 v4, 0x3ff, v0
	s_load_b128 s[8:11], s[2:3], 0x50
	v_bfe_u32 v2, v0, 10, 10
	v_bfe_u32 v0, v0, 20, 10
	s_waitcnt lgkmcnt(0)
	s_bitcmp1_b32 s15, 0
	v_mov_b32_e32 v12, s7
	s_cselect_b32 s0, -1, 0
	v_mov_b32_e32 v11, s6
	s_and_b32 vcc_lo, s0, exec_lo
	s_cselect_b32 s13, s1, s5
	s_lshr_b32 s15, s16, 16
	v_mov_b32_e32 v6, s13
	s_mul_i32 s15, s15, s17
	s_xor_b32 s6, s0, -1
	v_mul_lo_u32 v1, s15, v4
	s_delay_alu instid0(VALU_DEP_1) | instskip(SKIP_1) | instid1(VALU_DEP_2)
	v_mad_u32_u24 v1, v2, s17, v1
	v_dual_mov_b32 v2, s8 :: v_dual_mov_b32 v3, s9
	v_add_lshl_u32 v7, v1, v0, 3
	v_dual_mov_b32 v0, s4 :: v_dual_mov_b32 v1, s5
	ds_store_b64 v7, v[0:1] offset:17496
	ds_store_b64 v7, v[2:3] offset:11664
	v_add_nc_u32_e32 v5, 0x4458, v7
	v_add_nc_u32_e32 v0, 0x2d90, v7
	s_delay_alu instid0(VALU_DEP_2)
	v_cndmask_b32_e64 v5, s4, v5, s0
	flat_load_b64 v[9:10], v[5:6]
	s_cbranch_vccnz .LBB58_2
; %bb.1:
	v_dual_mov_b32 v1, s4 :: v_dual_mov_b32 v2, s5
	flat_load_b64 v[11:12], v[1:2] offset:8
.LBB58_2:
	s_and_b32 s4, s0, exec_lo
	s_cselect_b32 s1, s1, s9
	v_cndmask_b32_e64 v0, s8, v0, s0
	v_mov_b32_e32 v1, s1
	v_dual_mov_b32 v7, s10 :: v_dual_mov_b32 v8, s11
	s_and_not1_b32 vcc_lo, exec_lo, s6
	flat_load_b64 v[5:6], v[0:1]
	s_cbranch_vccnz .LBB58_4
; %bb.3:
	v_dual_mov_b32 v0, s8 :: v_dual_mov_b32 v1, s9
	flat_load_b64 v[7:8], v[0:1] offset:8
.LBB58_4:
	s_waitcnt vmcnt(1) lgkmcnt(1)
	v_cmp_eq_f64_e32 vcc_lo, 0, v[9:10]
	v_cmp_eq_f64_e64 s0, 0, v[11:12]
	s_delay_alu instid0(VALU_DEP_1)
	s_and_b32 s4, vcc_lo, s0
	s_mov_b32 s0, -1
	s_and_saveexec_b32 s1, s4
	s_cbranch_execz .LBB58_6
; %bb.5:
	s_waitcnt vmcnt(0) lgkmcnt(0)
	v_cmp_neq_f64_e32 vcc_lo, 1.0, v[5:6]
	v_cmp_neq_f64_e64 s0, 0, v[7:8]
	s_delay_alu instid0(VALU_DEP_1) | instskip(NEXT) | instid1(SALU_CYCLE_1)
	s_or_b32 s0, vcc_lo, s0
	s_or_not1_b32 s0, s0, exec_lo
.LBB58_6:
	s_or_b32 exec_lo, exec_lo, s1
	s_and_saveexec_b32 s1, s0
	s_cbranch_execz .LBB58_43
; %bb.7:
	s_clause 0x1
	s_load_b128 s[4:7], s[2:3], 0x20
	s_load_b64 s[0:1], s[2:3], 0x30
	s_waitcnt lgkmcnt(0)
	s_cmp_eq_u64 s[4:5], 0
	s_cbranch_scc1 .LBB58_9
; %bb.8:
	s_ashr_i32 s13, s12, 31
	s_delay_alu instid0(SALU_CYCLE_1) | instskip(NEXT) | instid1(SALU_CYCLE_1)
	s_lshl_b64 s[8:9], s[12:13], 2
	s_add_u32 s4, s4, s8
	s_addc_u32 s5, s5, s9
	s_load_b32 s4, s[4:5], 0x0
	s_waitcnt lgkmcnt(0)
	s_sub_i32 s12, s4, s14
.LBB58_9:
	s_load_b32 s4, s[2:3], 0x4
	v_mul_u32_u24_e32 v0, 0x97c, v4
	v_dual_mov_b32 v2, 0 :: v_dual_lshlrev_b32 v17, 4, v4
	v_mov_b32_e32 v3, 0
	s_delay_alu instid0(VALU_DEP_3) | instskip(NEXT) | instid1(VALU_DEP_1)
	v_lshrrev_b32_e32 v13, 16, v0
	v_mul_lo_u16 v0, v13, 27
	s_delay_alu instid0(VALU_DEP_1) | instskip(NEXT) | instid1(VALU_DEP_4)
	v_sub_nc_u16 v16, v4, v0
	v_dual_mov_b32 v0, v2 :: v_dual_mov_b32 v1, v3
	s_waitcnt lgkmcnt(0)
	s_cmp_eq_u32 s4, 1
	s_cselect_b32 vcc_lo, -1, 0
	s_cmp_lg_u32 s4, 1
	s_cselect_b32 s8, -1, 0
	s_ashr_i32 s13, s12, 31
	s_delay_alu instid0(SALU_CYCLE_1) | instskip(NEXT) | instid1(SALU_CYCLE_1)
	s_lshl_b64 s[4:5], s[12:13], 2
	s_add_u32 s6, s6, s4
	s_addc_u32 s7, s7, s5
	s_add_u32 s9, s6, 4
	s_addc_u32 s10, s7, 0
	;; [unrolled: 2-line block ×3, first 2 shown]
	s_cmp_eq_u64 s[0:1], 0
	s_cselect_b32 s1, s10, s5
	s_cselect_b32 s0, s9, s4
	s_load_b32 s6, s[6:7], 0x0
	s_load_b32 s7, s[0:1], 0x0
	s_load_b64 s[4:5], s[2:3], 0x60
	s_waitcnt lgkmcnt(0)
	s_cmp_ge_i32 s6, s7
	s_cbranch_scc1 .LBB58_14
; %bb.10:
	s_clause 0x1
	s_load_b128 s[16:19], s[2:3], 0x38
	s_load_b64 s[0:1], s[2:3], 0x48
	s_sub_i32 s2, s6, s14
	s_sub_i32 s9, s7, s14
	v_and_b32_e32 v0, 0xffff, v16
	v_dual_mov_b32 v2, 0 :: v_dual_and_b32 v1, 0xffff, v13
	s_mul_i32 s7, s2, 0x2d90
	v_mov_b32_e32 v3, 0
	s_ashr_i32 s3, s2, 31
	s_mul_hi_i32 s6, s2, 0x2d90
	v_dual_cndmask_b32 v13, v0, v1 :: v_dual_mov_b32 v0, v2
	s_delay_alu instid0(VALU_DEP_2)
	v_mov_b32_e32 v1, v3
	s_waitcnt lgkmcnt(0)
	s_add_u32 s10, s18, s7
	s_addc_u32 s11, s19, s6
	s_lshl_b64 s[6:7], s[2:3], 2
	v_add_co_u32 v14, s3, s10, v17
	s_delay_alu instid0(VALU_DEP_1)
	v_add_co_ci_u32_e64 v15, null, s11, 0, s3
	s_add_u32 s6, s16, s6
	s_addc_u32 s7, s17, s7
	s_set_inst_prefetch_distance 0x1
	s_branch .LBB58_12
	.p2align	6
.LBB58_11:                              ;   in Loop: Header=BB58_12 Depth=1
	s_add_i32 s2, s2, 1
	s_add_u32 s6, s6, 4
	s_addc_u32 s7, s7, 0
	s_cmp_lt_i32 s2, s9
	s_cbranch_scc0 .LBB58_14
.LBB58_12:                              ; =>This Inner Loop Header: Depth=1
	s_cmp_ge_i32 s2, s9
	s_cbranch_scc1 .LBB58_11
; %bb.13:                               ;   in Loop: Header=BB58_12 Depth=1
	s_load_b32 s3, s[6:7], 0x0
	s_waitcnt lgkmcnt(0)
	s_sub_i32 s3, s3, s14
	s_delay_alu instid0(SALU_CYCLE_1) | instskip(NEXT) | instid1(VALU_DEP_1)
	v_mad_u64_u32 v[18:19], null, s3, 27, v[13:14]
	v_ashrrev_i32_e32 v19, 31, v18
	s_delay_alu instid0(VALU_DEP_1) | instskip(NEXT) | instid1(VALU_DEP_1)
	v_lshlrev_b64 v[18:19], 4, v[18:19]
	v_add_co_u32 v22, vcc_lo, s0, v18
	s_delay_alu instid0(VALU_DEP_2)
	v_add_co_ci_u32_e32 v23, vcc_lo, s1, v19, vcc_lo
	global_load_b128 v[18:21], v[14:15], off
	global_load_b128 v[22:25], v[22:23], off
	v_add_co_u32 v14, vcc_lo, 0x2d90, v14
	v_add_co_ci_u32_e32 v15, vcc_lo, 0, v15, vcc_lo
	s_waitcnt vmcnt(0)
	v_fma_f64 v[0:1], v[18:19], v[22:23], v[0:1]
	v_fma_f64 v[2:3], v[20:21], v[22:23], v[2:3]
	s_delay_alu instid0(VALU_DEP_2) | instskip(NEXT) | instid1(VALU_DEP_2)
	v_fma_f64 v[0:1], -v[20:21], v[24:25], v[0:1]
	v_fma_f64 v[2:3], v[18:19], v[24:25], v[2:3]
	s_branch .LBB58_11
.LBB58_14:
	s_set_inst_prefetch_distance 0x2
	s_and_b32 vcc_lo, exec_lo, s8
	ds_store_b128 v17, v[0:3]
	s_waitcnt vmcnt(0) lgkmcnt(0)
	s_barrier
	buffer_gl0_inv
	s_cbranch_vccz .LBB58_26
; %bb.15:
	s_mov_b32 s0, exec_lo
	v_cmpx_gt_u16_e32 11, v16
	s_cbranch_execz .LBB58_17
; %bb.16:
	ds_load_b128 v[18:21], v17 offset:256
	ds_load_b128 v[22:25], v17
	s_waitcnt lgkmcnt(0)
	v_add_f64 v[18:19], v[18:19], v[22:23]
	v_add_f64 v[20:21], v[20:21], v[24:25]
	ds_store_b128 v17, v[18:21]
.LBB58_17:
	s_or_b32 exec_lo, exec_lo, s0
	s_delay_alu instid0(SALU_CYCLE_1)
	s_mov_b32 s0, exec_lo
	s_waitcnt lgkmcnt(0)
	s_barrier
	buffer_gl0_inv
	v_cmpx_gt_u16_e32 8, v16
	s_cbranch_execz .LBB58_19
; %bb.18:
	ds_load_b128 v[18:21], v17 offset:128
	ds_load_b128 v[22:25], v17
	s_waitcnt lgkmcnt(0)
	v_add_f64 v[18:19], v[18:19], v[22:23]
	v_add_f64 v[20:21], v[20:21], v[24:25]
	ds_store_b128 v17, v[18:21]
.LBB58_19:
	s_or_b32 exec_lo, exec_lo, s0
	s_delay_alu instid0(SALU_CYCLE_1)
	s_mov_b32 s0, exec_lo
	s_waitcnt lgkmcnt(0)
	s_barrier
	buffer_gl0_inv
	;; [unrolled: 16-line block ×3, first 2 shown]
	v_cmpx_gt_u16_e32 2, v16
	s_cbranch_execz .LBB58_23
; %bb.22:
	ds_load_b128 v[13:16], v17
	ds_load_b128 v[18:21], v17 offset:32
	s_waitcnt lgkmcnt(0)
	v_add_f64 v[13:14], v[18:19], v[13:14]
	v_add_f64 v[15:16], v[20:21], v[15:16]
	ds_store_b128 v17, v[13:16]
.LBB58_23:
	s_or_b32 exec_lo, exec_lo, s0
	v_dual_mov_b32 v16, v3 :: v_dual_mov_b32 v15, v2
	v_dual_mov_b32 v14, v1 :: v_dual_mov_b32 v13, v0
	s_mov_b32 s0, exec_lo
	s_waitcnt lgkmcnt(0)
	s_barrier
	buffer_gl0_inv
	v_cmpx_gt_u32_e32 27, v4
	s_cbranch_execz .LBB58_25
; %bb.24:
	v_mul_u32_u24_e32 v13, 27, v4
	s_delay_alu instid0(VALU_DEP_1)
	v_lshlrev_b32_e32 v18, 4, v13
	ds_load_b128 v[13:16], v18
	ds_load_b128 v[18:21], v18 offset:16
	s_waitcnt lgkmcnt(0)
	v_add_f64 v[13:14], v[18:19], v[13:14]
	v_add_f64 v[15:16], v[20:21], v[15:16]
.LBB58_25:
	s_or_b32 exec_lo, exec_lo, s0
	s_branch .LBB58_38
.LBB58_26:
                                        ; implicit-def: $vgpr15_vgpr16
                                        ; implicit-def: $vgpr13_vgpr14
	s_cbranch_execz .LBB58_38
; %bb.27:
	s_mov_b32 s0, exec_lo
	v_cmpx_gt_u32_e32 0x129, v4
	s_cbranch_execz .LBB58_29
; %bb.28:
	ds_load_b128 v[13:16], v17 offset:6912
	ds_load_b128 v[18:21], v17
	s_waitcnt lgkmcnt(0)
	v_add_f64 v[13:14], v[13:14], v[18:19]
	v_add_f64 v[15:16], v[15:16], v[20:21]
	ds_store_b128 v17, v[13:16]
.LBB58_29:
	s_or_b32 exec_lo, exec_lo, s0
	s_delay_alu instid0(SALU_CYCLE_1)
	s_mov_b32 s0, exec_lo
	s_waitcnt lgkmcnt(0)
	s_barrier
	buffer_gl0_inv
	v_cmpx_gt_u32_e32 0xd8, v4
	s_cbranch_execz .LBB58_31
; %bb.30:
	ds_load_b128 v[13:16], v17 offset:3456
	ds_load_b128 v[18:21], v17
	s_waitcnt lgkmcnt(0)
	v_add_f64 v[13:14], v[13:14], v[18:19]
	v_add_f64 v[15:16], v[15:16], v[20:21]
	ds_store_b128 v17, v[13:16]
.LBB58_31:
	s_or_b32 exec_lo, exec_lo, s0
	s_delay_alu instid0(SALU_CYCLE_1)
	s_mov_b32 s0, exec_lo
	s_waitcnt lgkmcnt(0)
	s_barrier
	buffer_gl0_inv
	;; [unrolled: 16-line block ×3, first 2 shown]
	v_cmpx_gt_u32_e32 54, v4
	s_cbranch_execz .LBB58_35
; %bb.34:
	ds_load_b128 v[13:16], v17 offset:864
	ds_load_b128 v[18:21], v17
	s_waitcnt lgkmcnt(0)
	v_add_f64 v[13:14], v[13:14], v[18:19]
	v_add_f64 v[15:16], v[15:16], v[20:21]
	ds_store_b128 v17, v[13:16]
.LBB58_35:
	s_or_b32 exec_lo, exec_lo, s0
	s_delay_alu instid0(SALU_CYCLE_1)
	s_mov_b32 s0, exec_lo
	s_waitcnt lgkmcnt(0)
	buffer_gl0_inv
	v_cmpx_gt_u32_e32 27, v4
	s_cbranch_execz .LBB58_37
; %bb.36:
	ds_load_b128 v[0:3], v17 offset:432
	ds_load_b128 v[13:16], v17
	s_waitcnt lgkmcnt(0)
	v_add_f64 v[0:1], v[0:1], v[13:14]
	v_add_f64 v[2:3], v[2:3], v[15:16]
.LBB58_37:
	s_or_b32 exec_lo, exec_lo, s0
	s_delay_alu instid0(VALU_DEP_1) | instskip(NEXT) | instid1(VALU_DEP_3)
	v_dual_mov_b32 v16, v3 :: v_dual_mov_b32 v15, v2
	v_dual_mov_b32 v14, v1 :: v_dual_mov_b32 v13, v0
.LBB58_38:
	v_cmp_gt_u32_e32 vcc_lo, 27, v4
	s_and_b32 exec_lo, exec_lo, vcc_lo
	s_cbranch_execz .LBB58_43
; %bb.39:
	s_delay_alu instid0(VALU_DEP_2) | instskip(SKIP_3) | instid1(VALU_DEP_4)
	v_mul_f64 v[0:1], v[15:16], -v[11:12]
	v_mul_f64 v[2:3], v[9:10], v[15:16]
	v_cmp_eq_f64_e32 vcc_lo, 0, v[5:6]
	v_cmp_eq_f64_e64 s0, 0, v[7:8]
	v_fma_f64 v[0:1], v[9:10], v[13:14], v[0:1]
	s_delay_alu instid0(VALU_DEP_4) | instskip(NEXT) | instid1(VALU_DEP_3)
	v_fma_f64 v[2:3], v[11:12], v[13:14], v[2:3]
	s_and_b32 s0, vcc_lo, s0
	s_delay_alu instid0(SALU_CYCLE_1) | instskip(NEXT) | instid1(SALU_CYCLE_1)
	s_and_saveexec_b32 s1, s0
	s_xor_b32 s0, exec_lo, s1
	s_cbranch_execz .LBB58_41
; %bb.40:
	v_mad_u64_u32 v[5:6], null, s12, 27, v[4:5]
	v_mov_b32_e32 v6, 0
                                        ; implicit-def: $vgpr7_vgpr8
	s_delay_alu instid0(VALU_DEP_1) | instskip(NEXT) | instid1(VALU_DEP_1)
	v_lshlrev_b64 v[4:5], 4, v[5:6]
	v_add_co_u32 v4, vcc_lo, s4, v4
	s_delay_alu instid0(VALU_DEP_2)
	v_add_co_ci_u32_e32 v5, vcc_lo, s5, v5, vcc_lo
	global_store_b128 v[4:5], v[0:3], off
                                        ; implicit-def: $vgpr4
                                        ; implicit-def: $vgpr5_vgpr6
                                        ; implicit-def: $vgpr0_vgpr1
.LBB58_41:
	s_and_not1_saveexec_b32 s0, s0
	s_cbranch_execz .LBB58_43
; %bb.42:
	v_mad_u64_u32 v[9:10], null, s12, 27, v[4:5]
	v_mov_b32_e32 v10, 0
	s_delay_alu instid0(VALU_DEP_1) | instskip(NEXT) | instid1(VALU_DEP_1)
	v_lshlrev_b64 v[9:10], 4, v[9:10]
	v_add_co_u32 v13, vcc_lo, s4, v9
	s_delay_alu instid0(VALU_DEP_2) | instskip(SKIP_4) | instid1(VALU_DEP_2)
	v_add_co_ci_u32_e32 v14, vcc_lo, s5, v10, vcc_lo
	global_load_b128 v[9:12], v[13:14], off
	s_waitcnt vmcnt(0)
	v_fma_f64 v[0:1], v[5:6], v[9:10], v[0:1]
	v_fma_f64 v[2:3], v[7:8], v[9:10], v[2:3]
	v_fma_f64 v[0:1], -v[7:8], v[11:12], v[0:1]
	s_delay_alu instid0(VALU_DEP_2)
	v_fma_f64 v[2:3], v[5:6], v[11:12], v[2:3]
	global_store_b128 v[13:14], v[0:3], off
.LBB58_43:
	s_nop 0
	s_sendmsg sendmsg(MSG_DEALLOC_VGPRS)
	s_endpgm
	.section	.rodata,"a",@progbits
	.p2align	6, 0x0
	.amdhsa_kernel _ZN9rocsparseL20bsrxmvn_17_32_kernelILj27E21rocsparse_complex_numIdEiiS2_S2_S2_EEvT2_20rocsparse_direction_NS_24const_host_device_scalarIT0_EES3_PKS3_PKT1_SC_S9_PKT3_PKT4_S7_PT5_21rocsparse_index_base_b
		.amdhsa_group_segment_fixed_size 23328
		.amdhsa_private_segment_fixed_size 0
		.amdhsa_kernarg_size 112
		.amdhsa_user_sgpr_count 15
		.amdhsa_user_sgpr_dispatch_ptr 1
		.amdhsa_user_sgpr_queue_ptr 0
		.amdhsa_user_sgpr_kernarg_segment_ptr 1
		.amdhsa_user_sgpr_dispatch_id 0
		.amdhsa_user_sgpr_private_segment_size 0
		.amdhsa_wavefront_size32 1
		.amdhsa_uses_dynamic_stack 0
		.amdhsa_enable_private_segment 0
		.amdhsa_system_sgpr_workgroup_id_x 1
		.amdhsa_system_sgpr_workgroup_id_y 0
		.amdhsa_system_sgpr_workgroup_id_z 0
		.amdhsa_system_sgpr_workgroup_info 0
		.amdhsa_system_vgpr_workitem_id 2
		.amdhsa_next_free_vgpr 26
		.amdhsa_next_free_sgpr 20
		.amdhsa_reserve_vcc 1
		.amdhsa_float_round_mode_32 0
		.amdhsa_float_round_mode_16_64 0
		.amdhsa_float_denorm_mode_32 3
		.amdhsa_float_denorm_mode_16_64 3
		.amdhsa_dx10_clamp 1
		.amdhsa_ieee_mode 1
		.amdhsa_fp16_overflow 0
		.amdhsa_workgroup_processor_mode 1
		.amdhsa_memory_ordered 1
		.amdhsa_forward_progress 0
		.amdhsa_shared_vgpr_count 0
		.amdhsa_exception_fp_ieee_invalid_op 0
		.amdhsa_exception_fp_denorm_src 0
		.amdhsa_exception_fp_ieee_div_zero 0
		.amdhsa_exception_fp_ieee_overflow 0
		.amdhsa_exception_fp_ieee_underflow 0
		.amdhsa_exception_fp_ieee_inexact 0
		.amdhsa_exception_int_div_zero 0
	.end_amdhsa_kernel
	.section	.text._ZN9rocsparseL20bsrxmvn_17_32_kernelILj27E21rocsparse_complex_numIdEiiS2_S2_S2_EEvT2_20rocsparse_direction_NS_24const_host_device_scalarIT0_EES3_PKS3_PKT1_SC_S9_PKT3_PKT4_S7_PT5_21rocsparse_index_base_b,"axG",@progbits,_ZN9rocsparseL20bsrxmvn_17_32_kernelILj27E21rocsparse_complex_numIdEiiS2_S2_S2_EEvT2_20rocsparse_direction_NS_24const_host_device_scalarIT0_EES3_PKS3_PKT1_SC_S9_PKT3_PKT4_S7_PT5_21rocsparse_index_base_b,comdat
.Lfunc_end58:
	.size	_ZN9rocsparseL20bsrxmvn_17_32_kernelILj27E21rocsparse_complex_numIdEiiS2_S2_S2_EEvT2_20rocsparse_direction_NS_24const_host_device_scalarIT0_EES3_PKS3_PKT1_SC_S9_PKT3_PKT4_S7_PT5_21rocsparse_index_base_b, .Lfunc_end58-_ZN9rocsparseL20bsrxmvn_17_32_kernelILj27E21rocsparse_complex_numIdEiiS2_S2_S2_EEvT2_20rocsparse_direction_NS_24const_host_device_scalarIT0_EES3_PKS3_PKT1_SC_S9_PKT3_PKT4_S7_PT5_21rocsparse_index_base_b
                                        ; -- End function
	.section	.AMDGPU.csdata,"",@progbits
; Kernel info:
; codeLenInByte = 1992
; NumSgprs: 22
; NumVgprs: 26
; ScratchSize: 0
; MemoryBound: 0
; FloatMode: 240
; IeeeMode: 1
; LDSByteSize: 23328 bytes/workgroup (compile time only)
; SGPRBlocks: 2
; VGPRBlocks: 3
; NumSGPRsForWavesPerEU: 22
; NumVGPRsForWavesPerEU: 26
; Occupancy: 12
; WaveLimiterHint : 1
; COMPUTE_PGM_RSRC2:SCRATCH_EN: 0
; COMPUTE_PGM_RSRC2:USER_SGPR: 15
; COMPUTE_PGM_RSRC2:TRAP_HANDLER: 0
; COMPUTE_PGM_RSRC2:TGID_X_EN: 1
; COMPUTE_PGM_RSRC2:TGID_Y_EN: 0
; COMPUTE_PGM_RSRC2:TGID_Z_EN: 0
; COMPUTE_PGM_RSRC2:TIDIG_COMP_CNT: 2
	.section	.text._ZN9rocsparseL20bsrxmvn_17_32_kernelILj28E21rocsparse_complex_numIdEiiS2_S2_S2_EEvT2_20rocsparse_direction_NS_24const_host_device_scalarIT0_EES3_PKS3_PKT1_SC_S9_PKT3_PKT4_S7_PT5_21rocsparse_index_base_b,"axG",@progbits,_ZN9rocsparseL20bsrxmvn_17_32_kernelILj28E21rocsparse_complex_numIdEiiS2_S2_S2_EEvT2_20rocsparse_direction_NS_24const_host_device_scalarIT0_EES3_PKS3_PKT1_SC_S9_PKT3_PKT4_S7_PT5_21rocsparse_index_base_b,comdat
	.globl	_ZN9rocsparseL20bsrxmvn_17_32_kernelILj28E21rocsparse_complex_numIdEiiS2_S2_S2_EEvT2_20rocsparse_direction_NS_24const_host_device_scalarIT0_EES3_PKS3_PKT1_SC_S9_PKT3_PKT4_S7_PT5_21rocsparse_index_base_b ; -- Begin function _ZN9rocsparseL20bsrxmvn_17_32_kernelILj28E21rocsparse_complex_numIdEiiS2_S2_S2_EEvT2_20rocsparse_direction_NS_24const_host_device_scalarIT0_EES3_PKS3_PKT1_SC_S9_PKT3_PKT4_S7_PT5_21rocsparse_index_base_b
	.p2align	8
	.type	_ZN9rocsparseL20bsrxmvn_17_32_kernelILj28E21rocsparse_complex_numIdEiiS2_S2_S2_EEvT2_20rocsparse_direction_NS_24const_host_device_scalarIT0_EES3_PKS3_PKT1_SC_S9_PKT3_PKT4_S7_PT5_21rocsparse_index_base_b,@function
_ZN9rocsparseL20bsrxmvn_17_32_kernelILj28E21rocsparse_complex_numIdEiiS2_S2_S2_EEvT2_20rocsparse_direction_NS_24const_host_device_scalarIT0_EES3_PKS3_PKT1_SC_S9_PKT3_PKT4_S7_PT5_21rocsparse_index_base_b: ; @_ZN9rocsparseL20bsrxmvn_17_32_kernelILj28E21rocsparse_complex_numIdEiiS2_S2_S2_EEvT2_20rocsparse_direction_NS_24const_host_device_scalarIT0_EES3_PKS3_PKT1_SC_S9_PKT3_PKT4_S7_PT5_21rocsparse_index_base_b
; %bb.0:
	s_mov_b32 s12, s15
	s_clause 0x1
	s_load_b64 s[14:15], s[2:3], 0x68
	s_load_b128 s[4:7], s[2:3], 0x8
	s_load_b64 s[16:17], s[0:1], 0x4
	s_mov_b64 s[0:1], src_shared_base
	v_and_b32_e32 v4, 0x3ff, v0
	s_load_b128 s[8:11], s[2:3], 0x50
	v_bfe_u32 v2, v0, 10, 10
	v_bfe_u32 v0, v0, 20, 10
	s_waitcnt lgkmcnt(0)
	s_bitcmp1_b32 s15, 0
	v_mov_b32_e32 v12, s7
	s_cselect_b32 s0, -1, 0
	v_mov_b32_e32 v11, s6
	s_and_b32 vcc_lo, s0, exec_lo
	s_cselect_b32 s13, s1, s5
	s_lshr_b32 s15, s16, 16
	v_mov_b32_e32 v6, s13
	s_mul_i32 s15, s15, s17
	s_xor_b32 s6, s0, -1
	v_mul_lo_u32 v1, s15, v4
	s_delay_alu instid0(VALU_DEP_1) | instskip(SKIP_1) | instid1(VALU_DEP_2)
	v_mad_u32_u24 v1, v2, s17, v1
	v_dual_mov_b32 v2, s8 :: v_dual_mov_b32 v3, s9
	v_add_lshl_u32 v7, v1, v0, 3
	v_dual_mov_b32 v0, s4 :: v_dual_mov_b32 v1, s5
	ds_store_b64 v7, v[0:1] offset:18816
	ds_store_b64 v7, v[2:3] offset:12544
	v_add_nc_u32_e32 v5, 0x4980, v7
	v_add_nc_u32_e32 v0, 0x3100, v7
	s_delay_alu instid0(VALU_DEP_2)
	v_cndmask_b32_e64 v5, s4, v5, s0
	flat_load_b64 v[9:10], v[5:6]
	s_cbranch_vccnz .LBB59_2
; %bb.1:
	v_dual_mov_b32 v1, s4 :: v_dual_mov_b32 v2, s5
	flat_load_b64 v[11:12], v[1:2] offset:8
.LBB59_2:
	s_and_b32 s4, s0, exec_lo
	s_cselect_b32 s1, s1, s9
	v_cndmask_b32_e64 v0, s8, v0, s0
	v_mov_b32_e32 v1, s1
	v_dual_mov_b32 v7, s10 :: v_dual_mov_b32 v8, s11
	s_and_not1_b32 vcc_lo, exec_lo, s6
	flat_load_b64 v[5:6], v[0:1]
	s_cbranch_vccnz .LBB59_4
; %bb.3:
	v_dual_mov_b32 v0, s8 :: v_dual_mov_b32 v1, s9
	flat_load_b64 v[7:8], v[0:1] offset:8
.LBB59_4:
	s_waitcnt vmcnt(1) lgkmcnt(1)
	v_cmp_eq_f64_e32 vcc_lo, 0, v[9:10]
	v_cmp_eq_f64_e64 s0, 0, v[11:12]
	s_delay_alu instid0(VALU_DEP_1)
	s_and_b32 s4, vcc_lo, s0
	s_mov_b32 s0, -1
	s_and_saveexec_b32 s1, s4
	s_cbranch_execz .LBB59_6
; %bb.5:
	s_waitcnt vmcnt(0) lgkmcnt(0)
	v_cmp_neq_f64_e32 vcc_lo, 1.0, v[5:6]
	v_cmp_neq_f64_e64 s0, 0, v[7:8]
	s_delay_alu instid0(VALU_DEP_1) | instskip(NEXT) | instid1(SALU_CYCLE_1)
	s_or_b32 s0, vcc_lo, s0
	s_or_not1_b32 s0, s0, exec_lo
.LBB59_6:
	s_or_b32 exec_lo, exec_lo, s1
	s_and_saveexec_b32 s1, s0
	s_cbranch_execz .LBB59_43
; %bb.7:
	s_clause 0x1
	s_load_b128 s[4:7], s[2:3], 0x20
	s_load_b64 s[0:1], s[2:3], 0x30
	s_waitcnt lgkmcnt(0)
	s_cmp_eq_u64 s[4:5], 0
	s_cbranch_scc1 .LBB59_9
; %bb.8:
	s_ashr_i32 s13, s12, 31
	s_delay_alu instid0(SALU_CYCLE_1) | instskip(NEXT) | instid1(SALU_CYCLE_1)
	s_lshl_b64 s[8:9], s[12:13], 2
	s_add_u32 s4, s4, s8
	s_addc_u32 s5, s5, s9
	s_load_b32 s4, s[4:5], 0x0
	s_waitcnt lgkmcnt(0)
	s_sub_i32 s12, s4, s14
.LBB59_9:
	s_load_b32 s4, s[2:3], 0x4
	v_mul_u32_u24_e32 v0, 0x925, v4
	v_dual_mov_b32 v2, 0 :: v_dual_lshlrev_b32 v17, 4, v4
	v_mov_b32_e32 v3, 0
	s_delay_alu instid0(VALU_DEP_3) | instskip(NEXT) | instid1(VALU_DEP_1)
	v_lshrrev_b32_e32 v13, 16, v0
	v_mul_lo_u16 v0, v13, 28
	s_delay_alu instid0(VALU_DEP_1) | instskip(NEXT) | instid1(VALU_DEP_4)
	v_sub_nc_u16 v16, v4, v0
	v_dual_mov_b32 v0, v2 :: v_dual_mov_b32 v1, v3
	s_waitcnt lgkmcnt(0)
	s_cmp_eq_u32 s4, 1
	s_cselect_b32 vcc_lo, -1, 0
	s_cmp_lg_u32 s4, 1
	s_cselect_b32 s8, -1, 0
	s_ashr_i32 s13, s12, 31
	s_delay_alu instid0(SALU_CYCLE_1) | instskip(NEXT) | instid1(SALU_CYCLE_1)
	s_lshl_b64 s[4:5], s[12:13], 2
	s_add_u32 s6, s6, s4
	s_addc_u32 s7, s7, s5
	s_add_u32 s9, s6, 4
	s_addc_u32 s10, s7, 0
	;; [unrolled: 2-line block ×3, first 2 shown]
	s_cmp_eq_u64 s[0:1], 0
	s_cselect_b32 s1, s10, s5
	s_cselect_b32 s0, s9, s4
	s_load_b32 s6, s[6:7], 0x0
	s_load_b32 s7, s[0:1], 0x0
	s_load_b64 s[4:5], s[2:3], 0x60
	s_waitcnt lgkmcnt(0)
	s_cmp_ge_i32 s6, s7
	s_cbranch_scc1 .LBB59_14
; %bb.10:
	s_clause 0x1
	s_load_b128 s[16:19], s[2:3], 0x38
	s_load_b64 s[0:1], s[2:3], 0x48
	s_sub_i32 s2, s6, s14
	s_sub_i32 s9, s7, s14
	v_and_b32_e32 v0, 0xffff, v16
	v_dual_mov_b32 v2, 0 :: v_dual_and_b32 v1, 0xffff, v13
	s_mul_i32 s7, s2, 0x3100
	v_mov_b32_e32 v3, 0
	s_ashr_i32 s3, s2, 31
	s_mul_hi_i32 s6, s2, 0x3100
	v_dual_cndmask_b32 v13, v0, v1 :: v_dual_mov_b32 v0, v2
	s_delay_alu instid0(VALU_DEP_2)
	v_mov_b32_e32 v1, v3
	s_waitcnt lgkmcnt(0)
	s_add_u32 s10, s18, s7
	s_addc_u32 s11, s19, s6
	s_lshl_b64 s[6:7], s[2:3], 2
	v_add_co_u32 v14, s3, s10, v17
	s_delay_alu instid0(VALU_DEP_1)
	v_add_co_ci_u32_e64 v15, null, s11, 0, s3
	s_add_u32 s6, s16, s6
	s_addc_u32 s7, s17, s7
	s_set_inst_prefetch_distance 0x1
	s_branch .LBB59_12
	.p2align	6
.LBB59_11:                              ;   in Loop: Header=BB59_12 Depth=1
	s_add_i32 s2, s2, 1
	s_add_u32 s6, s6, 4
	s_addc_u32 s7, s7, 0
	s_cmp_lt_i32 s2, s9
	s_cbranch_scc0 .LBB59_14
.LBB59_12:                              ; =>This Inner Loop Header: Depth=1
	s_cmp_ge_i32 s2, s9
	s_cbranch_scc1 .LBB59_11
; %bb.13:                               ;   in Loop: Header=BB59_12 Depth=1
	s_load_b32 s3, s[6:7], 0x0
	s_waitcnt lgkmcnt(0)
	s_sub_i32 s3, s3, s14
	s_delay_alu instid0(SALU_CYCLE_1) | instskip(NEXT) | instid1(VALU_DEP_1)
	v_mad_u64_u32 v[18:19], null, s3, 28, v[13:14]
	v_ashrrev_i32_e32 v19, 31, v18
	s_delay_alu instid0(VALU_DEP_1) | instskip(NEXT) | instid1(VALU_DEP_1)
	v_lshlrev_b64 v[18:19], 4, v[18:19]
	v_add_co_u32 v22, vcc_lo, s0, v18
	s_delay_alu instid0(VALU_DEP_2)
	v_add_co_ci_u32_e32 v23, vcc_lo, s1, v19, vcc_lo
	global_load_b128 v[18:21], v[14:15], off
	global_load_b128 v[22:25], v[22:23], off
	v_add_co_u32 v14, vcc_lo, 0x3100, v14
	v_add_co_ci_u32_e32 v15, vcc_lo, 0, v15, vcc_lo
	s_waitcnt vmcnt(0)
	v_fma_f64 v[0:1], v[18:19], v[22:23], v[0:1]
	v_fma_f64 v[2:3], v[20:21], v[22:23], v[2:3]
	s_delay_alu instid0(VALU_DEP_2) | instskip(NEXT) | instid1(VALU_DEP_2)
	v_fma_f64 v[0:1], -v[20:21], v[24:25], v[0:1]
	v_fma_f64 v[2:3], v[18:19], v[24:25], v[2:3]
	s_branch .LBB59_11
.LBB59_14:
	s_set_inst_prefetch_distance 0x2
	s_and_b32 vcc_lo, exec_lo, s8
	ds_store_b128 v17, v[0:3]
	s_waitcnt vmcnt(0) lgkmcnt(0)
	s_barrier
	buffer_gl0_inv
	s_cbranch_vccz .LBB59_26
; %bb.15:
	s_mov_b32 s0, exec_lo
	v_cmpx_gt_u16_e32 12, v16
	s_cbranch_execz .LBB59_17
; %bb.16:
	ds_load_b128 v[18:21], v17 offset:256
	ds_load_b128 v[22:25], v17
	s_waitcnt lgkmcnt(0)
	v_add_f64 v[18:19], v[18:19], v[22:23]
	v_add_f64 v[20:21], v[20:21], v[24:25]
	ds_store_b128 v17, v[18:21]
.LBB59_17:
	s_or_b32 exec_lo, exec_lo, s0
	s_delay_alu instid0(SALU_CYCLE_1)
	s_mov_b32 s0, exec_lo
	s_waitcnt lgkmcnt(0)
	s_barrier
	buffer_gl0_inv
	v_cmpx_gt_u16_e32 8, v16
	s_cbranch_execz .LBB59_19
; %bb.18:
	ds_load_b128 v[18:21], v17 offset:128
	ds_load_b128 v[22:25], v17
	s_waitcnt lgkmcnt(0)
	v_add_f64 v[18:19], v[18:19], v[22:23]
	v_add_f64 v[20:21], v[20:21], v[24:25]
	ds_store_b128 v17, v[18:21]
.LBB59_19:
	s_or_b32 exec_lo, exec_lo, s0
	s_delay_alu instid0(SALU_CYCLE_1)
	s_mov_b32 s0, exec_lo
	s_waitcnt lgkmcnt(0)
	s_barrier
	buffer_gl0_inv
	v_cmpx_gt_u16_e32 4, v16
	s_cbranch_execz .LBB59_21
; %bb.20:
	ds_load_b128 v[18:21], v17 offset:64
	ds_load_b128 v[22:25], v17
	s_waitcnt lgkmcnt(0)
	v_add_f64 v[18:19], v[18:19], v[22:23]
	v_add_f64 v[20:21], v[20:21], v[24:25]
	ds_store_b128 v17, v[18:21]
.LBB59_21:
	s_or_b32 exec_lo, exec_lo, s0
	s_delay_alu instid0(SALU_CYCLE_1)
	s_mov_b32 s0, exec_lo
	s_waitcnt lgkmcnt(0)
	s_barrier
	buffer_gl0_inv
	v_cmpx_gt_u16_e32 2, v16
	s_cbranch_execz .LBB59_23
; %bb.22:
	ds_load_b128 v[13:16], v17
	ds_load_b128 v[18:21], v17 offset:32
	s_waitcnt lgkmcnt(0)
	v_add_f64 v[13:14], v[18:19], v[13:14]
	v_add_f64 v[15:16], v[20:21], v[15:16]
	ds_store_b128 v17, v[13:16]
.LBB59_23:
	s_or_b32 exec_lo, exec_lo, s0
	v_dual_mov_b32 v16, v3 :: v_dual_mov_b32 v15, v2
	v_dual_mov_b32 v14, v1 :: v_dual_mov_b32 v13, v0
	s_mov_b32 s0, exec_lo
	s_waitcnt lgkmcnt(0)
	s_barrier
	buffer_gl0_inv
	v_cmpx_gt_u32_e32 28, v4
	s_cbranch_execz .LBB59_25
; %bb.24:
	v_mul_u32_u24_e32 v13, 28, v4
	s_delay_alu instid0(VALU_DEP_1)
	v_lshlrev_b32_e32 v18, 4, v13
	ds_load_b128 v[13:16], v18
	ds_load_b128 v[18:21], v18 offset:16
	s_waitcnt lgkmcnt(0)
	v_add_f64 v[13:14], v[18:19], v[13:14]
	v_add_f64 v[15:16], v[20:21], v[15:16]
.LBB59_25:
	s_or_b32 exec_lo, exec_lo, s0
	s_branch .LBB59_38
.LBB59_26:
                                        ; implicit-def: $vgpr15_vgpr16
                                        ; implicit-def: $vgpr13_vgpr14
	s_cbranch_execz .LBB59_38
; %bb.27:
	s_mov_b32 s0, exec_lo
	v_cmpx_gt_u32_e32 0x150, v4
	s_cbranch_execz .LBB59_29
; %bb.28:
	ds_load_b128 v[13:16], v17 offset:7168
	ds_load_b128 v[18:21], v17
	s_waitcnt lgkmcnt(0)
	v_add_f64 v[13:14], v[13:14], v[18:19]
	v_add_f64 v[15:16], v[15:16], v[20:21]
	ds_store_b128 v17, v[13:16]
.LBB59_29:
	s_or_b32 exec_lo, exec_lo, s0
	s_delay_alu instid0(SALU_CYCLE_1)
	s_mov_b32 s0, exec_lo
	s_waitcnt lgkmcnt(0)
	s_barrier
	buffer_gl0_inv
	v_cmpx_gt_u32_e32 0xe0, v4
	s_cbranch_execz .LBB59_31
; %bb.30:
	ds_load_b128 v[13:16], v17 offset:3584
	ds_load_b128 v[18:21], v17
	s_waitcnt lgkmcnt(0)
	v_add_f64 v[13:14], v[13:14], v[18:19]
	v_add_f64 v[15:16], v[15:16], v[20:21]
	ds_store_b128 v17, v[13:16]
.LBB59_31:
	s_or_b32 exec_lo, exec_lo, s0
	s_delay_alu instid0(SALU_CYCLE_1)
	s_mov_b32 s0, exec_lo
	s_waitcnt lgkmcnt(0)
	s_barrier
	buffer_gl0_inv
	v_cmpx_gt_u32_e32 0x70, v4
	s_cbranch_execz .LBB59_33
; %bb.32:
	ds_load_b128 v[13:16], v17 offset:1792
	ds_load_b128 v[18:21], v17
	s_waitcnt lgkmcnt(0)
	v_add_f64 v[13:14], v[13:14], v[18:19]
	v_add_f64 v[15:16], v[15:16], v[20:21]
	ds_store_b128 v17, v[13:16]
.LBB59_33:
	s_or_b32 exec_lo, exec_lo, s0
	s_delay_alu instid0(SALU_CYCLE_1)
	s_mov_b32 s0, exec_lo
	s_waitcnt lgkmcnt(0)
	s_barrier
	buffer_gl0_inv
	v_cmpx_gt_u32_e32 56, v4
	s_cbranch_execz .LBB59_35
; %bb.34:
	ds_load_b128 v[13:16], v17 offset:896
	ds_load_b128 v[18:21], v17
	s_waitcnt lgkmcnt(0)
	v_add_f64 v[13:14], v[13:14], v[18:19]
	v_add_f64 v[15:16], v[15:16], v[20:21]
	ds_store_b128 v17, v[13:16]
.LBB59_35:
	s_or_b32 exec_lo, exec_lo, s0
	s_delay_alu instid0(SALU_CYCLE_1)
	s_mov_b32 s0, exec_lo
	s_waitcnt lgkmcnt(0)
	buffer_gl0_inv
	v_cmpx_gt_u32_e32 28, v4
	s_cbranch_execz .LBB59_37
; %bb.36:
	ds_load_b128 v[0:3], v17 offset:448
	ds_load_b128 v[13:16], v17
	s_waitcnt lgkmcnt(0)
	v_add_f64 v[0:1], v[0:1], v[13:14]
	v_add_f64 v[2:3], v[2:3], v[15:16]
.LBB59_37:
	s_or_b32 exec_lo, exec_lo, s0
	s_delay_alu instid0(VALU_DEP_1) | instskip(NEXT) | instid1(VALU_DEP_3)
	v_dual_mov_b32 v16, v3 :: v_dual_mov_b32 v15, v2
	v_dual_mov_b32 v14, v1 :: v_dual_mov_b32 v13, v0
.LBB59_38:
	v_cmp_gt_u32_e32 vcc_lo, 28, v4
	s_and_b32 exec_lo, exec_lo, vcc_lo
	s_cbranch_execz .LBB59_43
; %bb.39:
	s_delay_alu instid0(VALU_DEP_2) | instskip(SKIP_3) | instid1(VALU_DEP_4)
	v_mul_f64 v[0:1], v[15:16], -v[11:12]
	v_mul_f64 v[2:3], v[9:10], v[15:16]
	v_cmp_eq_f64_e32 vcc_lo, 0, v[5:6]
	v_cmp_eq_f64_e64 s0, 0, v[7:8]
	v_fma_f64 v[0:1], v[9:10], v[13:14], v[0:1]
	s_delay_alu instid0(VALU_DEP_4) | instskip(NEXT) | instid1(VALU_DEP_3)
	v_fma_f64 v[2:3], v[11:12], v[13:14], v[2:3]
	s_and_b32 s0, vcc_lo, s0
	s_delay_alu instid0(SALU_CYCLE_1) | instskip(NEXT) | instid1(SALU_CYCLE_1)
	s_and_saveexec_b32 s1, s0
	s_xor_b32 s0, exec_lo, s1
	s_cbranch_execz .LBB59_41
; %bb.40:
	v_mad_u64_u32 v[5:6], null, s12, 28, v[4:5]
	v_mov_b32_e32 v6, 0
                                        ; implicit-def: $vgpr7_vgpr8
	s_delay_alu instid0(VALU_DEP_1) | instskip(NEXT) | instid1(VALU_DEP_1)
	v_lshlrev_b64 v[4:5], 4, v[5:6]
	v_add_co_u32 v4, vcc_lo, s4, v4
	s_delay_alu instid0(VALU_DEP_2)
	v_add_co_ci_u32_e32 v5, vcc_lo, s5, v5, vcc_lo
	global_store_b128 v[4:5], v[0:3], off
                                        ; implicit-def: $vgpr4
                                        ; implicit-def: $vgpr5_vgpr6
                                        ; implicit-def: $vgpr0_vgpr1
.LBB59_41:
	s_and_not1_saveexec_b32 s0, s0
	s_cbranch_execz .LBB59_43
; %bb.42:
	v_mad_u64_u32 v[9:10], null, s12, 28, v[4:5]
	v_mov_b32_e32 v10, 0
	s_delay_alu instid0(VALU_DEP_1) | instskip(NEXT) | instid1(VALU_DEP_1)
	v_lshlrev_b64 v[9:10], 4, v[9:10]
	v_add_co_u32 v13, vcc_lo, s4, v9
	s_delay_alu instid0(VALU_DEP_2) | instskip(SKIP_4) | instid1(VALU_DEP_2)
	v_add_co_ci_u32_e32 v14, vcc_lo, s5, v10, vcc_lo
	global_load_b128 v[9:12], v[13:14], off
	s_waitcnt vmcnt(0)
	v_fma_f64 v[0:1], v[5:6], v[9:10], v[0:1]
	v_fma_f64 v[2:3], v[7:8], v[9:10], v[2:3]
	v_fma_f64 v[0:1], -v[7:8], v[11:12], v[0:1]
	s_delay_alu instid0(VALU_DEP_2)
	v_fma_f64 v[2:3], v[5:6], v[11:12], v[2:3]
	global_store_b128 v[13:14], v[0:3], off
.LBB59_43:
	s_nop 0
	s_sendmsg sendmsg(MSG_DEALLOC_VGPRS)
	s_endpgm
	.section	.rodata,"a",@progbits
	.p2align	6, 0x0
	.amdhsa_kernel _ZN9rocsparseL20bsrxmvn_17_32_kernelILj28E21rocsparse_complex_numIdEiiS2_S2_S2_EEvT2_20rocsparse_direction_NS_24const_host_device_scalarIT0_EES3_PKS3_PKT1_SC_S9_PKT3_PKT4_S7_PT5_21rocsparse_index_base_b
		.amdhsa_group_segment_fixed_size 25088
		.amdhsa_private_segment_fixed_size 0
		.amdhsa_kernarg_size 112
		.amdhsa_user_sgpr_count 15
		.amdhsa_user_sgpr_dispatch_ptr 1
		.amdhsa_user_sgpr_queue_ptr 0
		.amdhsa_user_sgpr_kernarg_segment_ptr 1
		.amdhsa_user_sgpr_dispatch_id 0
		.amdhsa_user_sgpr_private_segment_size 0
		.amdhsa_wavefront_size32 1
		.amdhsa_uses_dynamic_stack 0
		.amdhsa_enable_private_segment 0
		.amdhsa_system_sgpr_workgroup_id_x 1
		.amdhsa_system_sgpr_workgroup_id_y 0
		.amdhsa_system_sgpr_workgroup_id_z 0
		.amdhsa_system_sgpr_workgroup_info 0
		.amdhsa_system_vgpr_workitem_id 2
		.amdhsa_next_free_vgpr 26
		.amdhsa_next_free_sgpr 20
		.amdhsa_reserve_vcc 1
		.amdhsa_float_round_mode_32 0
		.amdhsa_float_round_mode_16_64 0
		.amdhsa_float_denorm_mode_32 3
		.amdhsa_float_denorm_mode_16_64 3
		.amdhsa_dx10_clamp 1
		.amdhsa_ieee_mode 1
		.amdhsa_fp16_overflow 0
		.amdhsa_workgroup_processor_mode 1
		.amdhsa_memory_ordered 1
		.amdhsa_forward_progress 0
		.amdhsa_shared_vgpr_count 0
		.amdhsa_exception_fp_ieee_invalid_op 0
		.amdhsa_exception_fp_denorm_src 0
		.amdhsa_exception_fp_ieee_div_zero 0
		.amdhsa_exception_fp_ieee_overflow 0
		.amdhsa_exception_fp_ieee_underflow 0
		.amdhsa_exception_fp_ieee_inexact 0
		.amdhsa_exception_int_div_zero 0
	.end_amdhsa_kernel
	.section	.text._ZN9rocsparseL20bsrxmvn_17_32_kernelILj28E21rocsparse_complex_numIdEiiS2_S2_S2_EEvT2_20rocsparse_direction_NS_24const_host_device_scalarIT0_EES3_PKS3_PKT1_SC_S9_PKT3_PKT4_S7_PT5_21rocsparse_index_base_b,"axG",@progbits,_ZN9rocsparseL20bsrxmvn_17_32_kernelILj28E21rocsparse_complex_numIdEiiS2_S2_S2_EEvT2_20rocsparse_direction_NS_24const_host_device_scalarIT0_EES3_PKS3_PKT1_SC_S9_PKT3_PKT4_S7_PT5_21rocsparse_index_base_b,comdat
.Lfunc_end59:
	.size	_ZN9rocsparseL20bsrxmvn_17_32_kernelILj28E21rocsparse_complex_numIdEiiS2_S2_S2_EEvT2_20rocsparse_direction_NS_24const_host_device_scalarIT0_EES3_PKS3_PKT1_SC_S9_PKT3_PKT4_S7_PT5_21rocsparse_index_base_b, .Lfunc_end59-_ZN9rocsparseL20bsrxmvn_17_32_kernelILj28E21rocsparse_complex_numIdEiiS2_S2_S2_EEvT2_20rocsparse_direction_NS_24const_host_device_scalarIT0_EES3_PKS3_PKT1_SC_S9_PKT3_PKT4_S7_PT5_21rocsparse_index_base_b
                                        ; -- End function
	.section	.AMDGPU.csdata,"",@progbits
; Kernel info:
; codeLenInByte = 1992
; NumSgprs: 22
; NumVgprs: 26
; ScratchSize: 0
; MemoryBound: 0
; FloatMode: 240
; IeeeMode: 1
; LDSByteSize: 25088 bytes/workgroup (compile time only)
; SGPRBlocks: 2
; VGPRBlocks: 3
; NumSGPRsForWavesPerEU: 22
; NumVGPRsForWavesPerEU: 26
; Occupancy: 13
; WaveLimiterHint : 1
; COMPUTE_PGM_RSRC2:SCRATCH_EN: 0
; COMPUTE_PGM_RSRC2:USER_SGPR: 15
; COMPUTE_PGM_RSRC2:TRAP_HANDLER: 0
; COMPUTE_PGM_RSRC2:TGID_X_EN: 1
; COMPUTE_PGM_RSRC2:TGID_Y_EN: 0
; COMPUTE_PGM_RSRC2:TGID_Z_EN: 0
; COMPUTE_PGM_RSRC2:TIDIG_COMP_CNT: 2
	.section	.text._ZN9rocsparseL20bsrxmvn_17_32_kernelILj29E21rocsparse_complex_numIdEiiS2_S2_S2_EEvT2_20rocsparse_direction_NS_24const_host_device_scalarIT0_EES3_PKS3_PKT1_SC_S9_PKT3_PKT4_S7_PT5_21rocsparse_index_base_b,"axG",@progbits,_ZN9rocsparseL20bsrxmvn_17_32_kernelILj29E21rocsparse_complex_numIdEiiS2_S2_S2_EEvT2_20rocsparse_direction_NS_24const_host_device_scalarIT0_EES3_PKS3_PKT1_SC_S9_PKT3_PKT4_S7_PT5_21rocsparse_index_base_b,comdat
	.globl	_ZN9rocsparseL20bsrxmvn_17_32_kernelILj29E21rocsparse_complex_numIdEiiS2_S2_S2_EEvT2_20rocsparse_direction_NS_24const_host_device_scalarIT0_EES3_PKS3_PKT1_SC_S9_PKT3_PKT4_S7_PT5_21rocsparse_index_base_b ; -- Begin function _ZN9rocsparseL20bsrxmvn_17_32_kernelILj29E21rocsparse_complex_numIdEiiS2_S2_S2_EEvT2_20rocsparse_direction_NS_24const_host_device_scalarIT0_EES3_PKS3_PKT1_SC_S9_PKT3_PKT4_S7_PT5_21rocsparse_index_base_b
	.p2align	8
	.type	_ZN9rocsparseL20bsrxmvn_17_32_kernelILj29E21rocsparse_complex_numIdEiiS2_S2_S2_EEvT2_20rocsparse_direction_NS_24const_host_device_scalarIT0_EES3_PKS3_PKT1_SC_S9_PKT3_PKT4_S7_PT5_21rocsparse_index_base_b,@function
_ZN9rocsparseL20bsrxmvn_17_32_kernelILj29E21rocsparse_complex_numIdEiiS2_S2_S2_EEvT2_20rocsparse_direction_NS_24const_host_device_scalarIT0_EES3_PKS3_PKT1_SC_S9_PKT3_PKT4_S7_PT5_21rocsparse_index_base_b: ; @_ZN9rocsparseL20bsrxmvn_17_32_kernelILj29E21rocsparse_complex_numIdEiiS2_S2_S2_EEvT2_20rocsparse_direction_NS_24const_host_device_scalarIT0_EES3_PKS3_PKT1_SC_S9_PKT3_PKT4_S7_PT5_21rocsparse_index_base_b
; %bb.0:
	s_mov_b32 s12, s15
	s_clause 0x1
	s_load_b64 s[14:15], s[2:3], 0x68
	s_load_b128 s[4:7], s[2:3], 0x8
	s_load_b64 s[16:17], s[0:1], 0x4
	s_mov_b64 s[0:1], src_shared_base
	v_and_b32_e32 v4, 0x3ff, v0
	s_load_b128 s[8:11], s[2:3], 0x50
	v_bfe_u32 v2, v0, 10, 10
	v_bfe_u32 v0, v0, 20, 10
	s_waitcnt lgkmcnt(0)
	s_bitcmp1_b32 s15, 0
	v_mov_b32_e32 v12, s7
	s_cselect_b32 s0, -1, 0
	v_mov_b32_e32 v11, s6
	s_and_b32 vcc_lo, s0, exec_lo
	s_cselect_b32 s13, s1, s5
	s_lshr_b32 s15, s16, 16
	v_mov_b32_e32 v6, s13
	s_mul_i32 s15, s15, s17
	s_xor_b32 s6, s0, -1
	v_mul_lo_u32 v1, s15, v4
	s_delay_alu instid0(VALU_DEP_1) | instskip(SKIP_1) | instid1(VALU_DEP_2)
	v_mad_u32_u24 v1, v2, s17, v1
	v_dual_mov_b32 v2, s8 :: v_dual_mov_b32 v3, s9
	v_add_lshl_u32 v7, v1, v0, 3
	v_dual_mov_b32 v0, s4 :: v_dual_mov_b32 v1, s5
	ds_store_b64 v7, v[0:1] offset:20184
	ds_store_b64 v7, v[2:3] offset:13456
	v_add_nc_u32_e32 v5, 0x4ed8, v7
	v_add_nc_u32_e32 v0, 0x3490, v7
	s_delay_alu instid0(VALU_DEP_2)
	v_cndmask_b32_e64 v5, s4, v5, s0
	flat_load_b64 v[9:10], v[5:6]
	s_cbranch_vccnz .LBB60_2
; %bb.1:
	v_dual_mov_b32 v1, s4 :: v_dual_mov_b32 v2, s5
	flat_load_b64 v[11:12], v[1:2] offset:8
.LBB60_2:
	s_and_b32 s4, s0, exec_lo
	s_cselect_b32 s1, s1, s9
	v_cndmask_b32_e64 v0, s8, v0, s0
	v_mov_b32_e32 v1, s1
	v_dual_mov_b32 v7, s10 :: v_dual_mov_b32 v8, s11
	s_and_not1_b32 vcc_lo, exec_lo, s6
	flat_load_b64 v[5:6], v[0:1]
	s_cbranch_vccnz .LBB60_4
; %bb.3:
	v_dual_mov_b32 v0, s8 :: v_dual_mov_b32 v1, s9
	flat_load_b64 v[7:8], v[0:1] offset:8
.LBB60_4:
	s_waitcnt vmcnt(1) lgkmcnt(1)
	v_cmp_eq_f64_e32 vcc_lo, 0, v[9:10]
	v_cmp_eq_f64_e64 s0, 0, v[11:12]
	s_delay_alu instid0(VALU_DEP_1)
	s_and_b32 s4, vcc_lo, s0
	s_mov_b32 s0, -1
	s_and_saveexec_b32 s1, s4
	s_cbranch_execz .LBB60_6
; %bb.5:
	s_waitcnt vmcnt(0) lgkmcnt(0)
	v_cmp_neq_f64_e32 vcc_lo, 1.0, v[5:6]
	v_cmp_neq_f64_e64 s0, 0, v[7:8]
	s_delay_alu instid0(VALU_DEP_1) | instskip(NEXT) | instid1(SALU_CYCLE_1)
	s_or_b32 s0, vcc_lo, s0
	s_or_not1_b32 s0, s0, exec_lo
.LBB60_6:
	s_or_b32 exec_lo, exec_lo, s1
	s_and_saveexec_b32 s1, s0
	s_cbranch_execz .LBB60_43
; %bb.7:
	s_clause 0x1
	s_load_b128 s[4:7], s[2:3], 0x20
	s_load_b64 s[0:1], s[2:3], 0x30
	s_waitcnt lgkmcnt(0)
	s_cmp_eq_u64 s[4:5], 0
	s_cbranch_scc1 .LBB60_9
; %bb.8:
	s_ashr_i32 s13, s12, 31
	s_delay_alu instid0(SALU_CYCLE_1) | instskip(NEXT) | instid1(SALU_CYCLE_1)
	s_lshl_b64 s[8:9], s[12:13], 2
	s_add_u32 s4, s4, s8
	s_addc_u32 s5, s5, s9
	s_load_b32 s4, s[4:5], 0x0
	s_waitcnt lgkmcnt(0)
	s_sub_i32 s12, s4, s14
.LBB60_9:
	s_load_b32 s4, s[2:3], 0x4
	v_mul_u32_u24_e32 v0, 0x8d4, v4
	v_dual_mov_b32 v2, 0 :: v_dual_lshlrev_b32 v17, 4, v4
	v_mov_b32_e32 v3, 0
	s_delay_alu instid0(VALU_DEP_3) | instskip(NEXT) | instid1(VALU_DEP_1)
	v_lshrrev_b32_e32 v13, 16, v0
	v_mul_lo_u16 v0, v13, 29
	s_delay_alu instid0(VALU_DEP_1) | instskip(NEXT) | instid1(VALU_DEP_4)
	v_sub_nc_u16 v16, v4, v0
	v_dual_mov_b32 v0, v2 :: v_dual_mov_b32 v1, v3
	s_waitcnt lgkmcnt(0)
	s_cmp_eq_u32 s4, 1
	s_cselect_b32 vcc_lo, -1, 0
	s_cmp_lg_u32 s4, 1
	s_cselect_b32 s8, -1, 0
	s_ashr_i32 s13, s12, 31
	s_delay_alu instid0(SALU_CYCLE_1) | instskip(NEXT) | instid1(SALU_CYCLE_1)
	s_lshl_b64 s[4:5], s[12:13], 2
	s_add_u32 s6, s6, s4
	s_addc_u32 s7, s7, s5
	s_add_u32 s9, s6, 4
	s_addc_u32 s10, s7, 0
	;; [unrolled: 2-line block ×3, first 2 shown]
	s_cmp_eq_u64 s[0:1], 0
	s_cselect_b32 s1, s10, s5
	s_cselect_b32 s0, s9, s4
	s_load_b32 s6, s[6:7], 0x0
	s_load_b32 s7, s[0:1], 0x0
	s_load_b64 s[4:5], s[2:3], 0x60
	s_waitcnt lgkmcnt(0)
	s_cmp_ge_i32 s6, s7
	s_cbranch_scc1 .LBB60_14
; %bb.10:
	s_clause 0x1
	s_load_b128 s[16:19], s[2:3], 0x38
	s_load_b64 s[0:1], s[2:3], 0x48
	s_sub_i32 s2, s6, s14
	s_sub_i32 s9, s7, s14
	v_and_b32_e32 v0, 0xffff, v16
	v_dual_mov_b32 v2, 0 :: v_dual_and_b32 v1, 0xffff, v13
	s_mul_i32 s7, s2, 0x3490
	v_mov_b32_e32 v3, 0
	s_ashr_i32 s3, s2, 31
	s_mul_hi_i32 s6, s2, 0x3490
	v_dual_cndmask_b32 v13, v0, v1 :: v_dual_mov_b32 v0, v2
	s_delay_alu instid0(VALU_DEP_2)
	v_mov_b32_e32 v1, v3
	s_waitcnt lgkmcnt(0)
	s_add_u32 s10, s18, s7
	s_addc_u32 s11, s19, s6
	s_lshl_b64 s[6:7], s[2:3], 2
	v_add_co_u32 v14, s3, s10, v17
	s_delay_alu instid0(VALU_DEP_1)
	v_add_co_ci_u32_e64 v15, null, s11, 0, s3
	s_add_u32 s6, s16, s6
	s_addc_u32 s7, s17, s7
	s_set_inst_prefetch_distance 0x1
	s_branch .LBB60_12
	.p2align	6
.LBB60_11:                              ;   in Loop: Header=BB60_12 Depth=1
	s_add_i32 s2, s2, 1
	s_add_u32 s6, s6, 4
	s_addc_u32 s7, s7, 0
	s_cmp_lt_i32 s2, s9
	s_cbranch_scc0 .LBB60_14
.LBB60_12:                              ; =>This Inner Loop Header: Depth=1
	s_cmp_ge_i32 s2, s9
	s_cbranch_scc1 .LBB60_11
; %bb.13:                               ;   in Loop: Header=BB60_12 Depth=1
	s_load_b32 s3, s[6:7], 0x0
	s_waitcnt lgkmcnt(0)
	s_sub_i32 s3, s3, s14
	s_delay_alu instid0(SALU_CYCLE_1) | instskip(NEXT) | instid1(VALU_DEP_1)
	v_mad_u64_u32 v[18:19], null, s3, 29, v[13:14]
	v_ashrrev_i32_e32 v19, 31, v18
	s_delay_alu instid0(VALU_DEP_1) | instskip(NEXT) | instid1(VALU_DEP_1)
	v_lshlrev_b64 v[18:19], 4, v[18:19]
	v_add_co_u32 v22, vcc_lo, s0, v18
	s_delay_alu instid0(VALU_DEP_2)
	v_add_co_ci_u32_e32 v23, vcc_lo, s1, v19, vcc_lo
	global_load_b128 v[18:21], v[14:15], off
	global_load_b128 v[22:25], v[22:23], off
	v_add_co_u32 v14, vcc_lo, 0x3490, v14
	v_add_co_ci_u32_e32 v15, vcc_lo, 0, v15, vcc_lo
	s_waitcnt vmcnt(0)
	v_fma_f64 v[0:1], v[18:19], v[22:23], v[0:1]
	v_fma_f64 v[2:3], v[20:21], v[22:23], v[2:3]
	s_delay_alu instid0(VALU_DEP_2) | instskip(NEXT) | instid1(VALU_DEP_2)
	v_fma_f64 v[0:1], -v[20:21], v[24:25], v[0:1]
	v_fma_f64 v[2:3], v[18:19], v[24:25], v[2:3]
	s_branch .LBB60_11
.LBB60_14:
	s_set_inst_prefetch_distance 0x2
	s_and_b32 vcc_lo, exec_lo, s8
	ds_store_b128 v17, v[0:3]
	s_waitcnt vmcnt(0) lgkmcnt(0)
	s_barrier
	buffer_gl0_inv
	s_cbranch_vccz .LBB60_26
; %bb.15:
	s_mov_b32 s0, exec_lo
	v_cmpx_gt_u16_e32 13, v16
	s_cbranch_execz .LBB60_17
; %bb.16:
	ds_load_b128 v[18:21], v17 offset:256
	ds_load_b128 v[22:25], v17
	s_waitcnt lgkmcnt(0)
	v_add_f64 v[18:19], v[18:19], v[22:23]
	v_add_f64 v[20:21], v[20:21], v[24:25]
	ds_store_b128 v17, v[18:21]
.LBB60_17:
	s_or_b32 exec_lo, exec_lo, s0
	s_delay_alu instid0(SALU_CYCLE_1)
	s_mov_b32 s0, exec_lo
	s_waitcnt lgkmcnt(0)
	s_barrier
	buffer_gl0_inv
	v_cmpx_gt_u16_e32 8, v16
	s_cbranch_execz .LBB60_19
; %bb.18:
	ds_load_b128 v[18:21], v17 offset:128
	ds_load_b128 v[22:25], v17
	s_waitcnt lgkmcnt(0)
	v_add_f64 v[18:19], v[18:19], v[22:23]
	v_add_f64 v[20:21], v[20:21], v[24:25]
	ds_store_b128 v17, v[18:21]
.LBB60_19:
	s_or_b32 exec_lo, exec_lo, s0
	s_delay_alu instid0(SALU_CYCLE_1)
	s_mov_b32 s0, exec_lo
	s_waitcnt lgkmcnt(0)
	s_barrier
	buffer_gl0_inv
	;; [unrolled: 16-line block ×3, first 2 shown]
	v_cmpx_gt_u16_e32 2, v16
	s_cbranch_execz .LBB60_23
; %bb.22:
	ds_load_b128 v[13:16], v17
	ds_load_b128 v[18:21], v17 offset:32
	s_waitcnt lgkmcnt(0)
	v_add_f64 v[13:14], v[18:19], v[13:14]
	v_add_f64 v[15:16], v[20:21], v[15:16]
	ds_store_b128 v17, v[13:16]
.LBB60_23:
	s_or_b32 exec_lo, exec_lo, s0
	v_dual_mov_b32 v16, v3 :: v_dual_mov_b32 v15, v2
	v_dual_mov_b32 v14, v1 :: v_dual_mov_b32 v13, v0
	s_mov_b32 s0, exec_lo
	s_waitcnt lgkmcnt(0)
	s_barrier
	buffer_gl0_inv
	v_cmpx_gt_u32_e32 29, v4
	s_cbranch_execz .LBB60_25
; %bb.24:
	v_mul_u32_u24_e32 v13, 29, v4
	s_delay_alu instid0(VALU_DEP_1)
	v_lshlrev_b32_e32 v18, 4, v13
	ds_load_b128 v[13:16], v18
	ds_load_b128 v[18:21], v18 offset:16
	s_waitcnt lgkmcnt(0)
	v_add_f64 v[13:14], v[18:19], v[13:14]
	v_add_f64 v[15:16], v[20:21], v[15:16]
.LBB60_25:
	s_or_b32 exec_lo, exec_lo, s0
	s_branch .LBB60_38
.LBB60_26:
                                        ; implicit-def: $vgpr15_vgpr16
                                        ; implicit-def: $vgpr13_vgpr14
	s_cbranch_execz .LBB60_38
; %bb.27:
	s_mov_b32 s0, exec_lo
	v_cmpx_gt_u32_e32 0x179, v4
	s_cbranch_execz .LBB60_29
; %bb.28:
	ds_load_b128 v[13:16], v17 offset:7424
	ds_load_b128 v[18:21], v17
	s_waitcnt lgkmcnt(0)
	v_add_f64 v[13:14], v[13:14], v[18:19]
	v_add_f64 v[15:16], v[15:16], v[20:21]
	ds_store_b128 v17, v[13:16]
.LBB60_29:
	s_or_b32 exec_lo, exec_lo, s0
	s_delay_alu instid0(SALU_CYCLE_1)
	s_mov_b32 s0, exec_lo
	s_waitcnt lgkmcnt(0)
	s_barrier
	buffer_gl0_inv
	v_cmpx_gt_u32_e32 0xe8, v4
	s_cbranch_execz .LBB60_31
; %bb.30:
	ds_load_b128 v[13:16], v17 offset:3712
	ds_load_b128 v[18:21], v17
	s_waitcnt lgkmcnt(0)
	v_add_f64 v[13:14], v[13:14], v[18:19]
	v_add_f64 v[15:16], v[15:16], v[20:21]
	ds_store_b128 v17, v[13:16]
.LBB60_31:
	s_or_b32 exec_lo, exec_lo, s0
	s_delay_alu instid0(SALU_CYCLE_1)
	s_mov_b32 s0, exec_lo
	s_waitcnt lgkmcnt(0)
	s_barrier
	buffer_gl0_inv
	;; [unrolled: 16-line block ×3, first 2 shown]
	v_cmpx_gt_u32_e32 58, v4
	s_cbranch_execz .LBB60_35
; %bb.34:
	ds_load_b128 v[13:16], v17 offset:928
	ds_load_b128 v[18:21], v17
	s_waitcnt lgkmcnt(0)
	v_add_f64 v[13:14], v[13:14], v[18:19]
	v_add_f64 v[15:16], v[15:16], v[20:21]
	ds_store_b128 v17, v[13:16]
.LBB60_35:
	s_or_b32 exec_lo, exec_lo, s0
	s_delay_alu instid0(SALU_CYCLE_1)
	s_mov_b32 s0, exec_lo
	s_waitcnt lgkmcnt(0)
	buffer_gl0_inv
	v_cmpx_gt_u32_e32 29, v4
	s_cbranch_execz .LBB60_37
; %bb.36:
	ds_load_b128 v[0:3], v17 offset:464
	ds_load_b128 v[13:16], v17
	s_waitcnt lgkmcnt(0)
	v_add_f64 v[0:1], v[0:1], v[13:14]
	v_add_f64 v[2:3], v[2:3], v[15:16]
.LBB60_37:
	s_or_b32 exec_lo, exec_lo, s0
	s_delay_alu instid0(VALU_DEP_1) | instskip(NEXT) | instid1(VALU_DEP_3)
	v_dual_mov_b32 v16, v3 :: v_dual_mov_b32 v15, v2
	v_dual_mov_b32 v14, v1 :: v_dual_mov_b32 v13, v0
.LBB60_38:
	v_cmp_gt_u32_e32 vcc_lo, 29, v4
	s_and_b32 exec_lo, exec_lo, vcc_lo
	s_cbranch_execz .LBB60_43
; %bb.39:
	s_delay_alu instid0(VALU_DEP_2) | instskip(SKIP_3) | instid1(VALU_DEP_4)
	v_mul_f64 v[0:1], v[15:16], -v[11:12]
	v_mul_f64 v[2:3], v[9:10], v[15:16]
	v_cmp_eq_f64_e32 vcc_lo, 0, v[5:6]
	v_cmp_eq_f64_e64 s0, 0, v[7:8]
	v_fma_f64 v[0:1], v[9:10], v[13:14], v[0:1]
	s_delay_alu instid0(VALU_DEP_4) | instskip(NEXT) | instid1(VALU_DEP_3)
	v_fma_f64 v[2:3], v[11:12], v[13:14], v[2:3]
	s_and_b32 s0, vcc_lo, s0
	s_delay_alu instid0(SALU_CYCLE_1) | instskip(NEXT) | instid1(SALU_CYCLE_1)
	s_and_saveexec_b32 s1, s0
	s_xor_b32 s0, exec_lo, s1
	s_cbranch_execz .LBB60_41
; %bb.40:
	v_mad_u64_u32 v[5:6], null, s12, 29, v[4:5]
	v_mov_b32_e32 v6, 0
                                        ; implicit-def: $vgpr7_vgpr8
	s_delay_alu instid0(VALU_DEP_1) | instskip(NEXT) | instid1(VALU_DEP_1)
	v_lshlrev_b64 v[4:5], 4, v[5:6]
	v_add_co_u32 v4, vcc_lo, s4, v4
	s_delay_alu instid0(VALU_DEP_2)
	v_add_co_ci_u32_e32 v5, vcc_lo, s5, v5, vcc_lo
	global_store_b128 v[4:5], v[0:3], off
                                        ; implicit-def: $vgpr4
                                        ; implicit-def: $vgpr5_vgpr6
                                        ; implicit-def: $vgpr0_vgpr1
.LBB60_41:
	s_and_not1_saveexec_b32 s0, s0
	s_cbranch_execz .LBB60_43
; %bb.42:
	v_mad_u64_u32 v[9:10], null, s12, 29, v[4:5]
	v_mov_b32_e32 v10, 0
	s_delay_alu instid0(VALU_DEP_1) | instskip(NEXT) | instid1(VALU_DEP_1)
	v_lshlrev_b64 v[9:10], 4, v[9:10]
	v_add_co_u32 v13, vcc_lo, s4, v9
	s_delay_alu instid0(VALU_DEP_2) | instskip(SKIP_4) | instid1(VALU_DEP_2)
	v_add_co_ci_u32_e32 v14, vcc_lo, s5, v10, vcc_lo
	global_load_b128 v[9:12], v[13:14], off
	s_waitcnt vmcnt(0)
	v_fma_f64 v[0:1], v[5:6], v[9:10], v[0:1]
	v_fma_f64 v[2:3], v[7:8], v[9:10], v[2:3]
	v_fma_f64 v[0:1], -v[7:8], v[11:12], v[0:1]
	s_delay_alu instid0(VALU_DEP_2)
	v_fma_f64 v[2:3], v[5:6], v[11:12], v[2:3]
	global_store_b128 v[13:14], v[0:3], off
.LBB60_43:
	s_nop 0
	s_sendmsg sendmsg(MSG_DEALLOC_VGPRS)
	s_endpgm
	.section	.rodata,"a",@progbits
	.p2align	6, 0x0
	.amdhsa_kernel _ZN9rocsparseL20bsrxmvn_17_32_kernelILj29E21rocsparse_complex_numIdEiiS2_S2_S2_EEvT2_20rocsparse_direction_NS_24const_host_device_scalarIT0_EES3_PKS3_PKT1_SC_S9_PKT3_PKT4_S7_PT5_21rocsparse_index_base_b
		.amdhsa_group_segment_fixed_size 26912
		.amdhsa_private_segment_fixed_size 0
		.amdhsa_kernarg_size 112
		.amdhsa_user_sgpr_count 15
		.amdhsa_user_sgpr_dispatch_ptr 1
		.amdhsa_user_sgpr_queue_ptr 0
		.amdhsa_user_sgpr_kernarg_segment_ptr 1
		.amdhsa_user_sgpr_dispatch_id 0
		.amdhsa_user_sgpr_private_segment_size 0
		.amdhsa_wavefront_size32 1
		.amdhsa_uses_dynamic_stack 0
		.amdhsa_enable_private_segment 0
		.amdhsa_system_sgpr_workgroup_id_x 1
		.amdhsa_system_sgpr_workgroup_id_y 0
		.amdhsa_system_sgpr_workgroup_id_z 0
		.amdhsa_system_sgpr_workgroup_info 0
		.amdhsa_system_vgpr_workitem_id 2
		.amdhsa_next_free_vgpr 26
		.amdhsa_next_free_sgpr 20
		.amdhsa_reserve_vcc 1
		.amdhsa_float_round_mode_32 0
		.amdhsa_float_round_mode_16_64 0
		.amdhsa_float_denorm_mode_32 3
		.amdhsa_float_denorm_mode_16_64 3
		.amdhsa_dx10_clamp 1
		.amdhsa_ieee_mode 1
		.amdhsa_fp16_overflow 0
		.amdhsa_workgroup_processor_mode 1
		.amdhsa_memory_ordered 1
		.amdhsa_forward_progress 0
		.amdhsa_shared_vgpr_count 0
		.amdhsa_exception_fp_ieee_invalid_op 0
		.amdhsa_exception_fp_denorm_src 0
		.amdhsa_exception_fp_ieee_div_zero 0
		.amdhsa_exception_fp_ieee_overflow 0
		.amdhsa_exception_fp_ieee_underflow 0
		.amdhsa_exception_fp_ieee_inexact 0
		.amdhsa_exception_int_div_zero 0
	.end_amdhsa_kernel
	.section	.text._ZN9rocsparseL20bsrxmvn_17_32_kernelILj29E21rocsparse_complex_numIdEiiS2_S2_S2_EEvT2_20rocsparse_direction_NS_24const_host_device_scalarIT0_EES3_PKS3_PKT1_SC_S9_PKT3_PKT4_S7_PT5_21rocsparse_index_base_b,"axG",@progbits,_ZN9rocsparseL20bsrxmvn_17_32_kernelILj29E21rocsparse_complex_numIdEiiS2_S2_S2_EEvT2_20rocsparse_direction_NS_24const_host_device_scalarIT0_EES3_PKS3_PKT1_SC_S9_PKT3_PKT4_S7_PT5_21rocsparse_index_base_b,comdat
.Lfunc_end60:
	.size	_ZN9rocsparseL20bsrxmvn_17_32_kernelILj29E21rocsparse_complex_numIdEiiS2_S2_S2_EEvT2_20rocsparse_direction_NS_24const_host_device_scalarIT0_EES3_PKS3_PKT1_SC_S9_PKT3_PKT4_S7_PT5_21rocsparse_index_base_b, .Lfunc_end60-_ZN9rocsparseL20bsrxmvn_17_32_kernelILj29E21rocsparse_complex_numIdEiiS2_S2_S2_EEvT2_20rocsparse_direction_NS_24const_host_device_scalarIT0_EES3_PKS3_PKT1_SC_S9_PKT3_PKT4_S7_PT5_21rocsparse_index_base_b
                                        ; -- End function
	.section	.AMDGPU.csdata,"",@progbits
; Kernel info:
; codeLenInByte = 1992
; NumSgprs: 22
; NumVgprs: 26
; ScratchSize: 0
; MemoryBound: 0
; FloatMode: 240
; IeeeMode: 1
; LDSByteSize: 26912 bytes/workgroup (compile time only)
; SGPRBlocks: 2
; VGPRBlocks: 3
; NumSGPRsForWavesPerEU: 22
; NumVGPRsForWavesPerEU: 26
; Occupancy: 14
; WaveLimiterHint : 1
; COMPUTE_PGM_RSRC2:SCRATCH_EN: 0
; COMPUTE_PGM_RSRC2:USER_SGPR: 15
; COMPUTE_PGM_RSRC2:TRAP_HANDLER: 0
; COMPUTE_PGM_RSRC2:TGID_X_EN: 1
; COMPUTE_PGM_RSRC2:TGID_Y_EN: 0
; COMPUTE_PGM_RSRC2:TGID_Z_EN: 0
; COMPUTE_PGM_RSRC2:TIDIG_COMP_CNT: 2
	.section	.text._ZN9rocsparseL20bsrxmvn_17_32_kernelILj30E21rocsparse_complex_numIdEiiS2_S2_S2_EEvT2_20rocsparse_direction_NS_24const_host_device_scalarIT0_EES3_PKS3_PKT1_SC_S9_PKT3_PKT4_S7_PT5_21rocsparse_index_base_b,"axG",@progbits,_ZN9rocsparseL20bsrxmvn_17_32_kernelILj30E21rocsparse_complex_numIdEiiS2_S2_S2_EEvT2_20rocsparse_direction_NS_24const_host_device_scalarIT0_EES3_PKS3_PKT1_SC_S9_PKT3_PKT4_S7_PT5_21rocsparse_index_base_b,comdat
	.globl	_ZN9rocsparseL20bsrxmvn_17_32_kernelILj30E21rocsparse_complex_numIdEiiS2_S2_S2_EEvT2_20rocsparse_direction_NS_24const_host_device_scalarIT0_EES3_PKS3_PKT1_SC_S9_PKT3_PKT4_S7_PT5_21rocsparse_index_base_b ; -- Begin function _ZN9rocsparseL20bsrxmvn_17_32_kernelILj30E21rocsparse_complex_numIdEiiS2_S2_S2_EEvT2_20rocsparse_direction_NS_24const_host_device_scalarIT0_EES3_PKS3_PKT1_SC_S9_PKT3_PKT4_S7_PT5_21rocsparse_index_base_b
	.p2align	8
	.type	_ZN9rocsparseL20bsrxmvn_17_32_kernelILj30E21rocsparse_complex_numIdEiiS2_S2_S2_EEvT2_20rocsparse_direction_NS_24const_host_device_scalarIT0_EES3_PKS3_PKT1_SC_S9_PKT3_PKT4_S7_PT5_21rocsparse_index_base_b,@function
_ZN9rocsparseL20bsrxmvn_17_32_kernelILj30E21rocsparse_complex_numIdEiiS2_S2_S2_EEvT2_20rocsparse_direction_NS_24const_host_device_scalarIT0_EES3_PKS3_PKT1_SC_S9_PKT3_PKT4_S7_PT5_21rocsparse_index_base_b: ; @_ZN9rocsparseL20bsrxmvn_17_32_kernelILj30E21rocsparse_complex_numIdEiiS2_S2_S2_EEvT2_20rocsparse_direction_NS_24const_host_device_scalarIT0_EES3_PKS3_PKT1_SC_S9_PKT3_PKT4_S7_PT5_21rocsparse_index_base_b
; %bb.0:
	s_mov_b32 s12, s15
	s_clause 0x1
	s_load_b64 s[14:15], s[2:3], 0x68
	s_load_b128 s[4:7], s[2:3], 0x8
	s_load_b64 s[16:17], s[0:1], 0x4
	s_mov_b64 s[0:1], src_shared_base
	v_and_b32_e32 v4, 0x3ff, v0
	s_load_b128 s[8:11], s[2:3], 0x50
	v_bfe_u32 v2, v0, 10, 10
	v_bfe_u32 v0, v0, 20, 10
	s_waitcnt lgkmcnt(0)
	s_bitcmp1_b32 s15, 0
	v_mov_b32_e32 v12, s7
	s_cselect_b32 s0, -1, 0
	v_mov_b32_e32 v11, s6
	s_and_b32 vcc_lo, s0, exec_lo
	s_cselect_b32 s13, s1, s5
	s_lshr_b32 s15, s16, 16
	v_mov_b32_e32 v6, s13
	s_mul_i32 s15, s15, s17
	s_xor_b32 s6, s0, -1
	v_mul_lo_u32 v1, s15, v4
	s_delay_alu instid0(VALU_DEP_1) | instskip(SKIP_1) | instid1(VALU_DEP_2)
	v_mad_u32_u24 v1, v2, s17, v1
	v_dual_mov_b32 v2, s8 :: v_dual_mov_b32 v3, s9
	v_add_lshl_u32 v7, v1, v0, 3
	v_dual_mov_b32 v0, s4 :: v_dual_mov_b32 v1, s5
	ds_store_b64 v7, v[0:1] offset:21600
	ds_store_b64 v7, v[2:3] offset:14400
	v_add_nc_u32_e32 v5, 0x5460, v7
	v_add_nc_u32_e32 v0, 0x3840, v7
	s_delay_alu instid0(VALU_DEP_2)
	v_cndmask_b32_e64 v5, s4, v5, s0
	flat_load_b64 v[9:10], v[5:6]
	s_cbranch_vccnz .LBB61_2
; %bb.1:
	v_dual_mov_b32 v1, s4 :: v_dual_mov_b32 v2, s5
	flat_load_b64 v[11:12], v[1:2] offset:8
.LBB61_2:
	s_and_b32 s4, s0, exec_lo
	s_cselect_b32 s1, s1, s9
	v_cndmask_b32_e64 v0, s8, v0, s0
	v_mov_b32_e32 v1, s1
	v_dual_mov_b32 v7, s10 :: v_dual_mov_b32 v8, s11
	s_and_not1_b32 vcc_lo, exec_lo, s6
	flat_load_b64 v[5:6], v[0:1]
	s_cbranch_vccnz .LBB61_4
; %bb.3:
	v_dual_mov_b32 v0, s8 :: v_dual_mov_b32 v1, s9
	flat_load_b64 v[7:8], v[0:1] offset:8
.LBB61_4:
	s_waitcnt vmcnt(1) lgkmcnt(1)
	v_cmp_eq_f64_e32 vcc_lo, 0, v[9:10]
	v_cmp_eq_f64_e64 s0, 0, v[11:12]
	s_delay_alu instid0(VALU_DEP_1)
	s_and_b32 s4, vcc_lo, s0
	s_mov_b32 s0, -1
	s_and_saveexec_b32 s1, s4
	s_cbranch_execz .LBB61_6
; %bb.5:
	s_waitcnt vmcnt(0) lgkmcnt(0)
	v_cmp_neq_f64_e32 vcc_lo, 1.0, v[5:6]
	v_cmp_neq_f64_e64 s0, 0, v[7:8]
	s_delay_alu instid0(VALU_DEP_1) | instskip(NEXT) | instid1(SALU_CYCLE_1)
	s_or_b32 s0, vcc_lo, s0
	s_or_not1_b32 s0, s0, exec_lo
.LBB61_6:
	s_or_b32 exec_lo, exec_lo, s1
	s_and_saveexec_b32 s1, s0
	s_cbranch_execz .LBB61_43
; %bb.7:
	s_clause 0x1
	s_load_b128 s[4:7], s[2:3], 0x20
	s_load_b64 s[0:1], s[2:3], 0x30
	s_waitcnt lgkmcnt(0)
	s_cmp_eq_u64 s[4:5], 0
	s_cbranch_scc1 .LBB61_9
; %bb.8:
	s_ashr_i32 s13, s12, 31
	s_delay_alu instid0(SALU_CYCLE_1) | instskip(NEXT) | instid1(SALU_CYCLE_1)
	s_lshl_b64 s[8:9], s[12:13], 2
	s_add_u32 s4, s4, s8
	s_addc_u32 s5, s5, s9
	s_load_b32 s4, s[4:5], 0x0
	s_waitcnt lgkmcnt(0)
	s_sub_i32 s12, s4, s14
.LBB61_9:
	s_load_b32 s4, s[2:3], 0x4
	v_mul_u32_u24_e32 v0, 0x889, v4
	v_dual_mov_b32 v2, 0 :: v_dual_lshlrev_b32 v17, 4, v4
	v_mov_b32_e32 v3, 0
	s_delay_alu instid0(VALU_DEP_3) | instskip(NEXT) | instid1(VALU_DEP_1)
	v_lshrrev_b32_e32 v13, 16, v0
	v_mul_lo_u16 v0, v13, 30
	s_delay_alu instid0(VALU_DEP_1) | instskip(NEXT) | instid1(VALU_DEP_4)
	v_sub_nc_u16 v16, v4, v0
	v_dual_mov_b32 v0, v2 :: v_dual_mov_b32 v1, v3
	s_waitcnt lgkmcnt(0)
	s_cmp_eq_u32 s4, 1
	s_cselect_b32 vcc_lo, -1, 0
	s_cmp_lg_u32 s4, 1
	s_cselect_b32 s8, -1, 0
	s_ashr_i32 s13, s12, 31
	s_delay_alu instid0(SALU_CYCLE_1) | instskip(NEXT) | instid1(SALU_CYCLE_1)
	s_lshl_b64 s[4:5], s[12:13], 2
	s_add_u32 s6, s6, s4
	s_addc_u32 s7, s7, s5
	s_add_u32 s9, s6, 4
	s_addc_u32 s10, s7, 0
	;; [unrolled: 2-line block ×3, first 2 shown]
	s_cmp_eq_u64 s[0:1], 0
	s_cselect_b32 s1, s10, s5
	s_cselect_b32 s0, s9, s4
	s_load_b32 s6, s[6:7], 0x0
	s_load_b32 s7, s[0:1], 0x0
	s_load_b64 s[4:5], s[2:3], 0x60
	s_waitcnt lgkmcnt(0)
	s_cmp_ge_i32 s6, s7
	s_cbranch_scc1 .LBB61_14
; %bb.10:
	s_clause 0x1
	s_load_b128 s[16:19], s[2:3], 0x38
	s_load_b64 s[0:1], s[2:3], 0x48
	s_sub_i32 s2, s6, s14
	s_sub_i32 s9, s7, s14
	v_and_b32_e32 v0, 0xffff, v16
	v_dual_mov_b32 v2, 0 :: v_dual_and_b32 v1, 0xffff, v13
	s_mul_i32 s7, s2, 0x3840
	v_mov_b32_e32 v3, 0
	s_ashr_i32 s3, s2, 31
	s_mul_hi_i32 s6, s2, 0x3840
	v_dual_cndmask_b32 v13, v0, v1 :: v_dual_mov_b32 v0, v2
	s_delay_alu instid0(VALU_DEP_2)
	v_mov_b32_e32 v1, v3
	s_waitcnt lgkmcnt(0)
	s_add_u32 s10, s18, s7
	s_addc_u32 s11, s19, s6
	s_lshl_b64 s[6:7], s[2:3], 2
	v_add_co_u32 v14, s3, s10, v17
	s_delay_alu instid0(VALU_DEP_1)
	v_add_co_ci_u32_e64 v15, null, s11, 0, s3
	s_add_u32 s6, s16, s6
	s_addc_u32 s7, s17, s7
	s_set_inst_prefetch_distance 0x1
	s_branch .LBB61_12
	.p2align	6
.LBB61_11:                              ;   in Loop: Header=BB61_12 Depth=1
	s_add_i32 s2, s2, 1
	s_add_u32 s6, s6, 4
	s_addc_u32 s7, s7, 0
	s_cmp_lt_i32 s2, s9
	s_cbranch_scc0 .LBB61_14
.LBB61_12:                              ; =>This Inner Loop Header: Depth=1
	s_cmp_ge_i32 s2, s9
	s_cbranch_scc1 .LBB61_11
; %bb.13:                               ;   in Loop: Header=BB61_12 Depth=1
	s_load_b32 s3, s[6:7], 0x0
	s_waitcnt lgkmcnt(0)
	s_sub_i32 s3, s3, s14
	s_delay_alu instid0(SALU_CYCLE_1) | instskip(NEXT) | instid1(VALU_DEP_1)
	v_mad_u64_u32 v[18:19], null, s3, 30, v[13:14]
	v_ashrrev_i32_e32 v19, 31, v18
	s_delay_alu instid0(VALU_DEP_1) | instskip(NEXT) | instid1(VALU_DEP_1)
	v_lshlrev_b64 v[18:19], 4, v[18:19]
	v_add_co_u32 v22, vcc_lo, s0, v18
	s_delay_alu instid0(VALU_DEP_2)
	v_add_co_ci_u32_e32 v23, vcc_lo, s1, v19, vcc_lo
	global_load_b128 v[18:21], v[14:15], off
	global_load_b128 v[22:25], v[22:23], off
	v_add_co_u32 v14, vcc_lo, 0x3840, v14
	v_add_co_ci_u32_e32 v15, vcc_lo, 0, v15, vcc_lo
	s_waitcnt vmcnt(0)
	v_fma_f64 v[0:1], v[18:19], v[22:23], v[0:1]
	v_fma_f64 v[2:3], v[20:21], v[22:23], v[2:3]
	s_delay_alu instid0(VALU_DEP_2) | instskip(NEXT) | instid1(VALU_DEP_2)
	v_fma_f64 v[0:1], -v[20:21], v[24:25], v[0:1]
	v_fma_f64 v[2:3], v[18:19], v[24:25], v[2:3]
	s_branch .LBB61_11
.LBB61_14:
	s_set_inst_prefetch_distance 0x2
	s_and_b32 vcc_lo, exec_lo, s8
	ds_store_b128 v17, v[0:3]
	s_waitcnt vmcnt(0) lgkmcnt(0)
	s_barrier
	buffer_gl0_inv
	s_cbranch_vccz .LBB61_26
; %bb.15:
	s_mov_b32 s0, exec_lo
	v_cmpx_gt_u16_e32 14, v16
	s_cbranch_execz .LBB61_17
; %bb.16:
	ds_load_b128 v[18:21], v17 offset:256
	ds_load_b128 v[22:25], v17
	s_waitcnt lgkmcnt(0)
	v_add_f64 v[18:19], v[18:19], v[22:23]
	v_add_f64 v[20:21], v[20:21], v[24:25]
	ds_store_b128 v17, v[18:21]
.LBB61_17:
	s_or_b32 exec_lo, exec_lo, s0
	s_delay_alu instid0(SALU_CYCLE_1)
	s_mov_b32 s0, exec_lo
	s_waitcnt lgkmcnt(0)
	s_barrier
	buffer_gl0_inv
	v_cmpx_gt_u16_e32 8, v16
	s_cbranch_execz .LBB61_19
; %bb.18:
	ds_load_b128 v[18:21], v17 offset:128
	ds_load_b128 v[22:25], v17
	s_waitcnt lgkmcnt(0)
	v_add_f64 v[18:19], v[18:19], v[22:23]
	v_add_f64 v[20:21], v[20:21], v[24:25]
	ds_store_b128 v17, v[18:21]
.LBB61_19:
	s_or_b32 exec_lo, exec_lo, s0
	s_delay_alu instid0(SALU_CYCLE_1)
	s_mov_b32 s0, exec_lo
	s_waitcnt lgkmcnt(0)
	s_barrier
	buffer_gl0_inv
	;; [unrolled: 16-line block ×3, first 2 shown]
	v_cmpx_gt_u16_e32 2, v16
	s_cbranch_execz .LBB61_23
; %bb.22:
	ds_load_b128 v[13:16], v17
	ds_load_b128 v[18:21], v17 offset:32
	s_waitcnt lgkmcnt(0)
	v_add_f64 v[13:14], v[18:19], v[13:14]
	v_add_f64 v[15:16], v[20:21], v[15:16]
	ds_store_b128 v17, v[13:16]
.LBB61_23:
	s_or_b32 exec_lo, exec_lo, s0
	v_dual_mov_b32 v16, v3 :: v_dual_mov_b32 v15, v2
	v_dual_mov_b32 v14, v1 :: v_dual_mov_b32 v13, v0
	s_mov_b32 s0, exec_lo
	s_waitcnt lgkmcnt(0)
	s_barrier
	buffer_gl0_inv
	v_cmpx_gt_u32_e32 30, v4
	s_cbranch_execz .LBB61_25
; %bb.24:
	v_mul_u32_u24_e32 v13, 30, v4
	s_delay_alu instid0(VALU_DEP_1)
	v_lshlrev_b32_e32 v18, 4, v13
	ds_load_b128 v[13:16], v18
	ds_load_b128 v[18:21], v18 offset:16
	s_waitcnt lgkmcnt(0)
	v_add_f64 v[13:14], v[18:19], v[13:14]
	v_add_f64 v[15:16], v[20:21], v[15:16]
.LBB61_25:
	s_or_b32 exec_lo, exec_lo, s0
	s_branch .LBB61_38
.LBB61_26:
                                        ; implicit-def: $vgpr15_vgpr16
                                        ; implicit-def: $vgpr13_vgpr14
	s_cbranch_execz .LBB61_38
; %bb.27:
	s_mov_b32 s0, exec_lo
	v_cmpx_gt_u32_e32 0x1a4, v4
	s_cbranch_execz .LBB61_29
; %bb.28:
	ds_load_b128 v[13:16], v17 offset:7680
	ds_load_b128 v[18:21], v17
	s_waitcnt lgkmcnt(0)
	v_add_f64 v[13:14], v[13:14], v[18:19]
	v_add_f64 v[15:16], v[15:16], v[20:21]
	ds_store_b128 v17, v[13:16]
.LBB61_29:
	s_or_b32 exec_lo, exec_lo, s0
	s_delay_alu instid0(SALU_CYCLE_1)
	s_mov_b32 s0, exec_lo
	s_waitcnt lgkmcnt(0)
	s_barrier
	buffer_gl0_inv
	v_cmpx_gt_u32_e32 0xf0, v4
	s_cbranch_execz .LBB61_31
; %bb.30:
	ds_load_b128 v[13:16], v17 offset:3840
	ds_load_b128 v[18:21], v17
	s_waitcnt lgkmcnt(0)
	v_add_f64 v[13:14], v[13:14], v[18:19]
	v_add_f64 v[15:16], v[15:16], v[20:21]
	ds_store_b128 v17, v[13:16]
.LBB61_31:
	s_or_b32 exec_lo, exec_lo, s0
	s_delay_alu instid0(SALU_CYCLE_1)
	s_mov_b32 s0, exec_lo
	s_waitcnt lgkmcnt(0)
	s_barrier
	buffer_gl0_inv
	v_cmpx_gt_u32_e32 0x78, v4
	s_cbranch_execz .LBB61_33
; %bb.32:
	ds_load_b128 v[13:16], v17 offset:1920
	ds_load_b128 v[18:21], v17
	s_waitcnt lgkmcnt(0)
	v_add_f64 v[13:14], v[13:14], v[18:19]
	v_add_f64 v[15:16], v[15:16], v[20:21]
	ds_store_b128 v17, v[13:16]
.LBB61_33:
	s_or_b32 exec_lo, exec_lo, s0
	s_delay_alu instid0(SALU_CYCLE_1)
	s_mov_b32 s0, exec_lo
	s_waitcnt lgkmcnt(0)
	s_barrier
	buffer_gl0_inv
	v_cmpx_gt_u32_e32 60, v4
	s_cbranch_execz .LBB61_35
; %bb.34:
	ds_load_b128 v[13:16], v17 offset:960
	ds_load_b128 v[18:21], v17
	s_waitcnt lgkmcnt(0)
	v_add_f64 v[13:14], v[13:14], v[18:19]
	v_add_f64 v[15:16], v[15:16], v[20:21]
	ds_store_b128 v17, v[13:16]
.LBB61_35:
	s_or_b32 exec_lo, exec_lo, s0
	s_delay_alu instid0(SALU_CYCLE_1)
	s_mov_b32 s0, exec_lo
	s_waitcnt lgkmcnt(0)
	buffer_gl0_inv
	v_cmpx_gt_u32_e32 30, v4
	s_cbranch_execz .LBB61_37
; %bb.36:
	ds_load_b128 v[0:3], v17 offset:480
	ds_load_b128 v[13:16], v17
	s_waitcnt lgkmcnt(0)
	v_add_f64 v[0:1], v[0:1], v[13:14]
	v_add_f64 v[2:3], v[2:3], v[15:16]
.LBB61_37:
	s_or_b32 exec_lo, exec_lo, s0
	s_delay_alu instid0(VALU_DEP_1) | instskip(NEXT) | instid1(VALU_DEP_3)
	v_dual_mov_b32 v16, v3 :: v_dual_mov_b32 v15, v2
	v_dual_mov_b32 v14, v1 :: v_dual_mov_b32 v13, v0
.LBB61_38:
	v_cmp_gt_u32_e32 vcc_lo, 30, v4
	s_and_b32 exec_lo, exec_lo, vcc_lo
	s_cbranch_execz .LBB61_43
; %bb.39:
	s_delay_alu instid0(VALU_DEP_2) | instskip(SKIP_3) | instid1(VALU_DEP_4)
	v_mul_f64 v[0:1], v[15:16], -v[11:12]
	v_mul_f64 v[2:3], v[9:10], v[15:16]
	v_cmp_eq_f64_e32 vcc_lo, 0, v[5:6]
	v_cmp_eq_f64_e64 s0, 0, v[7:8]
	v_fma_f64 v[0:1], v[9:10], v[13:14], v[0:1]
	s_delay_alu instid0(VALU_DEP_4) | instskip(NEXT) | instid1(VALU_DEP_3)
	v_fma_f64 v[2:3], v[11:12], v[13:14], v[2:3]
	s_and_b32 s0, vcc_lo, s0
	s_delay_alu instid0(SALU_CYCLE_1) | instskip(NEXT) | instid1(SALU_CYCLE_1)
	s_and_saveexec_b32 s1, s0
	s_xor_b32 s0, exec_lo, s1
	s_cbranch_execz .LBB61_41
; %bb.40:
	v_mad_u64_u32 v[5:6], null, s12, 30, v[4:5]
	v_mov_b32_e32 v6, 0
                                        ; implicit-def: $vgpr7_vgpr8
	s_delay_alu instid0(VALU_DEP_1) | instskip(NEXT) | instid1(VALU_DEP_1)
	v_lshlrev_b64 v[4:5], 4, v[5:6]
	v_add_co_u32 v4, vcc_lo, s4, v4
	s_delay_alu instid0(VALU_DEP_2)
	v_add_co_ci_u32_e32 v5, vcc_lo, s5, v5, vcc_lo
	global_store_b128 v[4:5], v[0:3], off
                                        ; implicit-def: $vgpr4
                                        ; implicit-def: $vgpr5_vgpr6
                                        ; implicit-def: $vgpr0_vgpr1
.LBB61_41:
	s_and_not1_saveexec_b32 s0, s0
	s_cbranch_execz .LBB61_43
; %bb.42:
	v_mad_u64_u32 v[9:10], null, s12, 30, v[4:5]
	v_mov_b32_e32 v10, 0
	s_delay_alu instid0(VALU_DEP_1) | instskip(NEXT) | instid1(VALU_DEP_1)
	v_lshlrev_b64 v[9:10], 4, v[9:10]
	v_add_co_u32 v13, vcc_lo, s4, v9
	s_delay_alu instid0(VALU_DEP_2) | instskip(SKIP_4) | instid1(VALU_DEP_2)
	v_add_co_ci_u32_e32 v14, vcc_lo, s5, v10, vcc_lo
	global_load_b128 v[9:12], v[13:14], off
	s_waitcnt vmcnt(0)
	v_fma_f64 v[0:1], v[5:6], v[9:10], v[0:1]
	v_fma_f64 v[2:3], v[7:8], v[9:10], v[2:3]
	v_fma_f64 v[0:1], -v[7:8], v[11:12], v[0:1]
	s_delay_alu instid0(VALU_DEP_2)
	v_fma_f64 v[2:3], v[5:6], v[11:12], v[2:3]
	global_store_b128 v[13:14], v[0:3], off
.LBB61_43:
	s_nop 0
	s_sendmsg sendmsg(MSG_DEALLOC_VGPRS)
	s_endpgm
	.section	.rodata,"a",@progbits
	.p2align	6, 0x0
	.amdhsa_kernel _ZN9rocsparseL20bsrxmvn_17_32_kernelILj30E21rocsparse_complex_numIdEiiS2_S2_S2_EEvT2_20rocsparse_direction_NS_24const_host_device_scalarIT0_EES3_PKS3_PKT1_SC_S9_PKT3_PKT4_S7_PT5_21rocsparse_index_base_b
		.amdhsa_group_segment_fixed_size 28800
		.amdhsa_private_segment_fixed_size 0
		.amdhsa_kernarg_size 112
		.amdhsa_user_sgpr_count 15
		.amdhsa_user_sgpr_dispatch_ptr 1
		.amdhsa_user_sgpr_queue_ptr 0
		.amdhsa_user_sgpr_kernarg_segment_ptr 1
		.amdhsa_user_sgpr_dispatch_id 0
		.amdhsa_user_sgpr_private_segment_size 0
		.amdhsa_wavefront_size32 1
		.amdhsa_uses_dynamic_stack 0
		.amdhsa_enable_private_segment 0
		.amdhsa_system_sgpr_workgroup_id_x 1
		.amdhsa_system_sgpr_workgroup_id_y 0
		.amdhsa_system_sgpr_workgroup_id_z 0
		.amdhsa_system_sgpr_workgroup_info 0
		.amdhsa_system_vgpr_workitem_id 2
		.amdhsa_next_free_vgpr 26
		.amdhsa_next_free_sgpr 20
		.amdhsa_reserve_vcc 1
		.amdhsa_float_round_mode_32 0
		.amdhsa_float_round_mode_16_64 0
		.amdhsa_float_denorm_mode_32 3
		.amdhsa_float_denorm_mode_16_64 3
		.amdhsa_dx10_clamp 1
		.amdhsa_ieee_mode 1
		.amdhsa_fp16_overflow 0
		.amdhsa_workgroup_processor_mode 1
		.amdhsa_memory_ordered 1
		.amdhsa_forward_progress 0
		.amdhsa_shared_vgpr_count 0
		.amdhsa_exception_fp_ieee_invalid_op 0
		.amdhsa_exception_fp_denorm_src 0
		.amdhsa_exception_fp_ieee_div_zero 0
		.amdhsa_exception_fp_ieee_overflow 0
		.amdhsa_exception_fp_ieee_underflow 0
		.amdhsa_exception_fp_ieee_inexact 0
		.amdhsa_exception_int_div_zero 0
	.end_amdhsa_kernel
	.section	.text._ZN9rocsparseL20bsrxmvn_17_32_kernelILj30E21rocsparse_complex_numIdEiiS2_S2_S2_EEvT2_20rocsparse_direction_NS_24const_host_device_scalarIT0_EES3_PKS3_PKT1_SC_S9_PKT3_PKT4_S7_PT5_21rocsparse_index_base_b,"axG",@progbits,_ZN9rocsparseL20bsrxmvn_17_32_kernelILj30E21rocsparse_complex_numIdEiiS2_S2_S2_EEvT2_20rocsparse_direction_NS_24const_host_device_scalarIT0_EES3_PKS3_PKT1_SC_S9_PKT3_PKT4_S7_PT5_21rocsparse_index_base_b,comdat
.Lfunc_end61:
	.size	_ZN9rocsparseL20bsrxmvn_17_32_kernelILj30E21rocsparse_complex_numIdEiiS2_S2_S2_EEvT2_20rocsparse_direction_NS_24const_host_device_scalarIT0_EES3_PKS3_PKT1_SC_S9_PKT3_PKT4_S7_PT5_21rocsparse_index_base_b, .Lfunc_end61-_ZN9rocsparseL20bsrxmvn_17_32_kernelILj30E21rocsparse_complex_numIdEiiS2_S2_S2_EEvT2_20rocsparse_direction_NS_24const_host_device_scalarIT0_EES3_PKS3_PKT1_SC_S9_PKT3_PKT4_S7_PT5_21rocsparse_index_base_b
                                        ; -- End function
	.section	.AMDGPU.csdata,"",@progbits
; Kernel info:
; codeLenInByte = 1992
; NumSgprs: 22
; NumVgprs: 26
; ScratchSize: 0
; MemoryBound: 0
; FloatMode: 240
; IeeeMode: 1
; LDSByteSize: 28800 bytes/workgroup (compile time only)
; SGPRBlocks: 2
; VGPRBlocks: 3
; NumSGPRsForWavesPerEU: 22
; NumVGPRsForWavesPerEU: 26
; Occupancy: 15
; WaveLimiterHint : 1
; COMPUTE_PGM_RSRC2:SCRATCH_EN: 0
; COMPUTE_PGM_RSRC2:USER_SGPR: 15
; COMPUTE_PGM_RSRC2:TRAP_HANDLER: 0
; COMPUTE_PGM_RSRC2:TGID_X_EN: 1
; COMPUTE_PGM_RSRC2:TGID_Y_EN: 0
; COMPUTE_PGM_RSRC2:TGID_Z_EN: 0
; COMPUTE_PGM_RSRC2:TIDIG_COMP_CNT: 2
	.section	.text._ZN9rocsparseL20bsrxmvn_17_32_kernelILj31E21rocsparse_complex_numIdEiiS2_S2_S2_EEvT2_20rocsparse_direction_NS_24const_host_device_scalarIT0_EES3_PKS3_PKT1_SC_S9_PKT3_PKT4_S7_PT5_21rocsparse_index_base_b,"axG",@progbits,_ZN9rocsparseL20bsrxmvn_17_32_kernelILj31E21rocsparse_complex_numIdEiiS2_S2_S2_EEvT2_20rocsparse_direction_NS_24const_host_device_scalarIT0_EES3_PKS3_PKT1_SC_S9_PKT3_PKT4_S7_PT5_21rocsparse_index_base_b,comdat
	.globl	_ZN9rocsparseL20bsrxmvn_17_32_kernelILj31E21rocsparse_complex_numIdEiiS2_S2_S2_EEvT2_20rocsparse_direction_NS_24const_host_device_scalarIT0_EES3_PKS3_PKT1_SC_S9_PKT3_PKT4_S7_PT5_21rocsparse_index_base_b ; -- Begin function _ZN9rocsparseL20bsrxmvn_17_32_kernelILj31E21rocsparse_complex_numIdEiiS2_S2_S2_EEvT2_20rocsparse_direction_NS_24const_host_device_scalarIT0_EES3_PKS3_PKT1_SC_S9_PKT3_PKT4_S7_PT5_21rocsparse_index_base_b
	.p2align	8
	.type	_ZN9rocsparseL20bsrxmvn_17_32_kernelILj31E21rocsparse_complex_numIdEiiS2_S2_S2_EEvT2_20rocsparse_direction_NS_24const_host_device_scalarIT0_EES3_PKS3_PKT1_SC_S9_PKT3_PKT4_S7_PT5_21rocsparse_index_base_b,@function
_ZN9rocsparseL20bsrxmvn_17_32_kernelILj31E21rocsparse_complex_numIdEiiS2_S2_S2_EEvT2_20rocsparse_direction_NS_24const_host_device_scalarIT0_EES3_PKS3_PKT1_SC_S9_PKT3_PKT4_S7_PT5_21rocsparse_index_base_b: ; @_ZN9rocsparseL20bsrxmvn_17_32_kernelILj31E21rocsparse_complex_numIdEiiS2_S2_S2_EEvT2_20rocsparse_direction_NS_24const_host_device_scalarIT0_EES3_PKS3_PKT1_SC_S9_PKT3_PKT4_S7_PT5_21rocsparse_index_base_b
; %bb.0:
	s_mov_b32 s12, s15
	s_clause 0x1
	s_load_b64 s[14:15], s[2:3], 0x68
	s_load_b128 s[4:7], s[2:3], 0x8
	s_load_b64 s[16:17], s[0:1], 0x4
	s_mov_b64 s[0:1], src_shared_base
	v_and_b32_e32 v4, 0x3ff, v0
	s_load_b128 s[8:11], s[2:3], 0x50
	v_bfe_u32 v2, v0, 10, 10
	v_bfe_u32 v0, v0, 20, 10
	s_waitcnt lgkmcnt(0)
	s_bitcmp1_b32 s15, 0
	v_mov_b32_e32 v12, s7
	s_cselect_b32 s0, -1, 0
	v_mov_b32_e32 v11, s6
	s_and_b32 vcc_lo, s0, exec_lo
	s_cselect_b32 s13, s1, s5
	s_lshr_b32 s15, s16, 16
	v_mov_b32_e32 v6, s13
	s_mul_i32 s15, s15, s17
	s_xor_b32 s6, s0, -1
	v_mul_lo_u32 v1, s15, v4
	s_delay_alu instid0(VALU_DEP_1) | instskip(SKIP_1) | instid1(VALU_DEP_2)
	v_mad_u32_u24 v1, v2, s17, v1
	v_dual_mov_b32 v2, s8 :: v_dual_mov_b32 v3, s9
	v_add_lshl_u32 v7, v1, v0, 3
	v_dual_mov_b32 v0, s4 :: v_dual_mov_b32 v1, s5
	ds_store_b64 v7, v[0:1] offset:23064
	ds_store_b64 v7, v[2:3] offset:15376
	v_add_nc_u32_e32 v5, 0x5a18, v7
	v_add_nc_u32_e32 v0, 0x3c10, v7
	s_delay_alu instid0(VALU_DEP_2)
	v_cndmask_b32_e64 v5, s4, v5, s0
	flat_load_b64 v[9:10], v[5:6]
	s_cbranch_vccnz .LBB62_2
; %bb.1:
	v_dual_mov_b32 v1, s4 :: v_dual_mov_b32 v2, s5
	flat_load_b64 v[11:12], v[1:2] offset:8
.LBB62_2:
	s_and_b32 s4, s0, exec_lo
	s_cselect_b32 s1, s1, s9
	v_cndmask_b32_e64 v0, s8, v0, s0
	v_mov_b32_e32 v1, s1
	v_dual_mov_b32 v7, s10 :: v_dual_mov_b32 v8, s11
	s_and_not1_b32 vcc_lo, exec_lo, s6
	flat_load_b64 v[5:6], v[0:1]
	s_cbranch_vccnz .LBB62_4
; %bb.3:
	v_dual_mov_b32 v0, s8 :: v_dual_mov_b32 v1, s9
	flat_load_b64 v[7:8], v[0:1] offset:8
.LBB62_4:
	s_waitcnt vmcnt(1) lgkmcnt(1)
	v_cmp_eq_f64_e32 vcc_lo, 0, v[9:10]
	v_cmp_eq_f64_e64 s0, 0, v[11:12]
	s_delay_alu instid0(VALU_DEP_1)
	s_and_b32 s4, vcc_lo, s0
	s_mov_b32 s0, -1
	s_and_saveexec_b32 s1, s4
	s_cbranch_execz .LBB62_6
; %bb.5:
	s_waitcnt vmcnt(0) lgkmcnt(0)
	v_cmp_neq_f64_e32 vcc_lo, 1.0, v[5:6]
	v_cmp_neq_f64_e64 s0, 0, v[7:8]
	s_delay_alu instid0(VALU_DEP_1) | instskip(NEXT) | instid1(SALU_CYCLE_1)
	s_or_b32 s0, vcc_lo, s0
	s_or_not1_b32 s0, s0, exec_lo
.LBB62_6:
	s_or_b32 exec_lo, exec_lo, s1
	s_and_saveexec_b32 s1, s0
	s_cbranch_execz .LBB62_43
; %bb.7:
	s_clause 0x1
	s_load_b128 s[4:7], s[2:3], 0x20
	s_load_b64 s[0:1], s[2:3], 0x30
	s_waitcnt lgkmcnt(0)
	s_cmp_eq_u64 s[4:5], 0
	s_cbranch_scc1 .LBB62_9
; %bb.8:
	s_ashr_i32 s13, s12, 31
	s_delay_alu instid0(SALU_CYCLE_1) | instskip(NEXT) | instid1(SALU_CYCLE_1)
	s_lshl_b64 s[8:9], s[12:13], 2
	s_add_u32 s4, s4, s8
	s_addc_u32 s5, s5, s9
	s_load_b32 s4, s[4:5], 0x0
	s_waitcnt lgkmcnt(0)
	s_sub_i32 s12, s4, s14
.LBB62_9:
	s_load_b32 s4, s[2:3], 0x4
	v_mul_u32_u24_e32 v0, 0x843, v4
	v_dual_mov_b32 v2, 0 :: v_dual_lshlrev_b32 v17, 4, v4
	v_mov_b32_e32 v3, 0
	s_delay_alu instid0(VALU_DEP_3) | instskip(NEXT) | instid1(VALU_DEP_1)
	v_lshrrev_b32_e32 v13, 16, v0
	v_mul_lo_u16 v0, v13, 31
	s_delay_alu instid0(VALU_DEP_1) | instskip(NEXT) | instid1(VALU_DEP_4)
	v_sub_nc_u16 v16, v4, v0
	v_dual_mov_b32 v0, v2 :: v_dual_mov_b32 v1, v3
	s_waitcnt lgkmcnt(0)
	s_cmp_eq_u32 s4, 1
	s_cselect_b32 vcc_lo, -1, 0
	s_cmp_lg_u32 s4, 1
	s_cselect_b32 s8, -1, 0
	s_ashr_i32 s13, s12, 31
	s_delay_alu instid0(SALU_CYCLE_1) | instskip(NEXT) | instid1(SALU_CYCLE_1)
	s_lshl_b64 s[4:5], s[12:13], 2
	s_add_u32 s6, s6, s4
	s_addc_u32 s7, s7, s5
	s_add_u32 s9, s6, 4
	s_addc_u32 s10, s7, 0
	;; [unrolled: 2-line block ×3, first 2 shown]
	s_cmp_eq_u64 s[0:1], 0
	s_cselect_b32 s1, s10, s5
	s_cselect_b32 s0, s9, s4
	s_load_b32 s6, s[6:7], 0x0
	s_load_b32 s7, s[0:1], 0x0
	s_load_b64 s[4:5], s[2:3], 0x60
	s_waitcnt lgkmcnt(0)
	s_cmp_ge_i32 s6, s7
	s_cbranch_scc1 .LBB62_14
; %bb.10:
	s_clause 0x1
	s_load_b128 s[16:19], s[2:3], 0x38
	s_load_b64 s[0:1], s[2:3], 0x48
	s_sub_i32 s2, s6, s14
	s_sub_i32 s9, s7, s14
	v_and_b32_e32 v0, 0xffff, v16
	v_dual_mov_b32 v2, 0 :: v_dual_and_b32 v1, 0xffff, v13
	s_mul_i32 s7, s2, 0x3c10
	v_mov_b32_e32 v3, 0
	s_ashr_i32 s3, s2, 31
	s_mul_hi_i32 s6, s2, 0x3c10
	v_dual_cndmask_b32 v13, v0, v1 :: v_dual_mov_b32 v0, v2
	s_delay_alu instid0(VALU_DEP_2)
	v_mov_b32_e32 v1, v3
	s_waitcnt lgkmcnt(0)
	s_add_u32 s10, s18, s7
	s_addc_u32 s11, s19, s6
	s_lshl_b64 s[6:7], s[2:3], 2
	v_add_co_u32 v14, s3, s10, v17
	s_delay_alu instid0(VALU_DEP_1)
	v_add_co_ci_u32_e64 v15, null, s11, 0, s3
	s_add_u32 s6, s16, s6
	s_addc_u32 s7, s17, s7
	s_set_inst_prefetch_distance 0x1
	s_branch .LBB62_12
	.p2align	6
.LBB62_11:                              ;   in Loop: Header=BB62_12 Depth=1
	s_add_i32 s2, s2, 1
	s_add_u32 s6, s6, 4
	s_addc_u32 s7, s7, 0
	s_cmp_lt_i32 s2, s9
	s_cbranch_scc0 .LBB62_14
.LBB62_12:                              ; =>This Inner Loop Header: Depth=1
	s_cmp_ge_i32 s2, s9
	s_cbranch_scc1 .LBB62_11
; %bb.13:                               ;   in Loop: Header=BB62_12 Depth=1
	s_load_b32 s3, s[6:7], 0x0
	s_waitcnt lgkmcnt(0)
	s_sub_i32 s3, s3, s14
	s_delay_alu instid0(SALU_CYCLE_1) | instskip(NEXT) | instid1(VALU_DEP_1)
	v_mad_u64_u32 v[18:19], null, s3, 31, v[13:14]
	v_ashrrev_i32_e32 v19, 31, v18
	s_delay_alu instid0(VALU_DEP_1) | instskip(NEXT) | instid1(VALU_DEP_1)
	v_lshlrev_b64 v[18:19], 4, v[18:19]
	v_add_co_u32 v22, vcc_lo, s0, v18
	s_delay_alu instid0(VALU_DEP_2)
	v_add_co_ci_u32_e32 v23, vcc_lo, s1, v19, vcc_lo
	global_load_b128 v[18:21], v[14:15], off
	global_load_b128 v[22:25], v[22:23], off
	v_add_co_u32 v14, vcc_lo, 0x3c10, v14
	v_add_co_ci_u32_e32 v15, vcc_lo, 0, v15, vcc_lo
	s_waitcnt vmcnt(0)
	v_fma_f64 v[0:1], v[18:19], v[22:23], v[0:1]
	v_fma_f64 v[2:3], v[20:21], v[22:23], v[2:3]
	s_delay_alu instid0(VALU_DEP_2) | instskip(NEXT) | instid1(VALU_DEP_2)
	v_fma_f64 v[0:1], -v[20:21], v[24:25], v[0:1]
	v_fma_f64 v[2:3], v[18:19], v[24:25], v[2:3]
	s_branch .LBB62_11
.LBB62_14:
	s_set_inst_prefetch_distance 0x2
	s_and_b32 vcc_lo, exec_lo, s8
	ds_store_b128 v17, v[0:3]
	s_waitcnt vmcnt(0) lgkmcnt(0)
	s_barrier
	buffer_gl0_inv
	s_cbranch_vccz .LBB62_26
; %bb.15:
	s_mov_b32 s0, exec_lo
	v_cmpx_gt_u16_e32 15, v16
	s_cbranch_execz .LBB62_17
; %bb.16:
	ds_load_b128 v[18:21], v17 offset:256
	ds_load_b128 v[22:25], v17
	s_waitcnt lgkmcnt(0)
	v_add_f64 v[18:19], v[18:19], v[22:23]
	v_add_f64 v[20:21], v[20:21], v[24:25]
	ds_store_b128 v17, v[18:21]
.LBB62_17:
	s_or_b32 exec_lo, exec_lo, s0
	s_delay_alu instid0(SALU_CYCLE_1)
	s_mov_b32 s0, exec_lo
	s_waitcnt lgkmcnt(0)
	s_barrier
	buffer_gl0_inv
	v_cmpx_gt_u16_e32 8, v16
	s_cbranch_execz .LBB62_19
; %bb.18:
	ds_load_b128 v[18:21], v17 offset:128
	ds_load_b128 v[22:25], v17
	s_waitcnt lgkmcnt(0)
	v_add_f64 v[18:19], v[18:19], v[22:23]
	v_add_f64 v[20:21], v[20:21], v[24:25]
	ds_store_b128 v17, v[18:21]
.LBB62_19:
	s_or_b32 exec_lo, exec_lo, s0
	s_delay_alu instid0(SALU_CYCLE_1)
	s_mov_b32 s0, exec_lo
	s_waitcnt lgkmcnt(0)
	s_barrier
	buffer_gl0_inv
	;; [unrolled: 16-line block ×3, first 2 shown]
	v_cmpx_gt_u16_e32 2, v16
	s_cbranch_execz .LBB62_23
; %bb.22:
	ds_load_b128 v[13:16], v17
	ds_load_b128 v[18:21], v17 offset:32
	s_waitcnt lgkmcnt(0)
	v_add_f64 v[13:14], v[18:19], v[13:14]
	v_add_f64 v[15:16], v[20:21], v[15:16]
	ds_store_b128 v17, v[13:16]
.LBB62_23:
	s_or_b32 exec_lo, exec_lo, s0
	v_dual_mov_b32 v16, v3 :: v_dual_mov_b32 v15, v2
	v_dual_mov_b32 v14, v1 :: v_dual_mov_b32 v13, v0
	s_mov_b32 s0, exec_lo
	s_waitcnt lgkmcnt(0)
	s_barrier
	buffer_gl0_inv
	v_cmpx_gt_u32_e32 31, v4
	s_cbranch_execz .LBB62_25
; %bb.24:
	v_mul_u32_u24_e32 v13, 31, v4
	s_delay_alu instid0(VALU_DEP_1)
	v_lshlrev_b32_e32 v18, 4, v13
	ds_load_b128 v[13:16], v18
	ds_load_b128 v[18:21], v18 offset:16
	s_waitcnt lgkmcnt(0)
	v_add_f64 v[13:14], v[18:19], v[13:14]
	v_add_f64 v[15:16], v[20:21], v[15:16]
.LBB62_25:
	s_or_b32 exec_lo, exec_lo, s0
	s_branch .LBB62_38
.LBB62_26:
                                        ; implicit-def: $vgpr15_vgpr16
                                        ; implicit-def: $vgpr13_vgpr14
	s_cbranch_execz .LBB62_38
; %bb.27:
	s_mov_b32 s0, exec_lo
	v_cmpx_gt_u32_e32 0x1d1, v4
	s_cbranch_execz .LBB62_29
; %bb.28:
	ds_load_b128 v[13:16], v17 offset:7936
	ds_load_b128 v[18:21], v17
	s_waitcnt lgkmcnt(0)
	v_add_f64 v[13:14], v[13:14], v[18:19]
	v_add_f64 v[15:16], v[15:16], v[20:21]
	ds_store_b128 v17, v[13:16]
.LBB62_29:
	s_or_b32 exec_lo, exec_lo, s0
	s_delay_alu instid0(SALU_CYCLE_1)
	s_mov_b32 s0, exec_lo
	s_waitcnt lgkmcnt(0)
	s_barrier
	buffer_gl0_inv
	v_cmpx_gt_u32_e32 0xf8, v4
	s_cbranch_execz .LBB62_31
; %bb.30:
	ds_load_b128 v[13:16], v17 offset:3968
	ds_load_b128 v[18:21], v17
	s_waitcnt lgkmcnt(0)
	v_add_f64 v[13:14], v[13:14], v[18:19]
	v_add_f64 v[15:16], v[15:16], v[20:21]
	ds_store_b128 v17, v[13:16]
.LBB62_31:
	s_or_b32 exec_lo, exec_lo, s0
	s_delay_alu instid0(SALU_CYCLE_1)
	s_mov_b32 s0, exec_lo
	s_waitcnt lgkmcnt(0)
	s_barrier
	buffer_gl0_inv
	;; [unrolled: 16-line block ×3, first 2 shown]
	v_cmpx_gt_u32_e32 62, v4
	s_cbranch_execz .LBB62_35
; %bb.34:
	ds_load_b128 v[13:16], v17 offset:992
	ds_load_b128 v[18:21], v17
	s_waitcnt lgkmcnt(0)
	v_add_f64 v[13:14], v[13:14], v[18:19]
	v_add_f64 v[15:16], v[15:16], v[20:21]
	ds_store_b128 v17, v[13:16]
.LBB62_35:
	s_or_b32 exec_lo, exec_lo, s0
	s_delay_alu instid0(SALU_CYCLE_1)
	s_mov_b32 s0, exec_lo
	s_waitcnt lgkmcnt(0)
	buffer_gl0_inv
	v_cmpx_gt_u32_e32 31, v4
	s_cbranch_execz .LBB62_37
; %bb.36:
	ds_load_b128 v[0:3], v17 offset:496
	ds_load_b128 v[13:16], v17
	s_waitcnt lgkmcnt(0)
	v_add_f64 v[0:1], v[0:1], v[13:14]
	v_add_f64 v[2:3], v[2:3], v[15:16]
.LBB62_37:
	s_or_b32 exec_lo, exec_lo, s0
	s_delay_alu instid0(VALU_DEP_1) | instskip(NEXT) | instid1(VALU_DEP_3)
	v_dual_mov_b32 v16, v3 :: v_dual_mov_b32 v15, v2
	v_dual_mov_b32 v14, v1 :: v_dual_mov_b32 v13, v0
.LBB62_38:
	v_cmp_gt_u32_e32 vcc_lo, 31, v4
	s_and_b32 exec_lo, exec_lo, vcc_lo
	s_cbranch_execz .LBB62_43
; %bb.39:
	s_delay_alu instid0(VALU_DEP_2) | instskip(SKIP_3) | instid1(VALU_DEP_4)
	v_mul_f64 v[0:1], v[15:16], -v[11:12]
	v_mul_f64 v[2:3], v[9:10], v[15:16]
	v_cmp_eq_f64_e32 vcc_lo, 0, v[5:6]
	v_cmp_eq_f64_e64 s0, 0, v[7:8]
	v_fma_f64 v[0:1], v[9:10], v[13:14], v[0:1]
	s_delay_alu instid0(VALU_DEP_4) | instskip(NEXT) | instid1(VALU_DEP_3)
	v_fma_f64 v[2:3], v[11:12], v[13:14], v[2:3]
	s_and_b32 s0, vcc_lo, s0
	s_delay_alu instid0(SALU_CYCLE_1) | instskip(NEXT) | instid1(SALU_CYCLE_1)
	s_and_saveexec_b32 s1, s0
	s_xor_b32 s0, exec_lo, s1
	s_cbranch_execz .LBB62_41
; %bb.40:
	v_mad_u64_u32 v[5:6], null, s12, 31, v[4:5]
	v_mov_b32_e32 v6, 0
                                        ; implicit-def: $vgpr7_vgpr8
	s_delay_alu instid0(VALU_DEP_1) | instskip(NEXT) | instid1(VALU_DEP_1)
	v_lshlrev_b64 v[4:5], 4, v[5:6]
	v_add_co_u32 v4, vcc_lo, s4, v4
	s_delay_alu instid0(VALU_DEP_2)
	v_add_co_ci_u32_e32 v5, vcc_lo, s5, v5, vcc_lo
	global_store_b128 v[4:5], v[0:3], off
                                        ; implicit-def: $vgpr4
                                        ; implicit-def: $vgpr5_vgpr6
                                        ; implicit-def: $vgpr0_vgpr1
.LBB62_41:
	s_and_not1_saveexec_b32 s0, s0
	s_cbranch_execz .LBB62_43
; %bb.42:
	v_mad_u64_u32 v[9:10], null, s12, 31, v[4:5]
	v_mov_b32_e32 v10, 0
	s_delay_alu instid0(VALU_DEP_1) | instskip(NEXT) | instid1(VALU_DEP_1)
	v_lshlrev_b64 v[9:10], 4, v[9:10]
	v_add_co_u32 v13, vcc_lo, s4, v9
	s_delay_alu instid0(VALU_DEP_2) | instskip(SKIP_4) | instid1(VALU_DEP_2)
	v_add_co_ci_u32_e32 v14, vcc_lo, s5, v10, vcc_lo
	global_load_b128 v[9:12], v[13:14], off
	s_waitcnt vmcnt(0)
	v_fma_f64 v[0:1], v[5:6], v[9:10], v[0:1]
	v_fma_f64 v[2:3], v[7:8], v[9:10], v[2:3]
	v_fma_f64 v[0:1], -v[7:8], v[11:12], v[0:1]
	s_delay_alu instid0(VALU_DEP_2)
	v_fma_f64 v[2:3], v[5:6], v[11:12], v[2:3]
	global_store_b128 v[13:14], v[0:3], off
.LBB62_43:
	s_nop 0
	s_sendmsg sendmsg(MSG_DEALLOC_VGPRS)
	s_endpgm
	.section	.rodata,"a",@progbits
	.p2align	6, 0x0
	.amdhsa_kernel _ZN9rocsparseL20bsrxmvn_17_32_kernelILj31E21rocsparse_complex_numIdEiiS2_S2_S2_EEvT2_20rocsparse_direction_NS_24const_host_device_scalarIT0_EES3_PKS3_PKT1_SC_S9_PKT3_PKT4_S7_PT5_21rocsparse_index_base_b
		.amdhsa_group_segment_fixed_size 30752
		.amdhsa_private_segment_fixed_size 0
		.amdhsa_kernarg_size 112
		.amdhsa_user_sgpr_count 15
		.amdhsa_user_sgpr_dispatch_ptr 1
		.amdhsa_user_sgpr_queue_ptr 0
		.amdhsa_user_sgpr_kernarg_segment_ptr 1
		.amdhsa_user_sgpr_dispatch_id 0
		.amdhsa_user_sgpr_private_segment_size 0
		.amdhsa_wavefront_size32 1
		.amdhsa_uses_dynamic_stack 0
		.amdhsa_enable_private_segment 0
		.amdhsa_system_sgpr_workgroup_id_x 1
		.amdhsa_system_sgpr_workgroup_id_y 0
		.amdhsa_system_sgpr_workgroup_id_z 0
		.amdhsa_system_sgpr_workgroup_info 0
		.amdhsa_system_vgpr_workitem_id 2
		.amdhsa_next_free_vgpr 26
		.amdhsa_next_free_sgpr 20
		.amdhsa_reserve_vcc 1
		.amdhsa_float_round_mode_32 0
		.amdhsa_float_round_mode_16_64 0
		.amdhsa_float_denorm_mode_32 3
		.amdhsa_float_denorm_mode_16_64 3
		.amdhsa_dx10_clamp 1
		.amdhsa_ieee_mode 1
		.amdhsa_fp16_overflow 0
		.amdhsa_workgroup_processor_mode 1
		.amdhsa_memory_ordered 1
		.amdhsa_forward_progress 0
		.amdhsa_shared_vgpr_count 0
		.amdhsa_exception_fp_ieee_invalid_op 0
		.amdhsa_exception_fp_denorm_src 0
		.amdhsa_exception_fp_ieee_div_zero 0
		.amdhsa_exception_fp_ieee_overflow 0
		.amdhsa_exception_fp_ieee_underflow 0
		.amdhsa_exception_fp_ieee_inexact 0
		.amdhsa_exception_int_div_zero 0
	.end_amdhsa_kernel
	.section	.text._ZN9rocsparseL20bsrxmvn_17_32_kernelILj31E21rocsparse_complex_numIdEiiS2_S2_S2_EEvT2_20rocsparse_direction_NS_24const_host_device_scalarIT0_EES3_PKS3_PKT1_SC_S9_PKT3_PKT4_S7_PT5_21rocsparse_index_base_b,"axG",@progbits,_ZN9rocsparseL20bsrxmvn_17_32_kernelILj31E21rocsparse_complex_numIdEiiS2_S2_S2_EEvT2_20rocsparse_direction_NS_24const_host_device_scalarIT0_EES3_PKS3_PKT1_SC_S9_PKT3_PKT4_S7_PT5_21rocsparse_index_base_b,comdat
.Lfunc_end62:
	.size	_ZN9rocsparseL20bsrxmvn_17_32_kernelILj31E21rocsparse_complex_numIdEiiS2_S2_S2_EEvT2_20rocsparse_direction_NS_24const_host_device_scalarIT0_EES3_PKS3_PKT1_SC_S9_PKT3_PKT4_S7_PT5_21rocsparse_index_base_b, .Lfunc_end62-_ZN9rocsparseL20bsrxmvn_17_32_kernelILj31E21rocsparse_complex_numIdEiiS2_S2_S2_EEvT2_20rocsparse_direction_NS_24const_host_device_scalarIT0_EES3_PKS3_PKT1_SC_S9_PKT3_PKT4_S7_PT5_21rocsparse_index_base_b
                                        ; -- End function
	.section	.AMDGPU.csdata,"",@progbits
; Kernel info:
; codeLenInByte = 1992
; NumSgprs: 22
; NumVgprs: 26
; ScratchSize: 0
; MemoryBound: 0
; FloatMode: 240
; IeeeMode: 1
; LDSByteSize: 30752 bytes/workgroup (compile time only)
; SGPRBlocks: 2
; VGPRBlocks: 3
; NumSGPRsForWavesPerEU: 22
; NumVGPRsForWavesPerEU: 26
; Occupancy: 16
; WaveLimiterHint : 1
; COMPUTE_PGM_RSRC2:SCRATCH_EN: 0
; COMPUTE_PGM_RSRC2:USER_SGPR: 15
; COMPUTE_PGM_RSRC2:TRAP_HANDLER: 0
; COMPUTE_PGM_RSRC2:TGID_X_EN: 1
; COMPUTE_PGM_RSRC2:TGID_Y_EN: 0
; COMPUTE_PGM_RSRC2:TGID_Z_EN: 0
; COMPUTE_PGM_RSRC2:TIDIG_COMP_CNT: 2
	.section	.text._ZN9rocsparseL20bsrxmvn_17_32_kernelILj32E21rocsparse_complex_numIdEiiS2_S2_S2_EEvT2_20rocsparse_direction_NS_24const_host_device_scalarIT0_EES3_PKS3_PKT1_SC_S9_PKT3_PKT4_S7_PT5_21rocsparse_index_base_b,"axG",@progbits,_ZN9rocsparseL20bsrxmvn_17_32_kernelILj32E21rocsparse_complex_numIdEiiS2_S2_S2_EEvT2_20rocsparse_direction_NS_24const_host_device_scalarIT0_EES3_PKS3_PKT1_SC_S9_PKT3_PKT4_S7_PT5_21rocsparse_index_base_b,comdat
	.globl	_ZN9rocsparseL20bsrxmvn_17_32_kernelILj32E21rocsparse_complex_numIdEiiS2_S2_S2_EEvT2_20rocsparse_direction_NS_24const_host_device_scalarIT0_EES3_PKS3_PKT1_SC_S9_PKT3_PKT4_S7_PT5_21rocsparse_index_base_b ; -- Begin function _ZN9rocsparseL20bsrxmvn_17_32_kernelILj32E21rocsparse_complex_numIdEiiS2_S2_S2_EEvT2_20rocsparse_direction_NS_24const_host_device_scalarIT0_EES3_PKS3_PKT1_SC_S9_PKT3_PKT4_S7_PT5_21rocsparse_index_base_b
	.p2align	8
	.type	_ZN9rocsparseL20bsrxmvn_17_32_kernelILj32E21rocsparse_complex_numIdEiiS2_S2_S2_EEvT2_20rocsparse_direction_NS_24const_host_device_scalarIT0_EES3_PKS3_PKT1_SC_S9_PKT3_PKT4_S7_PT5_21rocsparse_index_base_b,@function
_ZN9rocsparseL20bsrxmvn_17_32_kernelILj32E21rocsparse_complex_numIdEiiS2_S2_S2_EEvT2_20rocsparse_direction_NS_24const_host_device_scalarIT0_EES3_PKS3_PKT1_SC_S9_PKT3_PKT4_S7_PT5_21rocsparse_index_base_b: ; @_ZN9rocsparseL20bsrxmvn_17_32_kernelILj32E21rocsparse_complex_numIdEiiS2_S2_S2_EEvT2_20rocsparse_direction_NS_24const_host_device_scalarIT0_EES3_PKS3_PKT1_SC_S9_PKT3_PKT4_S7_PT5_21rocsparse_index_base_b
; %bb.0:
	s_mov_b32 s12, s15
	s_clause 0x1
	s_load_b64 s[14:15], s[2:3], 0x68
	s_load_b128 s[4:7], s[2:3], 0x8
	s_load_b64 s[16:17], s[0:1], 0x4
	s_mov_b64 s[0:1], src_shared_base
	v_and_b32_e32 v16, 0x3ff, v0
	s_load_b128 s[8:11], s[2:3], 0x50
	v_bfe_u32 v2, v0, 10, 10
	v_bfe_u32 v0, v0, 20, 10
	s_waitcnt lgkmcnt(0)
	s_bitcmp1_b32 s15, 0
	v_mov_b32_e32 v11, s7
	s_cselect_b32 s0, -1, 0
	v_mov_b32_e32 v10, s6
	s_and_b32 vcc_lo, s0, exec_lo
	s_cselect_b32 s13, s1, s5
	s_lshr_b32 s15, s16, 16
	s_xor_b32 s6, s0, -1
	s_mul_i32 s15, s15, s17
	v_mov_b32_e32 v5, s13
	v_mul_lo_u32 v1, s15, v16
	s_delay_alu instid0(VALU_DEP_1) | instskip(SKIP_1) | instid1(VALU_DEP_2)
	v_mad_u32_u24 v1, v2, s17, v1
	v_dual_mov_b32 v2, s8 :: v_dual_mov_b32 v3, s9
	v_add_lshl_u32 v6, v1, v0, 3
	v_dual_mov_b32 v0, s4 :: v_dual_mov_b32 v1, s5
	s_delay_alu instid0(VALU_DEP_2)
	v_add_nc_u32_e32 v4, 0x6000, v6
	ds_store_2addr_stride64_b64 v6, v[2:3], v[0:1] offset0:32 offset1:48
	v_add_nc_u32_e32 v0, 0x4000, v6
	v_cndmask_b32_e64 v4, s4, v4, s0
	flat_load_b64 v[8:9], v[4:5]
	s_cbranch_vccnz .LBB63_2
; %bb.1:
	v_dual_mov_b32 v1, s4 :: v_dual_mov_b32 v2, s5
	flat_load_b64 v[10:11], v[1:2] offset:8
.LBB63_2:
	s_and_b32 s4, s0, exec_lo
	s_cselect_b32 s1, s1, s9
	v_cndmask_b32_e64 v0, s8, v0, s0
	v_dual_mov_b32 v1, s1 :: v_dual_mov_b32 v6, s10
	v_mov_b32_e32 v7, s11
	s_and_not1_b32 vcc_lo, exec_lo, s6
	flat_load_b64 v[4:5], v[0:1]
	s_cbranch_vccnz .LBB63_4
; %bb.3:
	v_dual_mov_b32 v0, s8 :: v_dual_mov_b32 v1, s9
	flat_load_b64 v[6:7], v[0:1] offset:8
.LBB63_4:
	s_waitcnt vmcnt(1) lgkmcnt(1)
	v_cmp_eq_f64_e32 vcc_lo, 0, v[8:9]
	v_cmp_eq_f64_e64 s0, 0, v[10:11]
	s_delay_alu instid0(VALU_DEP_1)
	s_and_b32 s4, vcc_lo, s0
	s_mov_b32 s0, -1
	s_and_saveexec_b32 s1, s4
	s_cbranch_execz .LBB63_6
; %bb.5:
	s_waitcnt vmcnt(0) lgkmcnt(0)
	v_cmp_neq_f64_e32 vcc_lo, 1.0, v[4:5]
	v_cmp_neq_f64_e64 s0, 0, v[6:7]
	s_delay_alu instid0(VALU_DEP_1) | instskip(NEXT) | instid1(SALU_CYCLE_1)
	s_or_b32 s0, vcc_lo, s0
	s_or_not1_b32 s0, s0, exec_lo
.LBB63_6:
	s_or_b32 exec_lo, exec_lo, s1
	s_and_saveexec_b32 s1, s0
	s_cbranch_execz .LBB63_41
; %bb.7:
	s_clause 0x1
	s_load_b128 s[4:7], s[2:3], 0x20
	s_load_b64 s[0:1], s[2:3], 0x30
	s_waitcnt lgkmcnt(0)
	s_cmp_eq_u64 s[4:5], 0
	s_cbranch_scc1 .LBB63_9
; %bb.8:
	s_ashr_i32 s13, s12, 31
	s_delay_alu instid0(SALU_CYCLE_1) | instskip(NEXT) | instid1(SALU_CYCLE_1)
	s_lshl_b64 s[8:9], s[12:13], 2
	s_add_u32 s4, s4, s8
	s_addc_u32 s5, s5, s9
	s_load_b32 s4, s[4:5], 0x0
	s_waitcnt lgkmcnt(0)
	s_sub_i32 s12, s4, s14
.LBB63_9:
	s_load_b32 s4, s[2:3], 0x4
	v_mov_b32_e32 v2, 0
	v_dual_mov_b32 v3, 0 :: v_dual_and_b32 v14, 31, v16
	s_delay_alu instid0(VALU_DEP_1)
	v_dual_mov_b32 v0, v2 :: v_dual_mov_b32 v1, v3
	s_waitcnt lgkmcnt(0)
	s_cmp_eq_u32 s4, 1
	s_cselect_b32 vcc_lo, -1, 0
	s_cmp_lg_u32 s4, 1
	s_cselect_b32 s8, -1, 0
	s_ashr_i32 s13, s12, 31
	s_delay_alu instid0(SALU_CYCLE_1) | instskip(NEXT) | instid1(SALU_CYCLE_1)
	s_lshl_b64 s[4:5], s[12:13], 2
	s_add_u32 s6, s6, s4
	s_addc_u32 s7, s7, s5
	s_add_u32 s9, s6, 4
	s_addc_u32 s10, s7, 0
	;; [unrolled: 2-line block ×3, first 2 shown]
	s_cmp_eq_u64 s[0:1], 0
	s_cselect_b32 s1, s10, s5
	s_cselect_b32 s0, s9, s4
	s_load_b32 s7, s[6:7], 0x0
	s_load_b32 s6, s[0:1], 0x0
	s_load_b64 s[4:5], s[2:3], 0x60
	s_waitcnt lgkmcnt(0)
	s_cmp_ge_i32 s7, s6
	s_cbranch_scc1 .LBB63_12
; %bb.10:
	s_clause 0x1
	s_load_b128 s[16:19], s[2:3], 0x38
	s_load_b64 s[0:1], s[2:3], 0x48
	s_sub_i32 s2, s7, s14
	v_lshrrev_b32_e32 v0, 5, v16
	s_ashr_i32 s3, s2, 31
	s_delay_alu instid0(SALU_CYCLE_1) | instskip(NEXT) | instid1(SALU_CYCLE_1)
	s_lshl_b64 s[10:11], s[2:3], 14
	v_dual_mov_b32 v2, 0 :: v_dual_mov_b32 v13, s11
	v_lshl_or_b32 v1, v16, 4, s10
	v_mov_b32_e32 v3, 0
	v_cndmask_b32_e32 v15, v14, v0, vcc_lo
	s_lshl_b64 s[20:21], s[2:3], 2
	s_sub_i32 s3, s6, s14
	s_waitcnt lgkmcnt(0)
	v_add_co_u32 v12, vcc_lo, s18, v1
	v_add_co_ci_u32_e32 v13, vcc_lo, s19, v13, vcc_lo
	v_dual_mov_b32 v0, v2 :: v_dual_mov_b32 v1, v3
	s_add_u32 s6, s16, s20
	s_addc_u32 s7, s17, s21
	.p2align	6
.LBB63_11:                              ; =>This Inner Loop Header: Depth=1
	s_load_b32 s9, s[6:7], 0x0
	s_add_i32 s2, s2, 1
	s_waitcnt lgkmcnt(0)
	s_sub_i32 s9, s9, s14
	s_add_u32 s6, s6, 4
	v_lshl_or_b32 v17, s9, 5, v15
	s_addc_u32 s7, s7, 0
	s_cmp_lt_i32 s2, s3
	s_delay_alu instid0(VALU_DEP_1) | instskip(NEXT) | instid1(VALU_DEP_1)
	v_ashrrev_i32_e32 v18, 31, v17
	v_lshlrev_b64 v[17:18], 4, v[17:18]
	s_delay_alu instid0(VALU_DEP_1) | instskip(NEXT) | instid1(VALU_DEP_2)
	v_add_co_u32 v21, vcc_lo, s0, v17
	v_add_co_ci_u32_e32 v22, vcc_lo, s1, v18, vcc_lo
	global_load_b128 v[17:20], v[12:13], off
	global_load_b128 v[21:24], v[21:22], off
	v_add_co_u32 v12, vcc_lo, 0x4000, v12
	v_add_co_ci_u32_e32 v13, vcc_lo, 0, v13, vcc_lo
	s_waitcnt vmcnt(0)
	v_fma_f64 v[0:1], v[17:18], v[21:22], v[0:1]
	v_fma_f64 v[2:3], v[19:20], v[21:22], v[2:3]
	s_delay_alu instid0(VALU_DEP_2) | instskip(NEXT) | instid1(VALU_DEP_2)
	v_fma_f64 v[0:1], -v[19:20], v[23:24], v[0:1]
	v_fma_f64 v[2:3], v[17:18], v[23:24], v[2:3]
	s_cbranch_scc1 .LBB63_11
.LBB63_12:
	v_lshlrev_b32_e32 v17, 4, v16
	s_and_b32 vcc_lo, exec_lo, s8
	ds_store_b128 v17, v[0:3]
	s_waitcnt vmcnt(0) lgkmcnt(0)
	s_barrier
	buffer_gl0_inv
	s_cbranch_vccz .LBB63_24
; %bb.13:
	s_mov_b32 s0, exec_lo
	v_cmpx_gt_u32_e32 16, v14
	s_cbranch_execz .LBB63_15
; %bb.14:
	ds_load_b128 v[18:21], v17 offset:256
	ds_load_b128 v[22:25], v17
	s_waitcnt lgkmcnt(0)
	v_add_f64 v[18:19], v[18:19], v[22:23]
	v_add_f64 v[20:21], v[20:21], v[24:25]
	ds_store_b128 v17, v[18:21]
.LBB63_15:
	s_or_b32 exec_lo, exec_lo, s0
	s_delay_alu instid0(SALU_CYCLE_1)
	s_mov_b32 s0, exec_lo
	s_waitcnt lgkmcnt(0)
	s_barrier
	buffer_gl0_inv
	v_cmpx_gt_u32_e32 8, v14
	s_cbranch_execz .LBB63_17
; %bb.16:
	ds_load_b128 v[18:21], v17 offset:128
	ds_load_b128 v[22:25], v17
	s_waitcnt lgkmcnt(0)
	v_add_f64 v[18:19], v[18:19], v[22:23]
	v_add_f64 v[20:21], v[20:21], v[24:25]
	ds_store_b128 v17, v[18:21]
.LBB63_17:
	s_or_b32 exec_lo, exec_lo, s0
	s_delay_alu instid0(SALU_CYCLE_1)
	s_mov_b32 s0, exec_lo
	s_waitcnt lgkmcnt(0)
	s_barrier
	buffer_gl0_inv
	;; [unrolled: 16-line block ×3, first 2 shown]
	v_cmpx_gt_u32_e32 2, v14
	s_cbranch_execz .LBB63_21
; %bb.20:
	ds_load_b128 v[12:15], v17
	ds_load_b128 v[18:21], v17 offset:32
	s_waitcnt lgkmcnt(0)
	v_add_f64 v[12:13], v[18:19], v[12:13]
	v_add_f64 v[14:15], v[20:21], v[14:15]
	ds_store_b128 v17, v[12:15]
.LBB63_21:
	s_or_b32 exec_lo, exec_lo, s0
	v_dual_mov_b32 v15, v3 :: v_dual_mov_b32 v14, v2
	v_dual_mov_b32 v13, v1 :: v_dual_mov_b32 v12, v0
	s_mov_b32 s0, exec_lo
	s_waitcnt lgkmcnt(0)
	s_barrier
	buffer_gl0_inv
	v_cmpx_gt_u32_e32 32, v16
	s_cbranch_execz .LBB63_23
; %bb.22:
	v_mad_u32_u24 v18, 0x1f0, v16, v17
	ds_load_b128 v[12:15], v18
	ds_load_b128 v[18:21], v18 offset:16
	s_waitcnt lgkmcnt(0)
	v_add_f64 v[12:13], v[18:19], v[12:13]
	v_add_f64 v[14:15], v[20:21], v[14:15]
.LBB63_23:
	s_or_b32 exec_lo, exec_lo, s0
	s_branch .LBB63_36
.LBB63_24:
                                        ; implicit-def: $vgpr14_vgpr15
                                        ; implicit-def: $vgpr12_vgpr13
	s_cbranch_execz .LBB63_36
; %bb.25:
	s_mov_b32 s0, exec_lo
	v_cmpx_gt_u32_e32 0x200, v16
	s_cbranch_execz .LBB63_27
; %bb.26:
	ds_load_b128 v[12:15], v17 offset:8192
	ds_load_b128 v[18:21], v17
	s_waitcnt lgkmcnt(0)
	v_add_f64 v[12:13], v[12:13], v[18:19]
	v_add_f64 v[14:15], v[14:15], v[20:21]
	ds_store_b128 v17, v[12:15]
.LBB63_27:
	s_or_b32 exec_lo, exec_lo, s0
	s_delay_alu instid0(SALU_CYCLE_1)
	s_mov_b32 s0, exec_lo
	s_waitcnt lgkmcnt(0)
	s_barrier
	buffer_gl0_inv
	v_cmpx_gt_u32_e32 0x100, v16
	s_cbranch_execz .LBB63_29
; %bb.28:
	ds_load_b128 v[12:15], v17 offset:4096
	ds_load_b128 v[18:21], v17
	s_waitcnt lgkmcnt(0)
	v_add_f64 v[12:13], v[12:13], v[18:19]
	v_add_f64 v[14:15], v[14:15], v[20:21]
	ds_store_b128 v17, v[12:15]
.LBB63_29:
	s_or_b32 exec_lo, exec_lo, s0
	s_delay_alu instid0(SALU_CYCLE_1)
	s_mov_b32 s0, exec_lo
	s_waitcnt lgkmcnt(0)
	s_barrier
	buffer_gl0_inv
	v_cmpx_gt_u32_e32 0x80, v16
	s_cbranch_execz .LBB63_31
; %bb.30:
	ds_load_b128 v[12:15], v17 offset:2048
	ds_load_b128 v[18:21], v17
	s_waitcnt lgkmcnt(0)
	v_add_f64 v[12:13], v[12:13], v[18:19]
	v_add_f64 v[14:15], v[14:15], v[20:21]
	ds_store_b128 v17, v[12:15]
.LBB63_31:
	s_or_b32 exec_lo, exec_lo, s0
	s_delay_alu instid0(SALU_CYCLE_1)
	s_mov_b32 s0, exec_lo
	s_waitcnt lgkmcnt(0)
	s_barrier
	buffer_gl0_inv
	v_cmpx_gt_u32_e32 64, v16
	s_cbranch_execz .LBB63_33
; %bb.32:
	ds_load_b128 v[12:15], v17 offset:1024
	ds_load_b128 v[18:21], v17
	s_waitcnt lgkmcnt(0)
	v_add_f64 v[12:13], v[12:13], v[18:19]
	v_add_f64 v[14:15], v[14:15], v[20:21]
	ds_store_b128 v17, v[12:15]
.LBB63_33:
	s_or_b32 exec_lo, exec_lo, s0
	s_delay_alu instid0(SALU_CYCLE_1)
	s_mov_b32 s0, exec_lo
	s_waitcnt lgkmcnt(0)
	buffer_gl0_inv
	v_cmpx_gt_u32_e32 32, v16
	s_cbranch_execz .LBB63_35
; %bb.34:
	ds_load_b128 v[0:3], v17 offset:512
	ds_load_b128 v[12:15], v17
	s_waitcnt lgkmcnt(0)
	v_add_f64 v[0:1], v[0:1], v[12:13]
	v_add_f64 v[2:3], v[2:3], v[14:15]
.LBB63_35:
	s_or_b32 exec_lo, exec_lo, s0
	s_delay_alu instid0(VALU_DEP_1) | instskip(NEXT) | instid1(VALU_DEP_3)
	v_dual_mov_b32 v15, v3 :: v_dual_mov_b32 v14, v2
	v_dual_mov_b32 v13, v1 :: v_dual_mov_b32 v12, v0
.LBB63_36:
	v_cmp_gt_u32_e32 vcc_lo, 32, v16
	s_and_b32 exec_lo, exec_lo, vcc_lo
	s_cbranch_execz .LBB63_41
; %bb.37:
	s_delay_alu instid0(VALU_DEP_2) | instskip(SKIP_3) | instid1(VALU_DEP_4)
	v_mul_f64 v[0:1], v[14:15], -v[10:11]
	v_mul_f64 v[2:3], v[8:9], v[14:15]
	v_cmp_eq_f64_e32 vcc_lo, 0, v[4:5]
	v_cmp_eq_f64_e64 s0, 0, v[6:7]
	v_fma_f64 v[0:1], v[8:9], v[12:13], v[0:1]
	s_delay_alu instid0(VALU_DEP_4) | instskip(SKIP_1) | instid1(VALU_DEP_4)
	v_fma_f64 v[2:3], v[10:11], v[12:13], v[2:3]
	v_lshl_or_b32 v8, s12, 5, v16
	s_and_b32 s0, vcc_lo, s0
	s_delay_alu instid0(SALU_CYCLE_1) | instskip(NEXT) | instid1(SALU_CYCLE_1)
	s_and_saveexec_b32 s1, s0
	s_xor_b32 s0, exec_lo, s1
	s_cbranch_execz .LBB63_39
; %bb.38:
	v_mov_b32_e32 v9, 0
                                        ; implicit-def: $vgpr6_vgpr7
	s_delay_alu instid0(VALU_DEP_1) | instskip(NEXT) | instid1(VALU_DEP_1)
	v_lshlrev_b64 v[4:5], 4, v[8:9]
                                        ; implicit-def: $vgpr8
	v_add_co_u32 v4, vcc_lo, s4, v4
	s_delay_alu instid0(VALU_DEP_2)
	v_add_co_ci_u32_e32 v5, vcc_lo, s5, v5, vcc_lo
	global_store_b128 v[4:5], v[0:3], off
                                        ; implicit-def: $vgpr4_vgpr5
                                        ; implicit-def: $vgpr0_vgpr1
.LBB63_39:
	s_and_not1_saveexec_b32 s0, s0
	s_cbranch_execz .LBB63_41
; %bb.40:
	v_mov_b32_e32 v9, 0
	s_delay_alu instid0(VALU_DEP_1) | instskip(NEXT) | instid1(VALU_DEP_1)
	v_lshlrev_b64 v[8:9], 4, v[8:9]
	v_add_co_u32 v12, vcc_lo, s4, v8
	s_delay_alu instid0(VALU_DEP_2) | instskip(SKIP_4) | instid1(VALU_DEP_2)
	v_add_co_ci_u32_e32 v13, vcc_lo, s5, v9, vcc_lo
	global_load_b128 v[8:11], v[12:13], off
	s_waitcnt vmcnt(0)
	v_fma_f64 v[0:1], v[4:5], v[8:9], v[0:1]
	v_fma_f64 v[2:3], v[6:7], v[8:9], v[2:3]
	v_fma_f64 v[0:1], -v[6:7], v[10:11], v[0:1]
	s_delay_alu instid0(VALU_DEP_2)
	v_fma_f64 v[2:3], v[4:5], v[10:11], v[2:3]
	global_store_b128 v[12:13], v[0:3], off
.LBB63_41:
	s_nop 0
	s_sendmsg sendmsg(MSG_DEALLOC_VGPRS)
	s_endpgm
	.section	.rodata,"a",@progbits
	.p2align	6, 0x0
	.amdhsa_kernel _ZN9rocsparseL20bsrxmvn_17_32_kernelILj32E21rocsparse_complex_numIdEiiS2_S2_S2_EEvT2_20rocsparse_direction_NS_24const_host_device_scalarIT0_EES3_PKS3_PKT1_SC_S9_PKT3_PKT4_S7_PT5_21rocsparse_index_base_b
		.amdhsa_group_segment_fixed_size 32768
		.amdhsa_private_segment_fixed_size 0
		.amdhsa_kernarg_size 112
		.amdhsa_user_sgpr_count 15
		.amdhsa_user_sgpr_dispatch_ptr 1
		.amdhsa_user_sgpr_queue_ptr 0
		.amdhsa_user_sgpr_kernarg_segment_ptr 1
		.amdhsa_user_sgpr_dispatch_id 0
		.amdhsa_user_sgpr_private_segment_size 0
		.amdhsa_wavefront_size32 1
		.amdhsa_uses_dynamic_stack 0
		.amdhsa_enable_private_segment 0
		.amdhsa_system_sgpr_workgroup_id_x 1
		.amdhsa_system_sgpr_workgroup_id_y 0
		.amdhsa_system_sgpr_workgroup_id_z 0
		.amdhsa_system_sgpr_workgroup_info 0
		.amdhsa_system_vgpr_workitem_id 2
		.amdhsa_next_free_vgpr 26
		.amdhsa_next_free_sgpr 22
		.amdhsa_reserve_vcc 1
		.amdhsa_float_round_mode_32 0
		.amdhsa_float_round_mode_16_64 0
		.amdhsa_float_denorm_mode_32 3
		.amdhsa_float_denorm_mode_16_64 3
		.amdhsa_dx10_clamp 1
		.amdhsa_ieee_mode 1
		.amdhsa_fp16_overflow 0
		.amdhsa_workgroup_processor_mode 1
		.amdhsa_memory_ordered 1
		.amdhsa_forward_progress 0
		.amdhsa_shared_vgpr_count 0
		.amdhsa_exception_fp_ieee_invalid_op 0
		.amdhsa_exception_fp_denorm_src 0
		.amdhsa_exception_fp_ieee_div_zero 0
		.amdhsa_exception_fp_ieee_overflow 0
		.amdhsa_exception_fp_ieee_underflow 0
		.amdhsa_exception_fp_ieee_inexact 0
		.amdhsa_exception_int_div_zero 0
	.end_amdhsa_kernel
	.section	.text._ZN9rocsparseL20bsrxmvn_17_32_kernelILj32E21rocsparse_complex_numIdEiiS2_S2_S2_EEvT2_20rocsparse_direction_NS_24const_host_device_scalarIT0_EES3_PKS3_PKT1_SC_S9_PKT3_PKT4_S7_PT5_21rocsparse_index_base_b,"axG",@progbits,_ZN9rocsparseL20bsrxmvn_17_32_kernelILj32E21rocsparse_complex_numIdEiiS2_S2_S2_EEvT2_20rocsparse_direction_NS_24const_host_device_scalarIT0_EES3_PKS3_PKT1_SC_S9_PKT3_PKT4_S7_PT5_21rocsparse_index_base_b,comdat
.Lfunc_end63:
	.size	_ZN9rocsparseL20bsrxmvn_17_32_kernelILj32E21rocsparse_complex_numIdEiiS2_S2_S2_EEvT2_20rocsparse_direction_NS_24const_host_device_scalarIT0_EES3_PKS3_PKT1_SC_S9_PKT3_PKT4_S7_PT5_21rocsparse_index_base_b, .Lfunc_end63-_ZN9rocsparseL20bsrxmvn_17_32_kernelILj32E21rocsparse_complex_numIdEiiS2_S2_S2_EEvT2_20rocsparse_direction_NS_24const_host_device_scalarIT0_EES3_PKS3_PKT1_SC_S9_PKT3_PKT4_S7_PT5_21rocsparse_index_base_b
                                        ; -- End function
	.section	.AMDGPU.csdata,"",@progbits
; Kernel info:
; codeLenInByte = 1892
; NumSgprs: 24
; NumVgprs: 26
; ScratchSize: 0
; MemoryBound: 0
; FloatMode: 240
; IeeeMode: 1
; LDSByteSize: 32768 bytes/workgroup (compile time only)
; SGPRBlocks: 2
; VGPRBlocks: 3
; NumSGPRsForWavesPerEU: 24
; NumVGPRsForWavesPerEU: 26
; Occupancy: 16
; WaveLimiterHint : 1
; COMPUTE_PGM_RSRC2:SCRATCH_EN: 0
; COMPUTE_PGM_RSRC2:USER_SGPR: 15
; COMPUTE_PGM_RSRC2:TRAP_HANDLER: 0
; COMPUTE_PGM_RSRC2:TGID_X_EN: 1
; COMPUTE_PGM_RSRC2:TGID_Y_EN: 0
; COMPUTE_PGM_RSRC2:TGID_Z_EN: 0
; COMPUTE_PGM_RSRC2:TIDIG_COMP_CNT: 2
	.section	.text._ZN9rocsparseL20bsrxmvn_17_32_kernelILj17EflifffEEvT2_20rocsparse_direction_NS_24const_host_device_scalarIT0_EES1_PKS1_PKT1_SA_S7_PKT3_PKT4_S5_PT5_21rocsparse_index_base_b,"axG",@progbits,_ZN9rocsparseL20bsrxmvn_17_32_kernelILj17EflifffEEvT2_20rocsparse_direction_NS_24const_host_device_scalarIT0_EES1_PKS1_PKT1_SA_S7_PKT3_PKT4_S5_PT5_21rocsparse_index_base_b,comdat
	.globl	_ZN9rocsparseL20bsrxmvn_17_32_kernelILj17EflifffEEvT2_20rocsparse_direction_NS_24const_host_device_scalarIT0_EES1_PKS1_PKT1_SA_S7_PKT3_PKT4_S5_PT5_21rocsparse_index_base_b ; -- Begin function _ZN9rocsparseL20bsrxmvn_17_32_kernelILj17EflifffEEvT2_20rocsparse_direction_NS_24const_host_device_scalarIT0_EES1_PKS1_PKT1_SA_S7_PKT3_PKT4_S5_PT5_21rocsparse_index_base_b
	.p2align	8
	.type	_ZN9rocsparseL20bsrxmvn_17_32_kernelILj17EflifffEEvT2_20rocsparse_direction_NS_24const_host_device_scalarIT0_EES1_PKS1_PKT1_SA_S7_PKT3_PKT4_S5_PT5_21rocsparse_index_base_b,@function
_ZN9rocsparseL20bsrxmvn_17_32_kernelILj17EflifffEEvT2_20rocsparse_direction_NS_24const_host_device_scalarIT0_EES1_PKS1_PKT1_SA_S7_PKT3_PKT4_S5_PT5_21rocsparse_index_base_b: ; @_ZN9rocsparseL20bsrxmvn_17_32_kernelILj17EflifffEEvT2_20rocsparse_direction_NS_24const_host_device_scalarIT0_EES1_PKS1_PKT1_SA_S7_PKT3_PKT4_S5_PT5_21rocsparse_index_base_b
; %bb.0:
	s_clause 0x2
	s_load_b64 s[16:17], s[0:1], 0x58
	s_load_b64 s[12:13], s[0:1], 0x8
	;; [unrolled: 1-line block ×3, first 2 shown]
	s_mov_b32 s10, s15
	s_waitcnt lgkmcnt(0)
	s_bitcmp1_b32 s17, 0
	s_cselect_b32 s2, -1, 0
	s_delay_alu instid0(SALU_CYCLE_1)
	s_and_b32 vcc_lo, exec_lo, s2
	s_xor_b32 s2, s2, -1
	s_cbranch_vccnz .LBB64_2
; %bb.1:
	s_load_b32 s12, s[12:13], 0x0
.LBB64_2:
	s_and_not1_b32 vcc_lo, exec_lo, s2
	s_cbranch_vccnz .LBB64_4
; %bb.3:
	s_load_b32 s8, s[8:9], 0x0
.LBB64_4:
	s_waitcnt lgkmcnt(0)
	v_cmp_neq_f32_e64 s2, s12, 0
	v_cmp_neq_f32_e64 s3, s8, 1.0
	s_delay_alu instid0(VALU_DEP_1) | instskip(NEXT) | instid1(SALU_CYCLE_1)
	s_or_b32 s2, s2, s3
	s_and_not1_b32 vcc_lo, exec_lo, s2
	s_cbranch_vccnz .LBB64_42
; %bb.5:
	s_clause 0x1
	s_load_b128 s[4:7], s[0:1], 0x18
	s_load_b64 s[14:15], s[0:1], 0x28
	s_waitcnt lgkmcnt(0)
	s_cmp_eq_u64 s[4:5], 0
	s_cbranch_scc1 .LBB64_7
; %bb.6:
	s_ashr_i32 s11, s10, 31
	s_delay_alu instid0(SALU_CYCLE_1) | instskip(NEXT) | instid1(SALU_CYCLE_1)
	s_lshl_b64 s[2:3], s[10:11], 2
	s_add_u32 s2, s4, s2
	s_addc_u32 s3, s5, s3
	s_load_b32 s2, s[2:3], 0x0
	s_waitcnt lgkmcnt(0)
	s_sub_i32 s10, s2, s16
.LBB64_7:
	s_load_b32 s3, s[0:1], 0x4
	v_mul_u32_u24_e32 v1, 0xf10, v0
	v_dual_mov_b32 v7, 0 :: v_dual_lshlrev_b32 v6, 2, v0
	s_delay_alu instid0(VALU_DEP_2) | instskip(NEXT) | instid1(VALU_DEP_1)
	v_lshrrev_b32_e32 v1, 16, v1
	v_mul_lo_u16 v2, v1, 17
	s_delay_alu instid0(VALU_DEP_1)
	v_sub_nc_u16 v8, v0, v2
	s_waitcnt lgkmcnt(0)
	s_cmp_eq_u32 s3, 1
	s_cselect_b32 s2, -1, 0
	s_cmp_lg_u32 s3, 1
	s_cselect_b32 s3, -1, 0
	s_ashr_i32 s11, s10, 31
	s_delay_alu instid0(SALU_CYCLE_1) | instskip(NEXT) | instid1(SALU_CYCLE_1)
	s_lshl_b64 s[4:5], s[10:11], 3
	s_add_u32 s6, s6, s4
	s_addc_u32 s7, s7, s5
	s_add_u32 s9, s6, 8
	s_addc_u32 s11, s7, 0
	;; [unrolled: 2-line block ×3, first 2 shown]
	s_cmp_eq_u64 s[14:15], 0
	s_load_b64 s[14:15], s[0:1], 0x50
	s_cselect_b32 s5, s11, s5
	s_cselect_b32 s4, s9, s4
	s_load_b64 s[22:23], s[6:7], 0x0
	s_load_b64 s[18:19], s[4:5], 0x0
	s_waitcnt lgkmcnt(0)
	v_cmp_ge_i64_e64 s4, s[22:23], s[18:19]
	s_delay_alu instid0(VALU_DEP_1)
	s_and_b32 vcc_lo, exec_lo, s4
	s_cbranch_vccnz .LBB64_12
; %bb.8:
	v_mul_lo_u16 v2, v1, 31
	v_and_b32_e32 v3, 0xffff, v0
	s_sub_u32 s18, s18, s16
	s_subb_u32 s19, s19, 0
	s_sub_u32 s20, s22, s16
	v_lshrrev_b16 v2, 9, v2
	v_mul_u32_u24_e32 v3, 0xe3, v3
	s_subb_u32 s21, s23, 0
	s_clause 0x1
	s_load_b128 s[4:7], s[0:1], 0x30
	s_load_b64 s[0:1], s[0:1], 0x40
	s_mul_hi_u32 s9, s20, 0x484
	v_mul_lo_u16 v2, v2, 17
	v_lshrrev_b32_e32 v9, 16, v3
	s_mul_i32 s11, s21, 0x484
	v_dual_mov_b32 v7, 0 :: v_dual_and_b32 v4, 0xffff, v8
	s_delay_alu instid0(VALU_DEP_3) | instskip(SKIP_2) | instid1(VALU_DEP_1)
	v_sub_nc_u16 v1, v1, v2
	s_add_i32 s9, s9, s11
	v_add_co_u32 v2, s11, s22, v9
	v_add_co_ci_u32_e64 v3, null, s23, 0, s11
	s_delay_alu instid0(VALU_DEP_3) | instskip(NEXT) | instid1(VALU_DEP_3)
	v_and_b32_e32 v1, 0xff, v1
	v_sub_co_u32 v2, vcc_lo, v2, s16
	s_delay_alu instid0(VALU_DEP_3) | instskip(NEXT) | instid1(VALU_DEP_3)
	v_subrev_co_ci_u32_e32 v3, vcc_lo, 0, v3, vcc_lo
	v_cndmask_b32_e64 v1, v4, v1, s2
	v_lshlrev_b32_e32 v10, 2, v0
	s_mul_i32 s13, s20, 0x484
	s_delay_alu instid0(VALU_DEP_3) | instskip(SKIP_4) | instid1(VALU_DEP_1)
	v_lshlrev_b64 v[4:5], 2, v[2:3]
	s_waitcnt lgkmcnt(0)
	s_add_u32 s2, s6, s13
	s_addc_u32 s6, s7, s9
	v_add_co_u32 v2, s2, s2, v10
	v_add_co_ci_u32_e64 v3, null, s6, 0, s2
	v_add_co_u32 v4, vcc_lo, s4, v4
	v_add_co_ci_u32_e32 v5, vcc_lo, s5, v5, vcc_lo
	s_set_inst_prefetch_distance 0x1
	s_branch .LBB64_10
	.p2align	6
.LBB64_9:                               ;   in Loop: Header=BB64_10 Depth=1
	s_or_b32 exec_lo, exec_lo, s2
	s_add_u32 s20, s20, 1
	s_addc_u32 s21, s21, 0
	v_add_co_u32 v4, vcc_lo, v4, 4
	v_cmp_lt_i64_e64 s2, s[20:21], s[18:19]
	v_add_co_ci_u32_e32 v5, vcc_lo, 0, v5, vcc_lo
	s_delay_alu instid0(VALU_DEP_2)
	s_and_b32 vcc_lo, exec_lo, s2
	s_cbranch_vccz .LBB64_12
.LBB64_10:                              ; =>This Inner Loop Header: Depth=1
	v_add_co_u32 v10, s2, v9, s20
	s_delay_alu instid0(VALU_DEP_1) | instskip(SKIP_1) | instid1(VALU_DEP_1)
	v_add_co_ci_u32_e64 v11, null, 0, s21, s2
	s_mov_b32 s2, exec_lo
	v_cmpx_gt_i64_e64 s[18:19], v[10:11]
	s_cbranch_execz .LBB64_9
; %bb.11:                               ;   in Loop: Header=BB64_10 Depth=1
	global_load_b32 v10, v[4:5], off
	s_waitcnt vmcnt(0)
	v_subrev_nc_u32_e32 v12, s16, v10
	s_delay_alu instid0(VALU_DEP_1) | instskip(NEXT) | instid1(VALU_DEP_1)
	v_mad_u64_u32 v[10:11], null, v12, 17, v[1:2]
	v_ashrrev_i32_e32 v11, 31, v10
	s_delay_alu instid0(VALU_DEP_1) | instskip(NEXT) | instid1(VALU_DEP_1)
	v_lshlrev_b64 v[10:11], 2, v[10:11]
	v_add_co_u32 v10, vcc_lo, s0, v10
	s_delay_alu instid0(VALU_DEP_2)
	v_add_co_ci_u32_e32 v11, vcc_lo, s1, v11, vcc_lo
	global_load_b32 v12, v[2:3], off
	global_load_b32 v10, v[10:11], off
	v_add_co_u32 v2, vcc_lo, 0x484, v2
	v_add_co_ci_u32_e32 v3, vcc_lo, 0, v3, vcc_lo
	s_waitcnt vmcnt(0)
	v_fmac_f32_e32 v7, v12, v10
	s_branch .LBB64_9
.LBB64_12:
	s_set_inst_prefetch_distance 0x2
	s_and_b32 vcc_lo, exec_lo, s3
	ds_store_b32 v6, v7
	s_waitcnt lgkmcnt(0)
	s_barrier
	buffer_gl0_inv
	s_cbranch_vccz .LBB64_24
; %bb.13:
	s_mov_b32 s0, exec_lo
	v_cmpx_eq_u16_e32 0, v8
	s_cbranch_execz .LBB64_15
; %bb.14:
	ds_load_2addr_b32 v[1:2], v6 offset1:16
	s_waitcnt lgkmcnt(0)
	v_add_f32_e32 v1, v2, v1
	ds_store_b32 v6, v1
.LBB64_15:
	s_or_b32 exec_lo, exec_lo, s0
	s_delay_alu instid0(SALU_CYCLE_1)
	s_mov_b32 s0, exec_lo
	s_waitcnt lgkmcnt(0)
	s_barrier
	buffer_gl0_inv
	v_cmpx_gt_u16_e32 8, v8
	s_cbranch_execz .LBB64_17
; %bb.16:
	ds_load_2addr_b32 v[1:2], v6 offset1:8
	s_waitcnt lgkmcnt(0)
	v_add_f32_e32 v1, v2, v1
	ds_store_b32 v6, v1
.LBB64_17:
	s_or_b32 exec_lo, exec_lo, s0
	s_delay_alu instid0(SALU_CYCLE_1)
	s_mov_b32 s0, exec_lo
	s_waitcnt lgkmcnt(0)
	s_barrier
	buffer_gl0_inv
	v_cmpx_gt_u16_e32 4, v8
	;; [unrolled: 14-line block ×3, first 2 shown]
	s_cbranch_execz .LBB64_21
; %bb.20:
	ds_load_2addr_b32 v[1:2], v6 offset1:2
	s_waitcnt lgkmcnt(0)
	v_add_f32_e32 v1, v2, v1
	ds_store_b32 v6, v1
.LBB64_21:
	s_or_b32 exec_lo, exec_lo, s0
	s_mov_b32 s0, 0
	s_mov_b32 s1, 0
	s_mov_b32 s2, exec_lo
	s_waitcnt lgkmcnt(0)
	s_barrier
	buffer_gl0_inv
                                        ; implicit-def: $vgpr1
                                        ; implicit-def: $vgpr2
	v_cmpx_gt_u32_e32 17, v0
	s_xor_b32 s2, exec_lo, s2
; %bb.22:
	v_mad_u32_u24 v1, v0, 17, 1
	v_lshl_add_u32 v2, v0, 6, v6
	s_mov_b32 s1, exec_lo
; %bb.23:
	s_or_b32 exec_lo, exec_lo, s2
	s_delay_alu instid0(SALU_CYCLE_1)
	s_and_b32 vcc_lo, exec_lo, s0
	v_cmp_gt_u32_e64 s0, 17, v0
	s_cbranch_vccnz .LBB64_25
	s_branch .LBB64_36
.LBB64_24:
	s_mov_b32 s1, 0
                                        ; implicit-def: $vgpr1
                                        ; implicit-def: $vgpr2
	v_cmp_gt_u32_e64 s0, 17, v0
	s_cbranch_execz .LBB64_36
.LBB64_25:
	s_delay_alu instid0(VALU_DEP_1)
	s_and_saveexec_b32 s2, s0
	s_cbranch_execz .LBB64_27
; %bb.26:
	ds_load_b32 v1, v6 offset:1088
	ds_load_b32 v2, v6
	s_waitcnt lgkmcnt(0)
	v_add_f32_e32 v1, v1, v2
	ds_store_b32 v6, v1
.LBB64_27:
	s_or_b32 exec_lo, exec_lo, s2
	s_delay_alu instid0(SALU_CYCLE_1)
	s_mov_b32 s2, exec_lo
	s_waitcnt lgkmcnt(0)
	s_barrier
	buffer_gl0_inv
	v_cmpx_gt_u32_e32 0x88, v0
	s_cbranch_execz .LBB64_29
; %bb.28:
	ds_load_2addr_b32 v[1:2], v6 offset1:136
	s_waitcnt lgkmcnt(0)
	v_add_f32_e32 v1, v2, v1
	ds_store_b32 v6, v1
.LBB64_29:
	s_or_b32 exec_lo, exec_lo, s2
	s_delay_alu instid0(SALU_CYCLE_1)
	s_mov_b32 s2, exec_lo
	s_waitcnt lgkmcnt(0)
	s_barrier
	buffer_gl0_inv
	v_cmpx_gt_u32_e32 0x44, v0
	s_cbranch_execz .LBB64_31
; %bb.30:
	ds_load_2addr_b32 v[1:2], v6 offset1:68
	s_waitcnt lgkmcnt(0)
	v_add_f32_e32 v1, v2, v1
	ds_store_b32 v6, v1
.LBB64_31:
	;; [unrolled: 14-line block ×3, first 2 shown]
	s_or_b32 exec_lo, exec_lo, s2
	s_waitcnt lgkmcnt(0)
	buffer_gl0_inv
                                        ; implicit-def: $vgpr1
	s_and_saveexec_b32 s2, s0
; %bb.34:
	v_add_nc_u32_e32 v1, 17, v0
	s_or_b32 s1, s1, exec_lo
                                        ; implicit-def: $vgpr7
; %bb.35:
	s_or_b32 exec_lo, exec_lo, s2
	v_mov_b32_e32 v2, v6
.LBB64_36:
	s_and_saveexec_b32 s0, s1
	s_cbranch_execz .LBB64_38
; %bb.37:
	v_lshlrev_b32_e32 v1, 2, v1
	ds_load_b32 v2, v2
	ds_load_b32 v1, v1
	s_waitcnt lgkmcnt(0)
	v_add_f32_e32 v7, v2, v1
.LBB64_38:
	s_or_b32 exec_lo, exec_lo, s0
	s_delay_alu instid0(SALU_CYCLE_1)
	s_mov_b32 s0, exec_lo
	v_cmpx_gt_u32_e32 17, v0
	s_cbranch_execz .LBB64_42
; %bb.39:
	v_cmp_eq_f32_e64 s0, s8, 0
	v_mul_f32_e32 v1, s12, v7
	s_delay_alu instid0(VALU_DEP_2)
	s_and_b32 vcc_lo, exec_lo, s0
	s_mov_b32 s0, 0
	s_cbranch_vccz .LBB64_43
; %bb.40:
	s_delay_alu instid0(VALU_DEP_1) | instskip(SKIP_1) | instid1(VALU_DEP_1)
	v_mad_u64_u32 v[2:3], null, s10, 17, v[0:1]
	v_mov_b32_e32 v3, 0
	v_lshlrev_b64 v[2:3], 2, v[2:3]
	s_delay_alu instid0(VALU_DEP_1) | instskip(NEXT) | instid1(VALU_DEP_2)
	v_add_co_u32 v2, vcc_lo, s14, v2
	v_add_co_ci_u32_e32 v3, vcc_lo, s15, v3, vcc_lo
	global_store_b32 v[2:3], v1, off
	s_and_not1_b32 vcc_lo, exec_lo, s0
	s_cbranch_vccnz .LBB64_42
.LBB64_41:
	v_mad_u64_u32 v[2:3], null, s10, 17, v[0:1]
	v_mov_b32_e32 v3, 0
	s_delay_alu instid0(VALU_DEP_1) | instskip(NEXT) | instid1(VALU_DEP_1)
	v_lshlrev_b64 v[2:3], 2, v[2:3]
	v_add_co_u32 v2, vcc_lo, s14, v2
	s_delay_alu instid0(VALU_DEP_2)
	v_add_co_ci_u32_e32 v3, vcc_lo, s15, v3, vcc_lo
	global_load_b32 v0, v[2:3], off
	s_waitcnt vmcnt(0)
	v_fmac_f32_e32 v1, s8, v0
	global_store_b32 v[2:3], v1, off
.LBB64_42:
	s_nop 0
	s_sendmsg sendmsg(MSG_DEALLOC_VGPRS)
	s_endpgm
.LBB64_43:
	s_branch .LBB64_41
	.section	.rodata,"a",@progbits
	.p2align	6, 0x0
	.amdhsa_kernel _ZN9rocsparseL20bsrxmvn_17_32_kernelILj17EflifffEEvT2_20rocsparse_direction_NS_24const_host_device_scalarIT0_EES1_PKS1_PKT1_SA_S7_PKT3_PKT4_S5_PT5_21rocsparse_index_base_b
		.amdhsa_group_segment_fixed_size 1156
		.amdhsa_private_segment_fixed_size 0
		.amdhsa_kernarg_size 96
		.amdhsa_user_sgpr_count 15
		.amdhsa_user_sgpr_dispatch_ptr 0
		.amdhsa_user_sgpr_queue_ptr 0
		.amdhsa_user_sgpr_kernarg_segment_ptr 1
		.amdhsa_user_sgpr_dispatch_id 0
		.amdhsa_user_sgpr_private_segment_size 0
		.amdhsa_wavefront_size32 1
		.amdhsa_uses_dynamic_stack 0
		.amdhsa_enable_private_segment 0
		.amdhsa_system_sgpr_workgroup_id_x 1
		.amdhsa_system_sgpr_workgroup_id_y 0
		.amdhsa_system_sgpr_workgroup_id_z 0
		.amdhsa_system_sgpr_workgroup_info 0
		.amdhsa_system_vgpr_workitem_id 0
		.amdhsa_next_free_vgpr 13
		.amdhsa_next_free_sgpr 24
		.amdhsa_reserve_vcc 1
		.amdhsa_float_round_mode_32 0
		.amdhsa_float_round_mode_16_64 0
		.amdhsa_float_denorm_mode_32 3
		.amdhsa_float_denorm_mode_16_64 3
		.amdhsa_dx10_clamp 1
		.amdhsa_ieee_mode 1
		.amdhsa_fp16_overflow 0
		.amdhsa_workgroup_processor_mode 1
		.amdhsa_memory_ordered 1
		.amdhsa_forward_progress 0
		.amdhsa_shared_vgpr_count 0
		.amdhsa_exception_fp_ieee_invalid_op 0
		.amdhsa_exception_fp_denorm_src 0
		.amdhsa_exception_fp_ieee_div_zero 0
		.amdhsa_exception_fp_ieee_overflow 0
		.amdhsa_exception_fp_ieee_underflow 0
		.amdhsa_exception_fp_ieee_inexact 0
		.amdhsa_exception_int_div_zero 0
	.end_amdhsa_kernel
	.section	.text._ZN9rocsparseL20bsrxmvn_17_32_kernelILj17EflifffEEvT2_20rocsparse_direction_NS_24const_host_device_scalarIT0_EES1_PKS1_PKT1_SA_S7_PKT3_PKT4_S5_PT5_21rocsparse_index_base_b,"axG",@progbits,_ZN9rocsparseL20bsrxmvn_17_32_kernelILj17EflifffEEvT2_20rocsparse_direction_NS_24const_host_device_scalarIT0_EES1_PKS1_PKT1_SA_S7_PKT3_PKT4_S5_PT5_21rocsparse_index_base_b,comdat
.Lfunc_end64:
	.size	_ZN9rocsparseL20bsrxmvn_17_32_kernelILj17EflifffEEvT2_20rocsparse_direction_NS_24const_host_device_scalarIT0_EES1_PKS1_PKT1_SA_S7_PKT3_PKT4_S5_PT5_21rocsparse_index_base_b, .Lfunc_end64-_ZN9rocsparseL20bsrxmvn_17_32_kernelILj17EflifffEEvT2_20rocsparse_direction_NS_24const_host_device_scalarIT0_EES1_PKS1_PKT1_SA_S7_PKT3_PKT4_S5_PT5_21rocsparse_index_base_b
                                        ; -- End function
	.section	.AMDGPU.csdata,"",@progbits
; Kernel info:
; codeLenInByte = 1632
; NumSgprs: 26
; NumVgprs: 13
; ScratchSize: 0
; MemoryBound: 0
; FloatMode: 240
; IeeeMode: 1
; LDSByteSize: 1156 bytes/workgroup (compile time only)
; SGPRBlocks: 3
; VGPRBlocks: 1
; NumSGPRsForWavesPerEU: 26
; NumVGPRsForWavesPerEU: 13
; Occupancy: 15
; WaveLimiterHint : 1
; COMPUTE_PGM_RSRC2:SCRATCH_EN: 0
; COMPUTE_PGM_RSRC2:USER_SGPR: 15
; COMPUTE_PGM_RSRC2:TRAP_HANDLER: 0
; COMPUTE_PGM_RSRC2:TGID_X_EN: 1
; COMPUTE_PGM_RSRC2:TGID_Y_EN: 0
; COMPUTE_PGM_RSRC2:TGID_Z_EN: 0
; COMPUTE_PGM_RSRC2:TIDIG_COMP_CNT: 0
	.section	.text._ZN9rocsparseL20bsrxmvn_17_32_kernelILj18EflifffEEvT2_20rocsparse_direction_NS_24const_host_device_scalarIT0_EES1_PKS1_PKT1_SA_S7_PKT3_PKT4_S5_PT5_21rocsparse_index_base_b,"axG",@progbits,_ZN9rocsparseL20bsrxmvn_17_32_kernelILj18EflifffEEvT2_20rocsparse_direction_NS_24const_host_device_scalarIT0_EES1_PKS1_PKT1_SA_S7_PKT3_PKT4_S5_PT5_21rocsparse_index_base_b,comdat
	.globl	_ZN9rocsparseL20bsrxmvn_17_32_kernelILj18EflifffEEvT2_20rocsparse_direction_NS_24const_host_device_scalarIT0_EES1_PKS1_PKT1_SA_S7_PKT3_PKT4_S5_PT5_21rocsparse_index_base_b ; -- Begin function _ZN9rocsparseL20bsrxmvn_17_32_kernelILj18EflifffEEvT2_20rocsparse_direction_NS_24const_host_device_scalarIT0_EES1_PKS1_PKT1_SA_S7_PKT3_PKT4_S5_PT5_21rocsparse_index_base_b
	.p2align	8
	.type	_ZN9rocsparseL20bsrxmvn_17_32_kernelILj18EflifffEEvT2_20rocsparse_direction_NS_24const_host_device_scalarIT0_EES1_PKS1_PKT1_SA_S7_PKT3_PKT4_S5_PT5_21rocsparse_index_base_b,@function
_ZN9rocsparseL20bsrxmvn_17_32_kernelILj18EflifffEEvT2_20rocsparse_direction_NS_24const_host_device_scalarIT0_EES1_PKS1_PKT1_SA_S7_PKT3_PKT4_S5_PT5_21rocsparse_index_base_b: ; @_ZN9rocsparseL20bsrxmvn_17_32_kernelILj18EflifffEEvT2_20rocsparse_direction_NS_24const_host_device_scalarIT0_EES1_PKS1_PKT1_SA_S7_PKT3_PKT4_S5_PT5_21rocsparse_index_base_b
; %bb.0:
	s_clause 0x2
	s_load_b64 s[16:17], s[0:1], 0x58
	s_load_b64 s[12:13], s[0:1], 0x8
	;; [unrolled: 1-line block ×3, first 2 shown]
	s_mov_b32 s10, s15
	s_waitcnt lgkmcnt(0)
	s_bitcmp1_b32 s17, 0
	s_cselect_b32 s2, -1, 0
	s_delay_alu instid0(SALU_CYCLE_1)
	s_and_b32 vcc_lo, exec_lo, s2
	s_xor_b32 s2, s2, -1
	s_cbranch_vccnz .LBB65_2
; %bb.1:
	s_load_b32 s12, s[12:13], 0x0
.LBB65_2:
	s_and_not1_b32 vcc_lo, exec_lo, s2
	s_cbranch_vccnz .LBB65_4
; %bb.3:
	s_load_b32 s8, s[8:9], 0x0
.LBB65_4:
	s_waitcnt lgkmcnt(0)
	v_cmp_neq_f32_e64 s2, s12, 0
	v_cmp_neq_f32_e64 s3, s8, 1.0
	s_delay_alu instid0(VALU_DEP_1) | instskip(NEXT) | instid1(SALU_CYCLE_1)
	s_or_b32 s2, s2, s3
	s_and_not1_b32 vcc_lo, exec_lo, s2
	s_cbranch_vccnz .LBB65_42
; %bb.5:
	s_clause 0x1
	s_load_b128 s[4:7], s[0:1], 0x18
	s_load_b64 s[14:15], s[0:1], 0x28
	s_waitcnt lgkmcnt(0)
	s_cmp_eq_u64 s[4:5], 0
	s_cbranch_scc1 .LBB65_7
; %bb.6:
	s_ashr_i32 s11, s10, 31
	s_delay_alu instid0(SALU_CYCLE_1) | instskip(NEXT) | instid1(SALU_CYCLE_1)
	s_lshl_b64 s[2:3], s[10:11], 2
	s_add_u32 s2, s4, s2
	s_addc_u32 s3, s5, s3
	s_load_b32 s2, s[2:3], 0x0
	s_waitcnt lgkmcnt(0)
	s_sub_i32 s10, s2, s16
.LBB65_7:
	s_load_b32 s3, s[0:1], 0x4
	v_mul_u32_u24_e32 v1, 0xe39, v0
	v_dual_mov_b32 v7, 0 :: v_dual_lshlrev_b32 v6, 2, v0
	s_delay_alu instid0(VALU_DEP_2) | instskip(NEXT) | instid1(VALU_DEP_1)
	v_lshrrev_b32_e32 v1, 16, v1
	v_mul_lo_u16 v2, v1, 18
	s_delay_alu instid0(VALU_DEP_1)
	v_sub_nc_u16 v8, v0, v2
	s_waitcnt lgkmcnt(0)
	s_cmp_eq_u32 s3, 1
	s_cselect_b32 s2, -1, 0
	s_cmp_lg_u32 s3, 1
	s_cselect_b32 s3, -1, 0
	s_ashr_i32 s11, s10, 31
	s_delay_alu instid0(SALU_CYCLE_1) | instskip(NEXT) | instid1(SALU_CYCLE_1)
	s_lshl_b64 s[4:5], s[10:11], 3
	s_add_u32 s6, s6, s4
	s_addc_u32 s7, s7, s5
	s_add_u32 s9, s6, 8
	s_addc_u32 s11, s7, 0
	;; [unrolled: 2-line block ×3, first 2 shown]
	s_cmp_eq_u64 s[14:15], 0
	s_load_b64 s[14:15], s[0:1], 0x50
	s_cselect_b32 s5, s11, s5
	s_cselect_b32 s4, s9, s4
	s_load_b64 s[22:23], s[6:7], 0x0
	s_load_b64 s[18:19], s[4:5], 0x0
	s_waitcnt lgkmcnt(0)
	v_cmp_ge_i64_e64 s4, s[22:23], s[18:19]
	s_delay_alu instid0(VALU_DEP_1)
	s_and_b32 vcc_lo, exec_lo, s4
	s_cbranch_vccnz .LBB65_12
; %bb.8:
	v_mul_lo_u16 v2, v1, 15
	v_and_b32_e32 v3, 0xffff, v0
	s_sub_u32 s18, s18, s16
	s_subb_u32 s19, s19, 0
	s_sub_u32 s20, s22, s16
	v_lshrrev_b16 v2, 8, v2
	v_mul_u32_u24_e32 v3, 0x195, v3
	s_subb_u32 s21, s23, 0
	s_clause 0x1
	s_load_b128 s[4:7], s[0:1], 0x30
	s_load_b64 s[0:1], s[0:1], 0x40
	s_mul_hi_u32 s9, s20, 0x510
	v_mul_lo_u16 v2, v2, 18
	v_lshrrev_b32_e32 v9, 17, v3
	s_mul_i32 s11, s21, 0x510
	v_dual_mov_b32 v7, 0 :: v_dual_and_b32 v4, 0xffff, v8
	s_delay_alu instid0(VALU_DEP_3) | instskip(SKIP_2) | instid1(VALU_DEP_1)
	v_sub_nc_u16 v1, v1, v2
	s_add_i32 s9, s9, s11
	v_add_co_u32 v2, s11, s22, v9
	v_add_co_ci_u32_e64 v3, null, s23, 0, s11
	s_delay_alu instid0(VALU_DEP_3) | instskip(NEXT) | instid1(VALU_DEP_3)
	v_and_b32_e32 v1, 0xff, v1
	v_sub_co_u32 v2, vcc_lo, v2, s16
	s_delay_alu instid0(VALU_DEP_3) | instskip(NEXT) | instid1(VALU_DEP_3)
	v_subrev_co_ci_u32_e32 v3, vcc_lo, 0, v3, vcc_lo
	v_cndmask_b32_e64 v1, v4, v1, s2
	v_lshlrev_b32_e32 v10, 2, v0
	s_mul_i32 s13, s20, 0x510
	s_delay_alu instid0(VALU_DEP_3) | instskip(SKIP_4) | instid1(VALU_DEP_1)
	v_lshlrev_b64 v[4:5], 2, v[2:3]
	s_waitcnt lgkmcnt(0)
	s_add_u32 s2, s6, s13
	s_addc_u32 s6, s7, s9
	v_add_co_u32 v2, s2, s2, v10
	v_add_co_ci_u32_e64 v3, null, s6, 0, s2
	v_add_co_u32 v4, vcc_lo, s4, v4
	v_add_co_ci_u32_e32 v5, vcc_lo, s5, v5, vcc_lo
	s_set_inst_prefetch_distance 0x1
	s_branch .LBB65_10
	.p2align	6
.LBB65_9:                               ;   in Loop: Header=BB65_10 Depth=1
	s_or_b32 exec_lo, exec_lo, s2
	s_add_u32 s20, s20, 1
	s_addc_u32 s21, s21, 0
	v_add_co_u32 v4, vcc_lo, v4, 4
	v_cmp_lt_i64_e64 s2, s[20:21], s[18:19]
	v_add_co_ci_u32_e32 v5, vcc_lo, 0, v5, vcc_lo
	s_delay_alu instid0(VALU_DEP_2)
	s_and_b32 vcc_lo, exec_lo, s2
	s_cbranch_vccz .LBB65_12
.LBB65_10:                              ; =>This Inner Loop Header: Depth=1
	v_add_co_u32 v10, s2, v9, s20
	s_delay_alu instid0(VALU_DEP_1) | instskip(SKIP_1) | instid1(VALU_DEP_1)
	v_add_co_ci_u32_e64 v11, null, 0, s21, s2
	s_mov_b32 s2, exec_lo
	v_cmpx_gt_i64_e64 s[18:19], v[10:11]
	s_cbranch_execz .LBB65_9
; %bb.11:                               ;   in Loop: Header=BB65_10 Depth=1
	global_load_b32 v10, v[4:5], off
	s_waitcnt vmcnt(0)
	v_subrev_nc_u32_e32 v12, s16, v10
	s_delay_alu instid0(VALU_DEP_1) | instskip(NEXT) | instid1(VALU_DEP_1)
	v_mad_u64_u32 v[10:11], null, v12, 18, v[1:2]
	v_ashrrev_i32_e32 v11, 31, v10
	s_delay_alu instid0(VALU_DEP_1) | instskip(NEXT) | instid1(VALU_DEP_1)
	v_lshlrev_b64 v[10:11], 2, v[10:11]
	v_add_co_u32 v10, vcc_lo, s0, v10
	s_delay_alu instid0(VALU_DEP_2)
	v_add_co_ci_u32_e32 v11, vcc_lo, s1, v11, vcc_lo
	global_load_b32 v12, v[2:3], off
	global_load_b32 v10, v[10:11], off
	v_add_co_u32 v2, vcc_lo, 0x510, v2
	v_add_co_ci_u32_e32 v3, vcc_lo, 0, v3, vcc_lo
	s_waitcnt vmcnt(0)
	v_fmac_f32_e32 v7, v12, v10
	s_branch .LBB65_9
.LBB65_12:
	s_set_inst_prefetch_distance 0x2
	s_and_b32 vcc_lo, exec_lo, s3
	ds_store_b32 v6, v7
	s_waitcnt lgkmcnt(0)
	s_barrier
	buffer_gl0_inv
	s_cbranch_vccz .LBB65_24
; %bb.13:
	v_cmp_gt_u16_e32 vcc_lo, 2, v8
	s_and_saveexec_b32 s0, vcc_lo
	s_cbranch_execz .LBB65_15
; %bb.14:
	ds_load_2addr_b32 v[1:2], v6 offset1:16
	s_waitcnt lgkmcnt(0)
	v_add_f32_e32 v1, v2, v1
	ds_store_b32 v6, v1
.LBB65_15:
	s_or_b32 exec_lo, exec_lo, s0
	s_delay_alu instid0(SALU_CYCLE_1)
	s_mov_b32 s1, exec_lo
	s_waitcnt lgkmcnt(0)
	s_barrier
	buffer_gl0_inv
	v_cmpx_gt_u16_e32 8, v8
	s_cbranch_execz .LBB65_17
; %bb.16:
	ds_load_2addr_b32 v[1:2], v6 offset1:8
	s_waitcnt lgkmcnt(0)
	v_add_f32_e32 v1, v2, v1
	ds_store_b32 v6, v1
.LBB65_17:
	s_or_b32 exec_lo, exec_lo, s1
	s_delay_alu instid0(SALU_CYCLE_1)
	s_mov_b32 s1, exec_lo
	s_waitcnt lgkmcnt(0)
	s_barrier
	buffer_gl0_inv
	v_cmpx_gt_u16_e32 4, v8
	s_cbranch_execz .LBB65_19
; %bb.18:
	ds_load_2addr_b32 v[1:2], v6 offset1:4
	s_waitcnt lgkmcnt(0)
	v_add_f32_e32 v1, v2, v1
	ds_store_b32 v6, v1
.LBB65_19:
	s_or_b32 exec_lo, exec_lo, s1
	s_waitcnt lgkmcnt(0)
	s_barrier
	buffer_gl0_inv
	s_and_saveexec_b32 s0, vcc_lo
	s_cbranch_execz .LBB65_21
; %bb.20:
	ds_load_2addr_b32 v[1:2], v6 offset1:2
	s_waitcnt lgkmcnt(0)
	v_add_f32_e32 v1, v2, v1
	ds_store_b32 v6, v1
.LBB65_21:
	s_or_b32 exec_lo, exec_lo, s0
	s_mov_b32 s0, 0
	s_mov_b32 s1, 0
	s_mov_b32 s2, exec_lo
	s_waitcnt lgkmcnt(0)
	s_barrier
	buffer_gl0_inv
                                        ; implicit-def: $vgpr1
                                        ; implicit-def: $vgpr2
	v_cmpx_gt_u32_e32 18, v0
	s_xor_b32 s2, exec_lo, s2
; %bb.22:
	v_mul_u32_u24_e32 v1, 18, v0
	v_mad_u32_u24 v2, 0x44, v0, v6
	s_mov_b32 s1, exec_lo
	s_delay_alu instid0(VALU_DEP_2)
	v_or_b32_e32 v1, 1, v1
; %bb.23:
	s_or_b32 exec_lo, exec_lo, s2
	s_delay_alu instid0(SALU_CYCLE_1)
	s_and_b32 vcc_lo, exec_lo, s0
	s_cbranch_vccnz .LBB65_25
	s_branch .LBB65_36
.LBB65_24:
	s_mov_b32 s1, 0
                                        ; implicit-def: $vgpr1
                                        ; implicit-def: $vgpr2
	s_cbranch_execz .LBB65_36
.LBB65_25:
	v_cmp_gt_u32_e32 vcc_lo, 36, v0
	s_and_saveexec_b32 s0, vcc_lo
	s_cbranch_execz .LBB65_27
; %bb.26:
	ds_load_b32 v1, v6 offset:1152
	ds_load_b32 v2, v6
	s_waitcnt lgkmcnt(0)
	v_add_f32_e32 v1, v1, v2
	ds_store_b32 v6, v1
.LBB65_27:
	s_or_b32 exec_lo, exec_lo, s0
	s_delay_alu instid0(SALU_CYCLE_1)
	s_mov_b32 s2, exec_lo
	s_waitcnt lgkmcnt(0)
	s_barrier
	buffer_gl0_inv
	v_cmpx_gt_u32_e32 0x90, v0
	s_cbranch_execz .LBB65_29
; %bb.28:
	ds_load_2addr_b32 v[1:2], v6 offset1:144
	s_waitcnt lgkmcnt(0)
	v_add_f32_e32 v1, v2, v1
	ds_store_b32 v6, v1
.LBB65_29:
	s_or_b32 exec_lo, exec_lo, s2
	s_delay_alu instid0(SALU_CYCLE_1)
	s_mov_b32 s2, exec_lo
	s_waitcnt lgkmcnt(0)
	s_barrier
	buffer_gl0_inv
	v_cmpx_gt_u32_e32 0x48, v0
	s_cbranch_execz .LBB65_31
; %bb.30:
	ds_load_2addr_b32 v[1:2], v6 offset1:72
	s_waitcnt lgkmcnt(0)
	v_add_f32_e32 v1, v2, v1
	ds_store_b32 v6, v1
.LBB65_31:
	s_or_b32 exec_lo, exec_lo, s2
	s_waitcnt lgkmcnt(0)
	s_barrier
	buffer_gl0_inv
	s_and_saveexec_b32 s0, vcc_lo
	s_cbranch_execz .LBB65_33
; %bb.32:
	ds_load_2addr_b32 v[1:2], v6 offset1:36
	s_waitcnt lgkmcnt(0)
	v_add_f32_e32 v1, v2, v1
	ds_store_b32 v6, v1
.LBB65_33:
	s_or_b32 exec_lo, exec_lo, s0
	s_delay_alu instid0(SALU_CYCLE_1)
	s_mov_b32 s0, exec_lo
	s_waitcnt lgkmcnt(0)
	buffer_gl0_inv
                                        ; implicit-def: $vgpr1
	v_cmpx_gt_u32_e32 18, v0
; %bb.34:
	v_add_nc_u32_e32 v1, 18, v0
	s_or_b32 s1, s1, exec_lo
                                        ; implicit-def: $vgpr7
; %bb.35:
	s_or_b32 exec_lo, exec_lo, s0
	v_mov_b32_e32 v2, v6
.LBB65_36:
	s_and_saveexec_b32 s0, s1
	s_cbranch_execz .LBB65_38
; %bb.37:
	v_lshlrev_b32_e32 v1, 2, v1
	ds_load_b32 v2, v2
	ds_load_b32 v1, v1
	s_waitcnt lgkmcnt(0)
	v_add_f32_e32 v7, v2, v1
.LBB65_38:
	s_or_b32 exec_lo, exec_lo, s0
	s_delay_alu instid0(SALU_CYCLE_1)
	s_mov_b32 s0, exec_lo
	v_cmpx_gt_u32_e32 18, v0
	s_cbranch_execz .LBB65_42
; %bb.39:
	v_cmp_eq_f32_e64 s0, s8, 0
	v_mul_f32_e32 v1, s12, v7
	s_delay_alu instid0(VALU_DEP_2)
	s_and_b32 vcc_lo, exec_lo, s0
	s_mov_b32 s0, 0
	s_cbranch_vccz .LBB65_43
; %bb.40:
	s_delay_alu instid0(VALU_DEP_1) | instskip(SKIP_1) | instid1(VALU_DEP_1)
	v_mad_u64_u32 v[2:3], null, s10, 18, v[0:1]
	v_mov_b32_e32 v3, 0
	v_lshlrev_b64 v[2:3], 2, v[2:3]
	s_delay_alu instid0(VALU_DEP_1) | instskip(NEXT) | instid1(VALU_DEP_2)
	v_add_co_u32 v2, vcc_lo, s14, v2
	v_add_co_ci_u32_e32 v3, vcc_lo, s15, v3, vcc_lo
	global_store_b32 v[2:3], v1, off
	s_and_not1_b32 vcc_lo, exec_lo, s0
	s_cbranch_vccnz .LBB65_42
.LBB65_41:
	v_mad_u64_u32 v[2:3], null, s10, 18, v[0:1]
	v_mov_b32_e32 v3, 0
	s_delay_alu instid0(VALU_DEP_1) | instskip(NEXT) | instid1(VALU_DEP_1)
	v_lshlrev_b64 v[2:3], 2, v[2:3]
	v_add_co_u32 v2, vcc_lo, s14, v2
	s_delay_alu instid0(VALU_DEP_2)
	v_add_co_ci_u32_e32 v3, vcc_lo, s15, v3, vcc_lo
	global_load_b32 v0, v[2:3], off
	s_waitcnt vmcnt(0)
	v_fmac_f32_e32 v1, s8, v0
	global_store_b32 v[2:3], v1, off
.LBB65_42:
	s_nop 0
	s_sendmsg sendmsg(MSG_DEALLOC_VGPRS)
	s_endpgm
.LBB65_43:
	s_branch .LBB65_41
	.section	.rodata,"a",@progbits
	.p2align	6, 0x0
	.amdhsa_kernel _ZN9rocsparseL20bsrxmvn_17_32_kernelILj18EflifffEEvT2_20rocsparse_direction_NS_24const_host_device_scalarIT0_EES1_PKS1_PKT1_SA_S7_PKT3_PKT4_S5_PT5_21rocsparse_index_base_b
		.amdhsa_group_segment_fixed_size 1296
		.amdhsa_private_segment_fixed_size 0
		.amdhsa_kernarg_size 96
		.amdhsa_user_sgpr_count 15
		.amdhsa_user_sgpr_dispatch_ptr 0
		.amdhsa_user_sgpr_queue_ptr 0
		.amdhsa_user_sgpr_kernarg_segment_ptr 1
		.amdhsa_user_sgpr_dispatch_id 0
		.amdhsa_user_sgpr_private_segment_size 0
		.amdhsa_wavefront_size32 1
		.amdhsa_uses_dynamic_stack 0
		.amdhsa_enable_private_segment 0
		.amdhsa_system_sgpr_workgroup_id_x 1
		.amdhsa_system_sgpr_workgroup_id_y 0
		.amdhsa_system_sgpr_workgroup_id_z 0
		.amdhsa_system_sgpr_workgroup_info 0
		.amdhsa_system_vgpr_workitem_id 0
		.amdhsa_next_free_vgpr 13
		.amdhsa_next_free_sgpr 24
		.amdhsa_reserve_vcc 1
		.amdhsa_float_round_mode_32 0
		.amdhsa_float_round_mode_16_64 0
		.amdhsa_float_denorm_mode_32 3
		.amdhsa_float_denorm_mode_16_64 3
		.amdhsa_dx10_clamp 1
		.amdhsa_ieee_mode 1
		.amdhsa_fp16_overflow 0
		.amdhsa_workgroup_processor_mode 1
		.amdhsa_memory_ordered 1
		.amdhsa_forward_progress 0
		.amdhsa_shared_vgpr_count 0
		.amdhsa_exception_fp_ieee_invalid_op 0
		.amdhsa_exception_fp_denorm_src 0
		.amdhsa_exception_fp_ieee_div_zero 0
		.amdhsa_exception_fp_ieee_overflow 0
		.amdhsa_exception_fp_ieee_underflow 0
		.amdhsa_exception_fp_ieee_inexact 0
		.amdhsa_exception_int_div_zero 0
	.end_amdhsa_kernel
	.section	.text._ZN9rocsparseL20bsrxmvn_17_32_kernelILj18EflifffEEvT2_20rocsparse_direction_NS_24const_host_device_scalarIT0_EES1_PKS1_PKT1_SA_S7_PKT3_PKT4_S5_PT5_21rocsparse_index_base_b,"axG",@progbits,_ZN9rocsparseL20bsrxmvn_17_32_kernelILj18EflifffEEvT2_20rocsparse_direction_NS_24const_host_device_scalarIT0_EES1_PKS1_PKT1_SA_S7_PKT3_PKT4_S5_PT5_21rocsparse_index_base_b,comdat
.Lfunc_end65:
	.size	_ZN9rocsparseL20bsrxmvn_17_32_kernelILj18EflifffEEvT2_20rocsparse_direction_NS_24const_host_device_scalarIT0_EES1_PKS1_PKT1_SA_S7_PKT3_PKT4_S5_PT5_21rocsparse_index_base_b, .Lfunc_end65-_ZN9rocsparseL20bsrxmvn_17_32_kernelILj18EflifffEEvT2_20rocsparse_direction_NS_24const_host_device_scalarIT0_EES1_PKS1_PKT1_SA_S7_PKT3_PKT4_S5_PT5_21rocsparse_index_base_b
                                        ; -- End function
	.section	.AMDGPU.csdata,"",@progbits
; Kernel info:
; codeLenInByte = 1616
; NumSgprs: 26
; NumVgprs: 13
; ScratchSize: 0
; MemoryBound: 0
; FloatMode: 240
; IeeeMode: 1
; LDSByteSize: 1296 bytes/workgroup (compile time only)
; SGPRBlocks: 3
; VGPRBlocks: 1
; NumSGPRsForWavesPerEU: 26
; NumVGPRsForWavesPerEU: 13
; Occupancy: 14
; WaveLimiterHint : 1
; COMPUTE_PGM_RSRC2:SCRATCH_EN: 0
; COMPUTE_PGM_RSRC2:USER_SGPR: 15
; COMPUTE_PGM_RSRC2:TRAP_HANDLER: 0
; COMPUTE_PGM_RSRC2:TGID_X_EN: 1
; COMPUTE_PGM_RSRC2:TGID_Y_EN: 0
; COMPUTE_PGM_RSRC2:TGID_Z_EN: 0
; COMPUTE_PGM_RSRC2:TIDIG_COMP_CNT: 0
	.section	.text._ZN9rocsparseL20bsrxmvn_17_32_kernelILj19EflifffEEvT2_20rocsparse_direction_NS_24const_host_device_scalarIT0_EES1_PKS1_PKT1_SA_S7_PKT3_PKT4_S5_PT5_21rocsparse_index_base_b,"axG",@progbits,_ZN9rocsparseL20bsrxmvn_17_32_kernelILj19EflifffEEvT2_20rocsparse_direction_NS_24const_host_device_scalarIT0_EES1_PKS1_PKT1_SA_S7_PKT3_PKT4_S5_PT5_21rocsparse_index_base_b,comdat
	.globl	_ZN9rocsparseL20bsrxmvn_17_32_kernelILj19EflifffEEvT2_20rocsparse_direction_NS_24const_host_device_scalarIT0_EES1_PKS1_PKT1_SA_S7_PKT3_PKT4_S5_PT5_21rocsparse_index_base_b ; -- Begin function _ZN9rocsparseL20bsrxmvn_17_32_kernelILj19EflifffEEvT2_20rocsparse_direction_NS_24const_host_device_scalarIT0_EES1_PKS1_PKT1_SA_S7_PKT3_PKT4_S5_PT5_21rocsparse_index_base_b
	.p2align	8
	.type	_ZN9rocsparseL20bsrxmvn_17_32_kernelILj19EflifffEEvT2_20rocsparse_direction_NS_24const_host_device_scalarIT0_EES1_PKS1_PKT1_SA_S7_PKT3_PKT4_S5_PT5_21rocsparse_index_base_b,@function
_ZN9rocsparseL20bsrxmvn_17_32_kernelILj19EflifffEEvT2_20rocsparse_direction_NS_24const_host_device_scalarIT0_EES1_PKS1_PKT1_SA_S7_PKT3_PKT4_S5_PT5_21rocsparse_index_base_b: ; @_ZN9rocsparseL20bsrxmvn_17_32_kernelILj19EflifffEEvT2_20rocsparse_direction_NS_24const_host_device_scalarIT0_EES1_PKS1_PKT1_SA_S7_PKT3_PKT4_S5_PT5_21rocsparse_index_base_b
; %bb.0:
	s_clause 0x2
	s_load_b64 s[16:17], s[0:1], 0x58
	s_load_b64 s[12:13], s[0:1], 0x8
	;; [unrolled: 1-line block ×3, first 2 shown]
	s_mov_b32 s10, s15
	s_waitcnt lgkmcnt(0)
	s_bitcmp1_b32 s17, 0
	s_cselect_b32 s2, -1, 0
	s_delay_alu instid0(SALU_CYCLE_1)
	s_and_b32 vcc_lo, exec_lo, s2
	s_xor_b32 s2, s2, -1
	s_cbranch_vccnz .LBB66_2
; %bb.1:
	s_load_b32 s12, s[12:13], 0x0
.LBB66_2:
	s_and_not1_b32 vcc_lo, exec_lo, s2
	s_cbranch_vccnz .LBB66_4
; %bb.3:
	s_load_b32 s8, s[8:9], 0x0
.LBB66_4:
	s_waitcnt lgkmcnt(0)
	v_cmp_neq_f32_e64 s2, s12, 0
	v_cmp_neq_f32_e64 s3, s8, 1.0
	s_delay_alu instid0(VALU_DEP_1) | instskip(NEXT) | instid1(SALU_CYCLE_1)
	s_or_b32 s2, s2, s3
	s_and_not1_b32 vcc_lo, exec_lo, s2
	s_cbranch_vccnz .LBB66_42
; %bb.5:
	s_clause 0x1
	s_load_b128 s[4:7], s[0:1], 0x18
	s_load_b64 s[14:15], s[0:1], 0x28
	s_waitcnt lgkmcnt(0)
	s_cmp_eq_u64 s[4:5], 0
	s_cbranch_scc1 .LBB66_7
; %bb.6:
	s_ashr_i32 s11, s10, 31
	s_delay_alu instid0(SALU_CYCLE_1) | instskip(NEXT) | instid1(SALU_CYCLE_1)
	s_lshl_b64 s[2:3], s[10:11], 2
	s_add_u32 s2, s4, s2
	s_addc_u32 s3, s5, s3
	s_load_b32 s2, s[2:3], 0x0
	s_waitcnt lgkmcnt(0)
	s_sub_i32 s10, s2, s16
.LBB66_7:
	s_load_b32 s3, s[0:1], 0x4
	v_mul_u32_u24_e32 v1, 0xd7a, v0
	v_dual_mov_b32 v7, 0 :: v_dual_lshlrev_b32 v6, 2, v0
	s_delay_alu instid0(VALU_DEP_2) | instskip(NEXT) | instid1(VALU_DEP_1)
	v_lshrrev_b32_e32 v1, 16, v1
	v_mul_lo_u16 v2, v1, 19
	s_delay_alu instid0(VALU_DEP_1)
	v_sub_nc_u16 v8, v0, v2
	s_waitcnt lgkmcnt(0)
	s_cmp_eq_u32 s3, 1
	s_cselect_b32 s2, -1, 0
	s_cmp_lg_u32 s3, 1
	s_cselect_b32 s3, -1, 0
	s_ashr_i32 s11, s10, 31
	s_delay_alu instid0(SALU_CYCLE_1) | instskip(NEXT) | instid1(SALU_CYCLE_1)
	s_lshl_b64 s[4:5], s[10:11], 3
	s_add_u32 s6, s6, s4
	s_addc_u32 s7, s7, s5
	s_add_u32 s9, s6, 8
	s_addc_u32 s11, s7, 0
	;; [unrolled: 2-line block ×3, first 2 shown]
	s_cmp_eq_u64 s[14:15], 0
	s_load_b64 s[14:15], s[0:1], 0x50
	s_cselect_b32 s5, s11, s5
	s_cselect_b32 s4, s9, s4
	s_load_b64 s[22:23], s[6:7], 0x0
	s_load_b64 s[18:19], s[4:5], 0x0
	s_waitcnt lgkmcnt(0)
	v_cmp_ge_i64_e64 s4, s[22:23], s[18:19]
	s_delay_alu instid0(VALU_DEP_1)
	s_and_b32 vcc_lo, exec_lo, s4
	s_cbranch_vccnz .LBB66_12
; %bb.8:
	v_mul_lo_u16 v2, v1, 14
	v_and_b32_e32 v3, 0xffff, v0
	s_sub_u32 s18, s18, s16
	s_subb_u32 s19, s19, 0
	s_sub_u32 s20, s22, s16
	v_lshrrev_b16 v2, 8, v2
	v_mul_u32_u24_e32 v3, 0xb6, v3
	s_subb_u32 s21, s23, 0
	s_clause 0x1
	s_load_b128 s[4:7], s[0:1], 0x30
	s_load_b64 s[0:1], s[0:1], 0x40
	s_mul_hi_u32 s9, s20, 0x5a4
	v_mul_lo_u16 v2, v2, 19
	v_lshrrev_b32_e32 v9, 16, v3
	s_mul_i32 s11, s21, 0x5a4
	v_dual_mov_b32 v7, 0 :: v_dual_and_b32 v4, 0xffff, v8
	s_delay_alu instid0(VALU_DEP_3) | instskip(SKIP_2) | instid1(VALU_DEP_1)
	v_sub_nc_u16 v1, v1, v2
	s_add_i32 s9, s9, s11
	v_add_co_u32 v2, s11, s22, v9
	v_add_co_ci_u32_e64 v3, null, s23, 0, s11
	s_delay_alu instid0(VALU_DEP_3) | instskip(NEXT) | instid1(VALU_DEP_3)
	v_and_b32_e32 v1, 0xff, v1
	v_sub_co_u32 v2, vcc_lo, v2, s16
	s_delay_alu instid0(VALU_DEP_3) | instskip(NEXT) | instid1(VALU_DEP_3)
	v_subrev_co_ci_u32_e32 v3, vcc_lo, 0, v3, vcc_lo
	v_cndmask_b32_e64 v1, v4, v1, s2
	v_lshlrev_b32_e32 v10, 2, v0
	s_mul_i32 s13, s20, 0x5a4
	s_delay_alu instid0(VALU_DEP_3) | instskip(SKIP_4) | instid1(VALU_DEP_1)
	v_lshlrev_b64 v[4:5], 2, v[2:3]
	s_waitcnt lgkmcnt(0)
	s_add_u32 s2, s6, s13
	s_addc_u32 s6, s7, s9
	v_add_co_u32 v2, s2, s2, v10
	v_add_co_ci_u32_e64 v3, null, s6, 0, s2
	v_add_co_u32 v4, vcc_lo, s4, v4
	v_add_co_ci_u32_e32 v5, vcc_lo, s5, v5, vcc_lo
	s_set_inst_prefetch_distance 0x1
	s_branch .LBB66_10
	.p2align	6
.LBB66_9:                               ;   in Loop: Header=BB66_10 Depth=1
	s_or_b32 exec_lo, exec_lo, s2
	s_add_u32 s20, s20, 1
	s_addc_u32 s21, s21, 0
	v_add_co_u32 v4, vcc_lo, v4, 4
	v_cmp_lt_i64_e64 s2, s[20:21], s[18:19]
	v_add_co_ci_u32_e32 v5, vcc_lo, 0, v5, vcc_lo
	s_delay_alu instid0(VALU_DEP_2)
	s_and_b32 vcc_lo, exec_lo, s2
	s_cbranch_vccz .LBB66_12
.LBB66_10:                              ; =>This Inner Loop Header: Depth=1
	v_add_co_u32 v10, s2, v9, s20
	s_delay_alu instid0(VALU_DEP_1) | instskip(SKIP_1) | instid1(VALU_DEP_1)
	v_add_co_ci_u32_e64 v11, null, 0, s21, s2
	s_mov_b32 s2, exec_lo
	v_cmpx_gt_i64_e64 s[18:19], v[10:11]
	s_cbranch_execz .LBB66_9
; %bb.11:                               ;   in Loop: Header=BB66_10 Depth=1
	global_load_b32 v10, v[4:5], off
	s_waitcnt vmcnt(0)
	v_subrev_nc_u32_e32 v12, s16, v10
	s_delay_alu instid0(VALU_DEP_1) | instskip(NEXT) | instid1(VALU_DEP_1)
	v_mad_u64_u32 v[10:11], null, v12, 19, v[1:2]
	v_ashrrev_i32_e32 v11, 31, v10
	s_delay_alu instid0(VALU_DEP_1) | instskip(NEXT) | instid1(VALU_DEP_1)
	v_lshlrev_b64 v[10:11], 2, v[10:11]
	v_add_co_u32 v10, vcc_lo, s0, v10
	s_delay_alu instid0(VALU_DEP_2)
	v_add_co_ci_u32_e32 v11, vcc_lo, s1, v11, vcc_lo
	global_load_b32 v12, v[2:3], off
	global_load_b32 v10, v[10:11], off
	v_add_co_u32 v2, vcc_lo, 0x5a4, v2
	v_add_co_ci_u32_e32 v3, vcc_lo, 0, v3, vcc_lo
	s_waitcnt vmcnt(0)
	v_fmac_f32_e32 v7, v12, v10
	s_branch .LBB66_9
.LBB66_12:
	s_set_inst_prefetch_distance 0x2
	s_and_b32 vcc_lo, exec_lo, s3
	ds_store_b32 v6, v7
	s_waitcnt lgkmcnt(0)
	s_barrier
	buffer_gl0_inv
	s_cbranch_vccz .LBB66_24
; %bb.13:
	s_mov_b32 s0, exec_lo
	v_cmpx_gt_u16_e32 3, v8
	s_cbranch_execz .LBB66_15
; %bb.14:
	ds_load_2addr_b32 v[1:2], v6 offset1:16
	s_waitcnt lgkmcnt(0)
	v_add_f32_e32 v1, v2, v1
	ds_store_b32 v6, v1
.LBB66_15:
	s_or_b32 exec_lo, exec_lo, s0
	s_delay_alu instid0(SALU_CYCLE_1)
	s_mov_b32 s0, exec_lo
	s_waitcnt lgkmcnt(0)
	s_barrier
	buffer_gl0_inv
	v_cmpx_gt_u16_e32 8, v8
	s_cbranch_execz .LBB66_17
; %bb.16:
	ds_load_2addr_b32 v[1:2], v6 offset1:8
	s_waitcnt lgkmcnt(0)
	v_add_f32_e32 v1, v2, v1
	ds_store_b32 v6, v1
.LBB66_17:
	s_or_b32 exec_lo, exec_lo, s0
	s_delay_alu instid0(SALU_CYCLE_1)
	s_mov_b32 s0, exec_lo
	s_waitcnt lgkmcnt(0)
	s_barrier
	buffer_gl0_inv
	;; [unrolled: 14-line block ×3, first 2 shown]
	v_cmpx_gt_u16_e32 2, v8
	s_cbranch_execz .LBB66_21
; %bb.20:
	ds_load_2addr_b32 v[1:2], v6 offset1:2
	s_waitcnt lgkmcnt(0)
	v_add_f32_e32 v1, v2, v1
	ds_store_b32 v6, v1
.LBB66_21:
	s_or_b32 exec_lo, exec_lo, s0
	s_mov_b32 s1, 0
	s_mov_b32 s0, 0
	s_mov_b32 s2, exec_lo
	s_waitcnt lgkmcnt(0)
	s_barrier
	buffer_gl0_inv
                                        ; implicit-def: $vgpr1
                                        ; implicit-def: $vgpr2
	v_cmpx_gt_u32_e32 19, v0
	s_xor_b32 s2, exec_lo, s2
; %bb.22:
	v_mad_u32_u24 v1, v0, 19, 1
	v_mad_u32_u24 v2, 0x48, v0, v6
	s_mov_b32 s0, exec_lo
; %bb.23:
	s_or_b32 exec_lo, exec_lo, s2
	s_delay_alu instid0(SALU_CYCLE_1)
	s_and_b32 vcc_lo, exec_lo, s1
	s_cbranch_vccnz .LBB66_25
	s_branch .LBB66_36
.LBB66_24:
	s_mov_b32 s0, 0
                                        ; implicit-def: $vgpr1
                                        ; implicit-def: $vgpr2
	s_cbranch_execz .LBB66_36
.LBB66_25:
	s_mov_b32 s1, exec_lo
	v_cmpx_gt_u32_e32 57, v0
	s_cbranch_execz .LBB66_27
; %bb.26:
	ds_load_b32 v1, v6 offset:1216
	ds_load_b32 v2, v6
	s_waitcnt lgkmcnt(0)
	v_add_f32_e32 v1, v1, v2
	ds_store_b32 v6, v1
.LBB66_27:
	s_or_b32 exec_lo, exec_lo, s1
	s_delay_alu instid0(SALU_CYCLE_1)
	s_mov_b32 s1, exec_lo
	s_waitcnt lgkmcnt(0)
	s_barrier
	buffer_gl0_inv
	v_cmpx_gt_u32_e32 0x98, v0
	s_cbranch_execz .LBB66_29
; %bb.28:
	ds_load_2addr_b32 v[1:2], v6 offset1:152
	s_waitcnt lgkmcnt(0)
	v_add_f32_e32 v1, v2, v1
	ds_store_b32 v6, v1
.LBB66_29:
	s_or_b32 exec_lo, exec_lo, s1
	s_delay_alu instid0(SALU_CYCLE_1)
	s_mov_b32 s1, exec_lo
	s_waitcnt lgkmcnt(0)
	s_barrier
	buffer_gl0_inv
	v_cmpx_gt_u32_e32 0x4c, v0
	s_cbranch_execz .LBB66_31
; %bb.30:
	ds_load_2addr_b32 v[1:2], v6 offset1:76
	s_waitcnt lgkmcnt(0)
	v_add_f32_e32 v1, v2, v1
	ds_store_b32 v6, v1
.LBB66_31:
	;; [unrolled: 14-line block ×3, first 2 shown]
	s_or_b32 exec_lo, exec_lo, s1
	s_delay_alu instid0(SALU_CYCLE_1)
	s_mov_b32 s1, exec_lo
	s_waitcnt lgkmcnt(0)
	buffer_gl0_inv
                                        ; implicit-def: $vgpr1
	v_cmpx_gt_u32_e32 19, v0
; %bb.34:
	v_add_nc_u32_e32 v1, 19, v0
	s_or_b32 s0, s0, exec_lo
                                        ; implicit-def: $vgpr7
; %bb.35:
	s_or_b32 exec_lo, exec_lo, s1
	v_mov_b32_e32 v2, v6
.LBB66_36:
	s_and_saveexec_b32 s1, s0
	s_cbranch_execz .LBB66_38
; %bb.37:
	v_lshlrev_b32_e32 v1, 2, v1
	ds_load_b32 v2, v2
	ds_load_b32 v1, v1
	s_waitcnt lgkmcnt(0)
	v_add_f32_e32 v7, v2, v1
.LBB66_38:
	s_or_b32 exec_lo, exec_lo, s1
	s_delay_alu instid0(SALU_CYCLE_1)
	s_mov_b32 s0, exec_lo
	v_cmpx_gt_u32_e32 19, v0
	s_cbranch_execz .LBB66_42
; %bb.39:
	v_cmp_eq_f32_e64 s0, s8, 0
	v_mul_f32_e32 v1, s12, v7
	s_delay_alu instid0(VALU_DEP_2)
	s_and_b32 vcc_lo, exec_lo, s0
	s_mov_b32 s0, 0
	s_cbranch_vccz .LBB66_43
; %bb.40:
	s_delay_alu instid0(VALU_DEP_1) | instskip(SKIP_1) | instid1(VALU_DEP_1)
	v_mad_u64_u32 v[2:3], null, s10, 19, v[0:1]
	v_mov_b32_e32 v3, 0
	v_lshlrev_b64 v[2:3], 2, v[2:3]
	s_delay_alu instid0(VALU_DEP_1) | instskip(NEXT) | instid1(VALU_DEP_2)
	v_add_co_u32 v2, vcc_lo, s14, v2
	v_add_co_ci_u32_e32 v3, vcc_lo, s15, v3, vcc_lo
	global_store_b32 v[2:3], v1, off
	s_and_not1_b32 vcc_lo, exec_lo, s0
	s_cbranch_vccnz .LBB66_42
.LBB66_41:
	v_mad_u64_u32 v[2:3], null, s10, 19, v[0:1]
	v_mov_b32_e32 v3, 0
	s_delay_alu instid0(VALU_DEP_1) | instskip(NEXT) | instid1(VALU_DEP_1)
	v_lshlrev_b64 v[2:3], 2, v[2:3]
	v_add_co_u32 v2, vcc_lo, s14, v2
	s_delay_alu instid0(VALU_DEP_2)
	v_add_co_ci_u32_e32 v3, vcc_lo, s15, v3, vcc_lo
	global_load_b32 v0, v[2:3], off
	s_waitcnt vmcnt(0)
	v_fmac_f32_e32 v1, s8, v0
	global_store_b32 v[2:3], v1, off
.LBB66_42:
	s_nop 0
	s_sendmsg sendmsg(MSG_DEALLOC_VGPRS)
	s_endpgm
.LBB66_43:
	s_branch .LBB66_41
	.section	.rodata,"a",@progbits
	.p2align	6, 0x0
	.amdhsa_kernel _ZN9rocsparseL20bsrxmvn_17_32_kernelILj19EflifffEEvT2_20rocsparse_direction_NS_24const_host_device_scalarIT0_EES1_PKS1_PKT1_SA_S7_PKT3_PKT4_S5_PT5_21rocsparse_index_base_b
		.amdhsa_group_segment_fixed_size 1444
		.amdhsa_private_segment_fixed_size 0
		.amdhsa_kernarg_size 96
		.amdhsa_user_sgpr_count 15
		.amdhsa_user_sgpr_dispatch_ptr 0
		.amdhsa_user_sgpr_queue_ptr 0
		.amdhsa_user_sgpr_kernarg_segment_ptr 1
		.amdhsa_user_sgpr_dispatch_id 0
		.amdhsa_user_sgpr_private_segment_size 0
		.amdhsa_wavefront_size32 1
		.amdhsa_uses_dynamic_stack 0
		.amdhsa_enable_private_segment 0
		.amdhsa_system_sgpr_workgroup_id_x 1
		.amdhsa_system_sgpr_workgroup_id_y 0
		.amdhsa_system_sgpr_workgroup_id_z 0
		.amdhsa_system_sgpr_workgroup_info 0
		.amdhsa_system_vgpr_workitem_id 0
		.amdhsa_next_free_vgpr 13
		.amdhsa_next_free_sgpr 24
		.amdhsa_reserve_vcc 1
		.amdhsa_float_round_mode_32 0
		.amdhsa_float_round_mode_16_64 0
		.amdhsa_float_denorm_mode_32 3
		.amdhsa_float_denorm_mode_16_64 3
		.amdhsa_dx10_clamp 1
		.amdhsa_ieee_mode 1
		.amdhsa_fp16_overflow 0
		.amdhsa_workgroup_processor_mode 1
		.amdhsa_memory_ordered 1
		.amdhsa_forward_progress 0
		.amdhsa_shared_vgpr_count 0
		.amdhsa_exception_fp_ieee_invalid_op 0
		.amdhsa_exception_fp_denorm_src 0
		.amdhsa_exception_fp_ieee_div_zero 0
		.amdhsa_exception_fp_ieee_overflow 0
		.amdhsa_exception_fp_ieee_underflow 0
		.amdhsa_exception_fp_ieee_inexact 0
		.amdhsa_exception_int_div_zero 0
	.end_amdhsa_kernel
	.section	.text._ZN9rocsparseL20bsrxmvn_17_32_kernelILj19EflifffEEvT2_20rocsparse_direction_NS_24const_host_device_scalarIT0_EES1_PKS1_PKT1_SA_S7_PKT3_PKT4_S5_PT5_21rocsparse_index_base_b,"axG",@progbits,_ZN9rocsparseL20bsrxmvn_17_32_kernelILj19EflifffEEvT2_20rocsparse_direction_NS_24const_host_device_scalarIT0_EES1_PKS1_PKT1_SA_S7_PKT3_PKT4_S5_PT5_21rocsparse_index_base_b,comdat
.Lfunc_end66:
	.size	_ZN9rocsparseL20bsrxmvn_17_32_kernelILj19EflifffEEvT2_20rocsparse_direction_NS_24const_host_device_scalarIT0_EES1_PKS1_PKT1_SA_S7_PKT3_PKT4_S5_PT5_21rocsparse_index_base_b, .Lfunc_end66-_ZN9rocsparseL20bsrxmvn_17_32_kernelILj19EflifffEEvT2_20rocsparse_direction_NS_24const_host_device_scalarIT0_EES1_PKS1_PKT1_SA_S7_PKT3_PKT4_S5_PT5_21rocsparse_index_base_b
                                        ; -- End function
	.section	.AMDGPU.csdata,"",@progbits
; Kernel info:
; codeLenInByte = 1628
; NumSgprs: 26
; NumVgprs: 13
; ScratchSize: 0
; MemoryBound: 0
; FloatMode: 240
; IeeeMode: 1
; LDSByteSize: 1444 bytes/workgroup (compile time only)
; SGPRBlocks: 3
; VGPRBlocks: 1
; NumSGPRsForWavesPerEU: 26
; NumVGPRsForWavesPerEU: 13
; Occupancy: 15
; WaveLimiterHint : 1
; COMPUTE_PGM_RSRC2:SCRATCH_EN: 0
; COMPUTE_PGM_RSRC2:USER_SGPR: 15
; COMPUTE_PGM_RSRC2:TRAP_HANDLER: 0
; COMPUTE_PGM_RSRC2:TGID_X_EN: 1
; COMPUTE_PGM_RSRC2:TGID_Y_EN: 0
; COMPUTE_PGM_RSRC2:TGID_Z_EN: 0
; COMPUTE_PGM_RSRC2:TIDIG_COMP_CNT: 0
	.section	.text._ZN9rocsparseL20bsrxmvn_17_32_kernelILj20EflifffEEvT2_20rocsparse_direction_NS_24const_host_device_scalarIT0_EES1_PKS1_PKT1_SA_S7_PKT3_PKT4_S5_PT5_21rocsparse_index_base_b,"axG",@progbits,_ZN9rocsparseL20bsrxmvn_17_32_kernelILj20EflifffEEvT2_20rocsparse_direction_NS_24const_host_device_scalarIT0_EES1_PKS1_PKT1_SA_S7_PKT3_PKT4_S5_PT5_21rocsparse_index_base_b,comdat
	.globl	_ZN9rocsparseL20bsrxmvn_17_32_kernelILj20EflifffEEvT2_20rocsparse_direction_NS_24const_host_device_scalarIT0_EES1_PKS1_PKT1_SA_S7_PKT3_PKT4_S5_PT5_21rocsparse_index_base_b ; -- Begin function _ZN9rocsparseL20bsrxmvn_17_32_kernelILj20EflifffEEvT2_20rocsparse_direction_NS_24const_host_device_scalarIT0_EES1_PKS1_PKT1_SA_S7_PKT3_PKT4_S5_PT5_21rocsparse_index_base_b
	.p2align	8
	.type	_ZN9rocsparseL20bsrxmvn_17_32_kernelILj20EflifffEEvT2_20rocsparse_direction_NS_24const_host_device_scalarIT0_EES1_PKS1_PKT1_SA_S7_PKT3_PKT4_S5_PT5_21rocsparse_index_base_b,@function
_ZN9rocsparseL20bsrxmvn_17_32_kernelILj20EflifffEEvT2_20rocsparse_direction_NS_24const_host_device_scalarIT0_EES1_PKS1_PKT1_SA_S7_PKT3_PKT4_S5_PT5_21rocsparse_index_base_b: ; @_ZN9rocsparseL20bsrxmvn_17_32_kernelILj20EflifffEEvT2_20rocsparse_direction_NS_24const_host_device_scalarIT0_EES1_PKS1_PKT1_SA_S7_PKT3_PKT4_S5_PT5_21rocsparse_index_base_b
; %bb.0:
	s_clause 0x2
	s_load_b64 s[16:17], s[0:1], 0x58
	s_load_b64 s[12:13], s[0:1], 0x8
	;; [unrolled: 1-line block ×3, first 2 shown]
	s_mov_b32 s10, s15
	s_waitcnt lgkmcnt(0)
	s_bitcmp1_b32 s17, 0
	s_cselect_b32 s2, -1, 0
	s_delay_alu instid0(SALU_CYCLE_1)
	s_and_b32 vcc_lo, exec_lo, s2
	s_xor_b32 s2, s2, -1
	s_cbranch_vccnz .LBB67_2
; %bb.1:
	s_load_b32 s12, s[12:13], 0x0
.LBB67_2:
	s_and_not1_b32 vcc_lo, exec_lo, s2
	s_cbranch_vccnz .LBB67_4
; %bb.3:
	s_load_b32 s8, s[8:9], 0x0
.LBB67_4:
	s_waitcnt lgkmcnt(0)
	v_cmp_neq_f32_e64 s2, s12, 0
	v_cmp_neq_f32_e64 s3, s8, 1.0
	s_delay_alu instid0(VALU_DEP_1) | instskip(NEXT) | instid1(SALU_CYCLE_1)
	s_or_b32 s2, s2, s3
	s_and_not1_b32 vcc_lo, exec_lo, s2
	s_cbranch_vccnz .LBB67_42
; %bb.5:
	s_clause 0x1
	s_load_b128 s[4:7], s[0:1], 0x18
	s_load_b64 s[14:15], s[0:1], 0x28
	s_waitcnt lgkmcnt(0)
	s_cmp_eq_u64 s[4:5], 0
	s_cbranch_scc1 .LBB67_7
; %bb.6:
	s_ashr_i32 s11, s10, 31
	s_delay_alu instid0(SALU_CYCLE_1) | instskip(NEXT) | instid1(SALU_CYCLE_1)
	s_lshl_b64 s[2:3], s[10:11], 2
	s_add_u32 s2, s4, s2
	s_addc_u32 s3, s5, s3
	s_load_b32 s2, s[2:3], 0x0
	s_waitcnt lgkmcnt(0)
	s_sub_i32 s10, s2, s16
.LBB67_7:
	s_load_b32 s3, s[0:1], 0x4
	v_mul_u32_u24_e32 v1, 0xccd, v0
	v_dual_mov_b32 v7, 0 :: v_dual_lshlrev_b32 v6, 2, v0
	s_delay_alu instid0(VALU_DEP_2) | instskip(NEXT) | instid1(VALU_DEP_1)
	v_lshrrev_b32_e32 v1, 16, v1
	v_mul_lo_u16 v2, v1, 20
	s_delay_alu instid0(VALU_DEP_1)
	v_sub_nc_u16 v8, v0, v2
	s_waitcnt lgkmcnt(0)
	s_cmp_eq_u32 s3, 1
	s_cselect_b32 s2, -1, 0
	s_cmp_lg_u32 s3, 1
	s_cselect_b32 s3, -1, 0
	s_ashr_i32 s11, s10, 31
	s_delay_alu instid0(SALU_CYCLE_1) | instskip(NEXT) | instid1(SALU_CYCLE_1)
	s_lshl_b64 s[4:5], s[10:11], 3
	s_add_u32 s6, s6, s4
	s_addc_u32 s7, s7, s5
	s_add_u32 s9, s6, 8
	s_addc_u32 s11, s7, 0
	;; [unrolled: 2-line block ×3, first 2 shown]
	s_cmp_eq_u64 s[14:15], 0
	s_load_b64 s[14:15], s[0:1], 0x50
	s_cselect_b32 s5, s11, s5
	s_cselect_b32 s4, s9, s4
	s_load_b64 s[22:23], s[6:7], 0x0
	s_load_b64 s[18:19], s[4:5], 0x0
	s_waitcnt lgkmcnt(0)
	v_cmp_ge_i64_e64 s4, s[22:23], s[18:19]
	s_delay_alu instid0(VALU_DEP_1)
	s_and_b32 vcc_lo, exec_lo, s4
	s_cbranch_vccnz .LBB67_12
; %bb.8:
	v_mul_lo_u16 v2, v1, 13
	v_and_b32_e32 v3, 0xffff, v0
	s_sub_u32 s18, s18, s16
	s_subb_u32 s19, s19, 0
	s_sub_u32 s20, s22, s16
	v_lshrrev_b16 v2, 8, v2
	v_mul_u32_u24_e32 v3, 0xa4, v3
	s_subb_u32 s21, s23, 0
	s_clause 0x1
	s_load_b128 s[4:7], s[0:1], 0x30
	s_load_b64 s[0:1], s[0:1], 0x40
	s_mul_hi_u32 s9, s20, 0x640
	v_mul_lo_u16 v2, v2, 20
	v_lshrrev_b32_e32 v9, 16, v3
	s_mul_i32 s11, s21, 0x640
	v_dual_mov_b32 v7, 0 :: v_dual_and_b32 v4, 0xffff, v8
	s_delay_alu instid0(VALU_DEP_3) | instskip(SKIP_2) | instid1(VALU_DEP_1)
	v_sub_nc_u16 v1, v1, v2
	s_add_i32 s9, s9, s11
	v_add_co_u32 v2, s11, s22, v9
	v_add_co_ci_u32_e64 v3, null, s23, 0, s11
	s_delay_alu instid0(VALU_DEP_3) | instskip(NEXT) | instid1(VALU_DEP_3)
	v_and_b32_e32 v1, 0xff, v1
	v_sub_co_u32 v2, vcc_lo, v2, s16
	s_delay_alu instid0(VALU_DEP_3) | instskip(NEXT) | instid1(VALU_DEP_3)
	v_subrev_co_ci_u32_e32 v3, vcc_lo, 0, v3, vcc_lo
	v_cndmask_b32_e64 v1, v4, v1, s2
	v_lshlrev_b32_e32 v10, 2, v0
	s_mul_i32 s13, s20, 0x640
	s_delay_alu instid0(VALU_DEP_3) | instskip(SKIP_4) | instid1(VALU_DEP_1)
	v_lshlrev_b64 v[4:5], 2, v[2:3]
	s_waitcnt lgkmcnt(0)
	s_add_u32 s2, s6, s13
	s_addc_u32 s6, s7, s9
	v_add_co_u32 v2, s2, s2, v10
	v_add_co_ci_u32_e64 v3, null, s6, 0, s2
	v_add_co_u32 v4, vcc_lo, s4, v4
	v_add_co_ci_u32_e32 v5, vcc_lo, s5, v5, vcc_lo
	s_set_inst_prefetch_distance 0x1
	s_branch .LBB67_10
	.p2align	6
.LBB67_9:                               ;   in Loop: Header=BB67_10 Depth=1
	s_or_b32 exec_lo, exec_lo, s2
	s_add_u32 s20, s20, 1
	s_addc_u32 s21, s21, 0
	v_add_co_u32 v4, vcc_lo, v4, 4
	v_cmp_lt_i64_e64 s2, s[20:21], s[18:19]
	v_add_co_ci_u32_e32 v5, vcc_lo, 0, v5, vcc_lo
	s_delay_alu instid0(VALU_DEP_2)
	s_and_b32 vcc_lo, exec_lo, s2
	s_cbranch_vccz .LBB67_12
.LBB67_10:                              ; =>This Inner Loop Header: Depth=1
	v_add_co_u32 v10, s2, v9, s20
	s_delay_alu instid0(VALU_DEP_1) | instskip(SKIP_1) | instid1(VALU_DEP_1)
	v_add_co_ci_u32_e64 v11, null, 0, s21, s2
	s_mov_b32 s2, exec_lo
	v_cmpx_gt_i64_e64 s[18:19], v[10:11]
	s_cbranch_execz .LBB67_9
; %bb.11:                               ;   in Loop: Header=BB67_10 Depth=1
	global_load_b32 v10, v[4:5], off
	s_waitcnt vmcnt(0)
	v_subrev_nc_u32_e32 v12, s16, v10
	s_delay_alu instid0(VALU_DEP_1) | instskip(NEXT) | instid1(VALU_DEP_1)
	v_mad_u64_u32 v[10:11], null, v12, 20, v[1:2]
	v_ashrrev_i32_e32 v11, 31, v10
	s_delay_alu instid0(VALU_DEP_1) | instskip(NEXT) | instid1(VALU_DEP_1)
	v_lshlrev_b64 v[10:11], 2, v[10:11]
	v_add_co_u32 v10, vcc_lo, s0, v10
	s_delay_alu instid0(VALU_DEP_2)
	v_add_co_ci_u32_e32 v11, vcc_lo, s1, v11, vcc_lo
	global_load_b32 v12, v[2:3], off
	global_load_b32 v10, v[10:11], off
	v_add_co_u32 v2, vcc_lo, 0x640, v2
	v_add_co_ci_u32_e32 v3, vcc_lo, 0, v3, vcc_lo
	s_waitcnt vmcnt(0)
	v_fmac_f32_e32 v7, v12, v10
	s_branch .LBB67_9
.LBB67_12:
	s_set_inst_prefetch_distance 0x2
	s_and_b32 vcc_lo, exec_lo, s3
	ds_store_b32 v6, v7
	s_waitcnt lgkmcnt(0)
	s_barrier
	buffer_gl0_inv
	s_cbranch_vccz .LBB67_24
; %bb.13:
	v_cmp_gt_u16_e32 vcc_lo, 4, v8
	s_and_saveexec_b32 s0, vcc_lo
	s_cbranch_execz .LBB67_15
; %bb.14:
	ds_load_2addr_b32 v[1:2], v6 offset1:16
	s_waitcnt lgkmcnt(0)
	v_add_f32_e32 v1, v2, v1
	ds_store_b32 v6, v1
.LBB67_15:
	s_or_b32 exec_lo, exec_lo, s0
	s_delay_alu instid0(SALU_CYCLE_1)
	s_mov_b32 s1, exec_lo
	s_waitcnt lgkmcnt(0)
	s_barrier
	buffer_gl0_inv
	v_cmpx_gt_u16_e32 8, v8
	s_cbranch_execz .LBB67_17
; %bb.16:
	ds_load_2addr_b32 v[1:2], v6 offset1:8
	s_waitcnt lgkmcnt(0)
	v_add_f32_e32 v1, v2, v1
	ds_store_b32 v6, v1
.LBB67_17:
	s_or_b32 exec_lo, exec_lo, s1
	s_waitcnt lgkmcnt(0)
	s_barrier
	buffer_gl0_inv
	s_and_saveexec_b32 s0, vcc_lo
	s_cbranch_execz .LBB67_19
; %bb.18:
	ds_load_2addr_b32 v[1:2], v6 offset1:4
	s_waitcnt lgkmcnt(0)
	v_add_f32_e32 v1, v2, v1
	ds_store_b32 v6, v1
.LBB67_19:
	s_or_b32 exec_lo, exec_lo, s0
	s_delay_alu instid0(SALU_CYCLE_1)
	s_mov_b32 s0, exec_lo
	s_waitcnt lgkmcnt(0)
	s_barrier
	buffer_gl0_inv
	v_cmpx_gt_u16_e32 2, v8
	s_cbranch_execz .LBB67_21
; %bb.20:
	ds_load_2addr_b32 v[1:2], v6 offset1:2
	s_waitcnt lgkmcnt(0)
	v_add_f32_e32 v1, v2, v1
	ds_store_b32 v6, v1
.LBB67_21:
	s_or_b32 exec_lo, exec_lo, s0
	s_mov_b32 s0, 0
	s_mov_b32 s1, 0
	s_mov_b32 s2, exec_lo
	s_waitcnt lgkmcnt(0)
	s_barrier
	buffer_gl0_inv
                                        ; implicit-def: $vgpr1
                                        ; implicit-def: $vgpr2
	v_cmpx_gt_u32_e32 20, v0
	s_xor_b32 s2, exec_lo, s2
; %bb.22:
	v_mul_u32_u24_e32 v1, 20, v0
	v_mad_u32_u24 v2, 0x4c, v0, v6
	s_mov_b32 s1, exec_lo
	s_delay_alu instid0(VALU_DEP_2)
	v_or_b32_e32 v1, 1, v1
; %bb.23:
	s_or_b32 exec_lo, exec_lo, s2
	s_delay_alu instid0(SALU_CYCLE_1)
	s_and_b32 vcc_lo, exec_lo, s0
	s_cbranch_vccnz .LBB67_25
	s_branch .LBB67_36
.LBB67_24:
	s_mov_b32 s1, 0
                                        ; implicit-def: $vgpr1
                                        ; implicit-def: $vgpr2
	s_cbranch_execz .LBB67_36
.LBB67_25:
	v_cmp_gt_u32_e32 vcc_lo, 0x50, v0
	s_and_saveexec_b32 s0, vcc_lo
	s_cbranch_execz .LBB67_27
; %bb.26:
	ds_load_2addr_stride64_b32 v[1:2], v6 offset1:5
	s_waitcnt lgkmcnt(0)
	v_add_f32_e32 v1, v2, v1
	ds_store_b32 v6, v1
.LBB67_27:
	s_or_b32 exec_lo, exec_lo, s0
	s_delay_alu instid0(SALU_CYCLE_1)
	s_mov_b32 s2, exec_lo
	s_waitcnt lgkmcnt(0)
	s_barrier
	buffer_gl0_inv
	v_cmpx_gt_u32_e32 0xa0, v0
	s_cbranch_execz .LBB67_29
; %bb.28:
	ds_load_2addr_b32 v[1:2], v6 offset1:160
	s_waitcnt lgkmcnt(0)
	v_add_f32_e32 v1, v2, v1
	ds_store_b32 v6, v1
.LBB67_29:
	s_or_b32 exec_lo, exec_lo, s2
	s_waitcnt lgkmcnt(0)
	s_barrier
	buffer_gl0_inv
	s_and_saveexec_b32 s0, vcc_lo
	s_cbranch_execz .LBB67_31
; %bb.30:
	ds_load_2addr_b32 v[1:2], v6 offset1:80
	s_waitcnt lgkmcnt(0)
	v_add_f32_e32 v1, v2, v1
	ds_store_b32 v6, v1
.LBB67_31:
	s_or_b32 exec_lo, exec_lo, s0
	s_delay_alu instid0(SALU_CYCLE_1)
	s_mov_b32 s0, exec_lo
	s_waitcnt lgkmcnt(0)
	s_barrier
	buffer_gl0_inv
	v_cmpx_gt_u32_e32 40, v0
	s_cbranch_execz .LBB67_33
; %bb.32:
	ds_load_2addr_b32 v[1:2], v6 offset1:40
	s_waitcnt lgkmcnt(0)
	v_add_f32_e32 v1, v2, v1
	ds_store_b32 v6, v1
.LBB67_33:
	s_or_b32 exec_lo, exec_lo, s0
	s_delay_alu instid0(SALU_CYCLE_1)
	s_mov_b32 s0, exec_lo
	s_waitcnt lgkmcnt(0)
	buffer_gl0_inv
                                        ; implicit-def: $vgpr1
	v_cmpx_gt_u32_e32 20, v0
; %bb.34:
	v_add_nc_u32_e32 v1, 20, v0
	s_or_b32 s1, s1, exec_lo
                                        ; implicit-def: $vgpr7
; %bb.35:
	s_or_b32 exec_lo, exec_lo, s0
	v_mov_b32_e32 v2, v6
.LBB67_36:
	s_and_saveexec_b32 s0, s1
	s_cbranch_execz .LBB67_38
; %bb.37:
	v_lshlrev_b32_e32 v1, 2, v1
	ds_load_b32 v2, v2
	ds_load_b32 v1, v1
	s_waitcnt lgkmcnt(0)
	v_add_f32_e32 v7, v2, v1
.LBB67_38:
	s_or_b32 exec_lo, exec_lo, s0
	s_delay_alu instid0(SALU_CYCLE_1)
	s_mov_b32 s0, exec_lo
	v_cmpx_gt_u32_e32 20, v0
	s_cbranch_execz .LBB67_42
; %bb.39:
	v_cmp_eq_f32_e64 s0, s8, 0
	v_mul_f32_e32 v1, s12, v7
	s_delay_alu instid0(VALU_DEP_2)
	s_and_b32 vcc_lo, exec_lo, s0
	s_mov_b32 s0, 0
	s_cbranch_vccz .LBB67_43
; %bb.40:
	s_delay_alu instid0(VALU_DEP_1) | instskip(SKIP_1) | instid1(VALU_DEP_1)
	v_mad_u64_u32 v[2:3], null, s10, 20, v[0:1]
	v_mov_b32_e32 v3, 0
	v_lshlrev_b64 v[2:3], 2, v[2:3]
	s_delay_alu instid0(VALU_DEP_1) | instskip(NEXT) | instid1(VALU_DEP_2)
	v_add_co_u32 v2, vcc_lo, s14, v2
	v_add_co_ci_u32_e32 v3, vcc_lo, s15, v3, vcc_lo
	global_store_b32 v[2:3], v1, off
	s_and_not1_b32 vcc_lo, exec_lo, s0
	s_cbranch_vccnz .LBB67_42
.LBB67_41:
	v_mad_u64_u32 v[2:3], null, s10, 20, v[0:1]
	v_mov_b32_e32 v3, 0
	s_delay_alu instid0(VALU_DEP_1) | instskip(NEXT) | instid1(VALU_DEP_1)
	v_lshlrev_b64 v[2:3], 2, v[2:3]
	v_add_co_u32 v2, vcc_lo, s14, v2
	s_delay_alu instid0(VALU_DEP_2)
	v_add_co_ci_u32_e32 v3, vcc_lo, s15, v3, vcc_lo
	global_load_b32 v0, v[2:3], off
	s_waitcnt vmcnt(0)
	v_fmac_f32_e32 v1, s8, v0
	global_store_b32 v[2:3], v1, off
.LBB67_42:
	s_nop 0
	s_sendmsg sendmsg(MSG_DEALLOC_VGPRS)
	s_endpgm
.LBB67_43:
	s_branch .LBB67_41
	.section	.rodata,"a",@progbits
	.p2align	6, 0x0
	.amdhsa_kernel _ZN9rocsparseL20bsrxmvn_17_32_kernelILj20EflifffEEvT2_20rocsparse_direction_NS_24const_host_device_scalarIT0_EES1_PKS1_PKT1_SA_S7_PKT3_PKT4_S5_PT5_21rocsparse_index_base_b
		.amdhsa_group_segment_fixed_size 1600
		.amdhsa_private_segment_fixed_size 0
		.amdhsa_kernarg_size 96
		.amdhsa_user_sgpr_count 15
		.amdhsa_user_sgpr_dispatch_ptr 0
		.amdhsa_user_sgpr_queue_ptr 0
		.amdhsa_user_sgpr_kernarg_segment_ptr 1
		.amdhsa_user_sgpr_dispatch_id 0
		.amdhsa_user_sgpr_private_segment_size 0
		.amdhsa_wavefront_size32 1
		.amdhsa_uses_dynamic_stack 0
		.amdhsa_enable_private_segment 0
		.amdhsa_system_sgpr_workgroup_id_x 1
		.amdhsa_system_sgpr_workgroup_id_y 0
		.amdhsa_system_sgpr_workgroup_id_z 0
		.amdhsa_system_sgpr_workgroup_info 0
		.amdhsa_system_vgpr_workitem_id 0
		.amdhsa_next_free_vgpr 13
		.amdhsa_next_free_sgpr 24
		.amdhsa_reserve_vcc 1
		.amdhsa_float_round_mode_32 0
		.amdhsa_float_round_mode_16_64 0
		.amdhsa_float_denorm_mode_32 3
		.amdhsa_float_denorm_mode_16_64 3
		.amdhsa_dx10_clamp 1
		.amdhsa_ieee_mode 1
		.amdhsa_fp16_overflow 0
		.amdhsa_workgroup_processor_mode 1
		.amdhsa_memory_ordered 1
		.amdhsa_forward_progress 0
		.amdhsa_shared_vgpr_count 0
		.amdhsa_exception_fp_ieee_invalid_op 0
		.amdhsa_exception_fp_denorm_src 0
		.amdhsa_exception_fp_ieee_div_zero 0
		.amdhsa_exception_fp_ieee_overflow 0
		.amdhsa_exception_fp_ieee_underflow 0
		.amdhsa_exception_fp_ieee_inexact 0
		.amdhsa_exception_int_div_zero 0
	.end_amdhsa_kernel
	.section	.text._ZN9rocsparseL20bsrxmvn_17_32_kernelILj20EflifffEEvT2_20rocsparse_direction_NS_24const_host_device_scalarIT0_EES1_PKS1_PKT1_SA_S7_PKT3_PKT4_S5_PT5_21rocsparse_index_base_b,"axG",@progbits,_ZN9rocsparseL20bsrxmvn_17_32_kernelILj20EflifffEEvT2_20rocsparse_direction_NS_24const_host_device_scalarIT0_EES1_PKS1_PKT1_SA_S7_PKT3_PKT4_S5_PT5_21rocsparse_index_base_b,comdat
.Lfunc_end67:
	.size	_ZN9rocsparseL20bsrxmvn_17_32_kernelILj20EflifffEEvT2_20rocsparse_direction_NS_24const_host_device_scalarIT0_EES1_PKS1_PKT1_SA_S7_PKT3_PKT4_S5_PT5_21rocsparse_index_base_b, .Lfunc_end67-_ZN9rocsparseL20bsrxmvn_17_32_kernelILj20EflifffEEvT2_20rocsparse_direction_NS_24const_host_device_scalarIT0_EES1_PKS1_PKT1_SA_S7_PKT3_PKT4_S5_PT5_21rocsparse_index_base_b
                                        ; -- End function
	.section	.AMDGPU.csdata,"",@progbits
; Kernel info:
; codeLenInByte = 1608
; NumSgprs: 26
; NumVgprs: 13
; ScratchSize: 0
; MemoryBound: 0
; FloatMode: 240
; IeeeMode: 1
; LDSByteSize: 1600 bytes/workgroup (compile time only)
; SGPRBlocks: 3
; VGPRBlocks: 1
; NumSGPRsForWavesPerEU: 26
; NumVGPRsForWavesPerEU: 13
; Occupancy: 13
; WaveLimiterHint : 1
; COMPUTE_PGM_RSRC2:SCRATCH_EN: 0
; COMPUTE_PGM_RSRC2:USER_SGPR: 15
; COMPUTE_PGM_RSRC2:TRAP_HANDLER: 0
; COMPUTE_PGM_RSRC2:TGID_X_EN: 1
; COMPUTE_PGM_RSRC2:TGID_Y_EN: 0
; COMPUTE_PGM_RSRC2:TGID_Z_EN: 0
; COMPUTE_PGM_RSRC2:TIDIG_COMP_CNT: 0
	.section	.text._ZN9rocsparseL20bsrxmvn_17_32_kernelILj21EflifffEEvT2_20rocsparse_direction_NS_24const_host_device_scalarIT0_EES1_PKS1_PKT1_SA_S7_PKT3_PKT4_S5_PT5_21rocsparse_index_base_b,"axG",@progbits,_ZN9rocsparseL20bsrxmvn_17_32_kernelILj21EflifffEEvT2_20rocsparse_direction_NS_24const_host_device_scalarIT0_EES1_PKS1_PKT1_SA_S7_PKT3_PKT4_S5_PT5_21rocsparse_index_base_b,comdat
	.globl	_ZN9rocsparseL20bsrxmvn_17_32_kernelILj21EflifffEEvT2_20rocsparse_direction_NS_24const_host_device_scalarIT0_EES1_PKS1_PKT1_SA_S7_PKT3_PKT4_S5_PT5_21rocsparse_index_base_b ; -- Begin function _ZN9rocsparseL20bsrxmvn_17_32_kernelILj21EflifffEEvT2_20rocsparse_direction_NS_24const_host_device_scalarIT0_EES1_PKS1_PKT1_SA_S7_PKT3_PKT4_S5_PT5_21rocsparse_index_base_b
	.p2align	8
	.type	_ZN9rocsparseL20bsrxmvn_17_32_kernelILj21EflifffEEvT2_20rocsparse_direction_NS_24const_host_device_scalarIT0_EES1_PKS1_PKT1_SA_S7_PKT3_PKT4_S5_PT5_21rocsparse_index_base_b,@function
_ZN9rocsparseL20bsrxmvn_17_32_kernelILj21EflifffEEvT2_20rocsparse_direction_NS_24const_host_device_scalarIT0_EES1_PKS1_PKT1_SA_S7_PKT3_PKT4_S5_PT5_21rocsparse_index_base_b: ; @_ZN9rocsparseL20bsrxmvn_17_32_kernelILj21EflifffEEvT2_20rocsparse_direction_NS_24const_host_device_scalarIT0_EES1_PKS1_PKT1_SA_S7_PKT3_PKT4_S5_PT5_21rocsparse_index_base_b
; %bb.0:
	s_clause 0x2
	s_load_b64 s[16:17], s[0:1], 0x58
	s_load_b64 s[12:13], s[0:1], 0x8
	;; [unrolled: 1-line block ×3, first 2 shown]
	s_mov_b32 s10, s15
	s_waitcnt lgkmcnt(0)
	s_bitcmp1_b32 s17, 0
	s_cselect_b32 s2, -1, 0
	s_delay_alu instid0(SALU_CYCLE_1)
	s_and_b32 vcc_lo, exec_lo, s2
	s_xor_b32 s2, s2, -1
	s_cbranch_vccnz .LBB68_2
; %bb.1:
	s_load_b32 s12, s[12:13], 0x0
.LBB68_2:
	s_and_not1_b32 vcc_lo, exec_lo, s2
	s_cbranch_vccnz .LBB68_4
; %bb.3:
	s_load_b32 s8, s[8:9], 0x0
.LBB68_4:
	s_waitcnt lgkmcnt(0)
	v_cmp_neq_f32_e64 s2, s12, 0
	v_cmp_neq_f32_e64 s3, s8, 1.0
	s_delay_alu instid0(VALU_DEP_1) | instskip(NEXT) | instid1(SALU_CYCLE_1)
	s_or_b32 s2, s2, s3
	s_and_not1_b32 vcc_lo, exec_lo, s2
	s_cbranch_vccnz .LBB68_42
; %bb.5:
	s_clause 0x1
	s_load_b128 s[4:7], s[0:1], 0x18
	s_load_b64 s[14:15], s[0:1], 0x28
	s_waitcnt lgkmcnt(0)
	s_cmp_eq_u64 s[4:5], 0
	s_cbranch_scc1 .LBB68_7
; %bb.6:
	s_ashr_i32 s11, s10, 31
	s_delay_alu instid0(SALU_CYCLE_1) | instskip(NEXT) | instid1(SALU_CYCLE_1)
	s_lshl_b64 s[2:3], s[10:11], 2
	s_add_u32 s2, s4, s2
	s_addc_u32 s3, s5, s3
	s_load_b32 s2, s[2:3], 0x0
	s_waitcnt lgkmcnt(0)
	s_sub_i32 s10, s2, s16
.LBB68_7:
	s_load_b32 s3, s[0:1], 0x4
	v_mul_u32_u24_e32 v1, 0xc31, v0
	v_dual_mov_b32 v7, 0 :: v_dual_lshlrev_b32 v6, 2, v0
	s_delay_alu instid0(VALU_DEP_2) | instskip(NEXT) | instid1(VALU_DEP_1)
	v_lshrrev_b32_e32 v1, 16, v1
	v_mul_lo_u16 v2, v1, 21
	s_delay_alu instid0(VALU_DEP_1)
	v_sub_nc_u16 v8, v0, v2
	s_waitcnt lgkmcnt(0)
	s_cmp_eq_u32 s3, 1
	s_cselect_b32 s2, -1, 0
	s_cmp_lg_u32 s3, 1
	s_cselect_b32 s3, -1, 0
	s_ashr_i32 s11, s10, 31
	s_delay_alu instid0(SALU_CYCLE_1) | instskip(NEXT) | instid1(SALU_CYCLE_1)
	s_lshl_b64 s[4:5], s[10:11], 3
	s_add_u32 s6, s6, s4
	s_addc_u32 s7, s7, s5
	s_add_u32 s9, s6, 8
	s_addc_u32 s11, s7, 0
	;; [unrolled: 2-line block ×3, first 2 shown]
	s_cmp_eq_u64 s[14:15], 0
	s_load_b64 s[14:15], s[0:1], 0x50
	s_cselect_b32 s5, s11, s5
	s_cselect_b32 s4, s9, s4
	s_load_b64 s[22:23], s[6:7], 0x0
	s_load_b64 s[18:19], s[4:5], 0x0
	s_waitcnt lgkmcnt(0)
	v_cmp_ge_i64_e64 s4, s[22:23], s[18:19]
	s_delay_alu instid0(VALU_DEP_1)
	s_and_b32 vcc_lo, exec_lo, s4
	s_cbranch_vccnz .LBB68_12
; %bb.8:
	v_mul_lo_u16 v2, v1, 25
	v_and_b32_e32 v3, 0xffff, v0
	s_sub_u32 s18, s18, s16
	s_subb_u32 s19, s19, 0
	s_sub_u32 s20, s22, s16
	v_lshrrev_b16 v2, 9, v2
	v_mul_u32_u24_e32 v3, 0x253, v3
	s_subb_u32 s21, s23, 0
	s_clause 0x1
	s_load_b128 s[4:7], s[0:1], 0x30
	s_load_b64 s[0:1], s[0:1], 0x40
	s_mul_hi_u32 s9, s20, 0x6e4
	v_mul_lo_u16 v2, v2, 21
	v_lshrrev_b32_e32 v9, 18, v3
	s_mul_i32 s11, s21, 0x6e4
	v_dual_mov_b32 v7, 0 :: v_dual_and_b32 v4, 0xffff, v8
	s_delay_alu instid0(VALU_DEP_3) | instskip(SKIP_2) | instid1(VALU_DEP_1)
	v_sub_nc_u16 v1, v1, v2
	s_add_i32 s9, s9, s11
	v_add_co_u32 v2, s11, s22, v9
	v_add_co_ci_u32_e64 v3, null, s23, 0, s11
	s_delay_alu instid0(VALU_DEP_3) | instskip(NEXT) | instid1(VALU_DEP_3)
	v_and_b32_e32 v1, 0xff, v1
	v_sub_co_u32 v2, vcc_lo, v2, s16
	s_delay_alu instid0(VALU_DEP_3) | instskip(NEXT) | instid1(VALU_DEP_3)
	v_subrev_co_ci_u32_e32 v3, vcc_lo, 0, v3, vcc_lo
	v_cndmask_b32_e64 v1, v4, v1, s2
	v_lshlrev_b32_e32 v10, 2, v0
	s_mul_i32 s13, s20, 0x6e4
	s_delay_alu instid0(VALU_DEP_3) | instskip(SKIP_4) | instid1(VALU_DEP_1)
	v_lshlrev_b64 v[4:5], 2, v[2:3]
	s_waitcnt lgkmcnt(0)
	s_add_u32 s2, s6, s13
	s_addc_u32 s6, s7, s9
	v_add_co_u32 v2, s2, s2, v10
	v_add_co_ci_u32_e64 v3, null, s6, 0, s2
	v_add_co_u32 v4, vcc_lo, s4, v4
	v_add_co_ci_u32_e32 v5, vcc_lo, s5, v5, vcc_lo
	s_set_inst_prefetch_distance 0x1
	s_branch .LBB68_10
	.p2align	6
.LBB68_9:                               ;   in Loop: Header=BB68_10 Depth=1
	s_or_b32 exec_lo, exec_lo, s2
	s_add_u32 s20, s20, 1
	s_addc_u32 s21, s21, 0
	v_add_co_u32 v4, vcc_lo, v4, 4
	v_cmp_lt_i64_e64 s2, s[20:21], s[18:19]
	v_add_co_ci_u32_e32 v5, vcc_lo, 0, v5, vcc_lo
	s_delay_alu instid0(VALU_DEP_2)
	s_and_b32 vcc_lo, exec_lo, s2
	s_cbranch_vccz .LBB68_12
.LBB68_10:                              ; =>This Inner Loop Header: Depth=1
	v_add_co_u32 v10, s2, v9, s20
	s_delay_alu instid0(VALU_DEP_1) | instskip(SKIP_1) | instid1(VALU_DEP_1)
	v_add_co_ci_u32_e64 v11, null, 0, s21, s2
	s_mov_b32 s2, exec_lo
	v_cmpx_gt_i64_e64 s[18:19], v[10:11]
	s_cbranch_execz .LBB68_9
; %bb.11:                               ;   in Loop: Header=BB68_10 Depth=1
	global_load_b32 v10, v[4:5], off
	s_waitcnt vmcnt(0)
	v_subrev_nc_u32_e32 v12, s16, v10
	s_delay_alu instid0(VALU_DEP_1) | instskip(NEXT) | instid1(VALU_DEP_1)
	v_mad_u64_u32 v[10:11], null, v12, 21, v[1:2]
	v_ashrrev_i32_e32 v11, 31, v10
	s_delay_alu instid0(VALU_DEP_1) | instskip(NEXT) | instid1(VALU_DEP_1)
	v_lshlrev_b64 v[10:11], 2, v[10:11]
	v_add_co_u32 v10, vcc_lo, s0, v10
	s_delay_alu instid0(VALU_DEP_2)
	v_add_co_ci_u32_e32 v11, vcc_lo, s1, v11, vcc_lo
	global_load_b32 v12, v[2:3], off
	global_load_b32 v10, v[10:11], off
	v_add_co_u32 v2, vcc_lo, 0x6e4, v2
	v_add_co_ci_u32_e32 v3, vcc_lo, 0, v3, vcc_lo
	s_waitcnt vmcnt(0)
	v_fmac_f32_e32 v7, v12, v10
	s_branch .LBB68_9
.LBB68_12:
	s_set_inst_prefetch_distance 0x2
	s_and_b32 vcc_lo, exec_lo, s3
	ds_store_b32 v6, v7
	s_waitcnt lgkmcnt(0)
	s_barrier
	buffer_gl0_inv
	s_cbranch_vccz .LBB68_24
; %bb.13:
	s_mov_b32 s0, exec_lo
	v_cmpx_gt_u16_e32 5, v8
	s_cbranch_execz .LBB68_15
; %bb.14:
	ds_load_2addr_b32 v[1:2], v6 offset1:16
	s_waitcnt lgkmcnt(0)
	v_add_f32_e32 v1, v2, v1
	ds_store_b32 v6, v1
.LBB68_15:
	s_or_b32 exec_lo, exec_lo, s0
	s_delay_alu instid0(SALU_CYCLE_1)
	s_mov_b32 s0, exec_lo
	s_waitcnt lgkmcnt(0)
	s_barrier
	buffer_gl0_inv
	v_cmpx_gt_u16_e32 8, v8
	s_cbranch_execz .LBB68_17
; %bb.16:
	ds_load_2addr_b32 v[1:2], v6 offset1:8
	s_waitcnt lgkmcnt(0)
	v_add_f32_e32 v1, v2, v1
	ds_store_b32 v6, v1
.LBB68_17:
	s_or_b32 exec_lo, exec_lo, s0
	s_delay_alu instid0(SALU_CYCLE_1)
	s_mov_b32 s0, exec_lo
	s_waitcnt lgkmcnt(0)
	s_barrier
	buffer_gl0_inv
	;; [unrolled: 14-line block ×3, first 2 shown]
	v_cmpx_gt_u16_e32 2, v8
	s_cbranch_execz .LBB68_21
; %bb.20:
	ds_load_2addr_b32 v[1:2], v6 offset1:2
	s_waitcnt lgkmcnt(0)
	v_add_f32_e32 v1, v2, v1
	ds_store_b32 v6, v1
.LBB68_21:
	s_or_b32 exec_lo, exec_lo, s0
	s_mov_b32 s1, 0
	s_mov_b32 s0, 0
	s_mov_b32 s2, exec_lo
	s_waitcnt lgkmcnt(0)
	s_barrier
	buffer_gl0_inv
                                        ; implicit-def: $vgpr1
                                        ; implicit-def: $vgpr2
	v_cmpx_gt_u32_e32 21, v0
	s_xor_b32 s2, exec_lo, s2
; %bb.22:
	v_mad_u32_u24 v1, v0, 21, 1
	v_mad_u32_u24 v2, 0x50, v0, v6
	s_mov_b32 s0, exec_lo
; %bb.23:
	s_or_b32 exec_lo, exec_lo, s2
	s_delay_alu instid0(SALU_CYCLE_1)
	s_and_b32 vcc_lo, exec_lo, s1
	s_cbranch_vccnz .LBB68_25
	s_branch .LBB68_36
.LBB68_24:
	s_mov_b32 s0, 0
                                        ; implicit-def: $vgpr1
                                        ; implicit-def: $vgpr2
	s_cbranch_execz .LBB68_36
.LBB68_25:
	s_mov_b32 s1, exec_lo
	v_cmpx_gt_u32_e32 0x69, v0
	s_cbranch_execz .LBB68_27
; %bb.26:
	ds_load_b32 v1, v6 offset:1344
	ds_load_b32 v2, v6
	s_waitcnt lgkmcnt(0)
	v_add_f32_e32 v1, v1, v2
	ds_store_b32 v6, v1
.LBB68_27:
	s_or_b32 exec_lo, exec_lo, s1
	s_delay_alu instid0(SALU_CYCLE_1)
	s_mov_b32 s1, exec_lo
	s_waitcnt lgkmcnt(0)
	s_barrier
	buffer_gl0_inv
	v_cmpx_gt_u32_e32 0xa8, v0
	s_cbranch_execz .LBB68_29
; %bb.28:
	ds_load_2addr_b32 v[1:2], v6 offset1:168
	s_waitcnt lgkmcnt(0)
	v_add_f32_e32 v1, v2, v1
	ds_store_b32 v6, v1
.LBB68_29:
	s_or_b32 exec_lo, exec_lo, s1
	s_delay_alu instid0(SALU_CYCLE_1)
	s_mov_b32 s1, exec_lo
	s_waitcnt lgkmcnt(0)
	s_barrier
	buffer_gl0_inv
	v_cmpx_gt_u32_e32 0x54, v0
	s_cbranch_execz .LBB68_31
; %bb.30:
	ds_load_2addr_b32 v[1:2], v6 offset1:84
	s_waitcnt lgkmcnt(0)
	v_add_f32_e32 v1, v2, v1
	ds_store_b32 v6, v1
.LBB68_31:
	;; [unrolled: 14-line block ×3, first 2 shown]
	s_or_b32 exec_lo, exec_lo, s1
	s_delay_alu instid0(SALU_CYCLE_1)
	s_mov_b32 s1, exec_lo
	s_waitcnt lgkmcnt(0)
	buffer_gl0_inv
                                        ; implicit-def: $vgpr1
	v_cmpx_gt_u32_e32 21, v0
; %bb.34:
	v_add_nc_u32_e32 v1, 21, v0
	s_or_b32 s0, s0, exec_lo
                                        ; implicit-def: $vgpr7
; %bb.35:
	s_or_b32 exec_lo, exec_lo, s1
	v_mov_b32_e32 v2, v6
.LBB68_36:
	s_and_saveexec_b32 s1, s0
	s_cbranch_execz .LBB68_38
; %bb.37:
	v_lshlrev_b32_e32 v1, 2, v1
	ds_load_b32 v2, v2
	ds_load_b32 v1, v1
	s_waitcnt lgkmcnt(0)
	v_add_f32_e32 v7, v2, v1
.LBB68_38:
	s_or_b32 exec_lo, exec_lo, s1
	s_delay_alu instid0(SALU_CYCLE_1)
	s_mov_b32 s0, exec_lo
	v_cmpx_gt_u32_e32 21, v0
	s_cbranch_execz .LBB68_42
; %bb.39:
	v_cmp_eq_f32_e64 s0, s8, 0
	v_mul_f32_e32 v1, s12, v7
	s_delay_alu instid0(VALU_DEP_2)
	s_and_b32 vcc_lo, exec_lo, s0
	s_mov_b32 s0, 0
	s_cbranch_vccz .LBB68_43
; %bb.40:
	s_delay_alu instid0(VALU_DEP_1) | instskip(SKIP_1) | instid1(VALU_DEP_1)
	v_mad_u64_u32 v[2:3], null, s10, 21, v[0:1]
	v_mov_b32_e32 v3, 0
	v_lshlrev_b64 v[2:3], 2, v[2:3]
	s_delay_alu instid0(VALU_DEP_1) | instskip(NEXT) | instid1(VALU_DEP_2)
	v_add_co_u32 v2, vcc_lo, s14, v2
	v_add_co_ci_u32_e32 v3, vcc_lo, s15, v3, vcc_lo
	global_store_b32 v[2:3], v1, off
	s_and_not1_b32 vcc_lo, exec_lo, s0
	s_cbranch_vccnz .LBB68_42
.LBB68_41:
	v_mad_u64_u32 v[2:3], null, s10, 21, v[0:1]
	v_mov_b32_e32 v3, 0
	s_delay_alu instid0(VALU_DEP_1) | instskip(NEXT) | instid1(VALU_DEP_1)
	v_lshlrev_b64 v[2:3], 2, v[2:3]
	v_add_co_u32 v2, vcc_lo, s14, v2
	s_delay_alu instid0(VALU_DEP_2)
	v_add_co_ci_u32_e32 v3, vcc_lo, s15, v3, vcc_lo
	global_load_b32 v0, v[2:3], off
	s_waitcnt vmcnt(0)
	v_fmac_f32_e32 v1, s8, v0
	global_store_b32 v[2:3], v1, off
.LBB68_42:
	s_nop 0
	s_sendmsg sendmsg(MSG_DEALLOC_VGPRS)
	s_endpgm
.LBB68_43:
	s_branch .LBB68_41
	.section	.rodata,"a",@progbits
	.p2align	6, 0x0
	.amdhsa_kernel _ZN9rocsparseL20bsrxmvn_17_32_kernelILj21EflifffEEvT2_20rocsparse_direction_NS_24const_host_device_scalarIT0_EES1_PKS1_PKT1_SA_S7_PKT3_PKT4_S5_PT5_21rocsparse_index_base_b
		.amdhsa_group_segment_fixed_size 1764
		.amdhsa_private_segment_fixed_size 0
		.amdhsa_kernarg_size 96
		.amdhsa_user_sgpr_count 15
		.amdhsa_user_sgpr_dispatch_ptr 0
		.amdhsa_user_sgpr_queue_ptr 0
		.amdhsa_user_sgpr_kernarg_segment_ptr 1
		.amdhsa_user_sgpr_dispatch_id 0
		.amdhsa_user_sgpr_private_segment_size 0
		.amdhsa_wavefront_size32 1
		.amdhsa_uses_dynamic_stack 0
		.amdhsa_enable_private_segment 0
		.amdhsa_system_sgpr_workgroup_id_x 1
		.amdhsa_system_sgpr_workgroup_id_y 0
		.amdhsa_system_sgpr_workgroup_id_z 0
		.amdhsa_system_sgpr_workgroup_info 0
		.amdhsa_system_vgpr_workitem_id 0
		.amdhsa_next_free_vgpr 13
		.amdhsa_next_free_sgpr 24
		.amdhsa_reserve_vcc 1
		.amdhsa_float_round_mode_32 0
		.amdhsa_float_round_mode_16_64 0
		.amdhsa_float_denorm_mode_32 3
		.amdhsa_float_denorm_mode_16_64 3
		.amdhsa_dx10_clamp 1
		.amdhsa_ieee_mode 1
		.amdhsa_fp16_overflow 0
		.amdhsa_workgroup_processor_mode 1
		.amdhsa_memory_ordered 1
		.amdhsa_forward_progress 0
		.amdhsa_shared_vgpr_count 0
		.amdhsa_exception_fp_ieee_invalid_op 0
		.amdhsa_exception_fp_denorm_src 0
		.amdhsa_exception_fp_ieee_div_zero 0
		.amdhsa_exception_fp_ieee_overflow 0
		.amdhsa_exception_fp_ieee_underflow 0
		.amdhsa_exception_fp_ieee_inexact 0
		.amdhsa_exception_int_div_zero 0
	.end_amdhsa_kernel
	.section	.text._ZN9rocsparseL20bsrxmvn_17_32_kernelILj21EflifffEEvT2_20rocsparse_direction_NS_24const_host_device_scalarIT0_EES1_PKS1_PKT1_SA_S7_PKT3_PKT4_S5_PT5_21rocsparse_index_base_b,"axG",@progbits,_ZN9rocsparseL20bsrxmvn_17_32_kernelILj21EflifffEEvT2_20rocsparse_direction_NS_24const_host_device_scalarIT0_EES1_PKS1_PKT1_SA_S7_PKT3_PKT4_S5_PT5_21rocsparse_index_base_b,comdat
.Lfunc_end68:
	.size	_ZN9rocsparseL20bsrxmvn_17_32_kernelILj21EflifffEEvT2_20rocsparse_direction_NS_24const_host_device_scalarIT0_EES1_PKS1_PKT1_SA_S7_PKT3_PKT4_S5_PT5_21rocsparse_index_base_b, .Lfunc_end68-_ZN9rocsparseL20bsrxmvn_17_32_kernelILj21EflifffEEvT2_20rocsparse_direction_NS_24const_host_device_scalarIT0_EES1_PKS1_PKT1_SA_S7_PKT3_PKT4_S5_PT5_21rocsparse_index_base_b
                                        ; -- End function
	.section	.AMDGPU.csdata,"",@progbits
; Kernel info:
; codeLenInByte = 1632
; NumSgprs: 26
; NumVgprs: 13
; ScratchSize: 0
; MemoryBound: 0
; FloatMode: 240
; IeeeMode: 1
; LDSByteSize: 1764 bytes/workgroup (compile time only)
; SGPRBlocks: 3
; VGPRBlocks: 1
; NumSGPRsForWavesPerEU: 26
; NumVGPRsForWavesPerEU: 13
; Occupancy: 14
; WaveLimiterHint : 1
; COMPUTE_PGM_RSRC2:SCRATCH_EN: 0
; COMPUTE_PGM_RSRC2:USER_SGPR: 15
; COMPUTE_PGM_RSRC2:TRAP_HANDLER: 0
; COMPUTE_PGM_RSRC2:TGID_X_EN: 1
; COMPUTE_PGM_RSRC2:TGID_Y_EN: 0
; COMPUTE_PGM_RSRC2:TGID_Z_EN: 0
; COMPUTE_PGM_RSRC2:TIDIG_COMP_CNT: 0
	.section	.text._ZN9rocsparseL20bsrxmvn_17_32_kernelILj22EflifffEEvT2_20rocsparse_direction_NS_24const_host_device_scalarIT0_EES1_PKS1_PKT1_SA_S7_PKT3_PKT4_S5_PT5_21rocsparse_index_base_b,"axG",@progbits,_ZN9rocsparseL20bsrxmvn_17_32_kernelILj22EflifffEEvT2_20rocsparse_direction_NS_24const_host_device_scalarIT0_EES1_PKS1_PKT1_SA_S7_PKT3_PKT4_S5_PT5_21rocsparse_index_base_b,comdat
	.globl	_ZN9rocsparseL20bsrxmvn_17_32_kernelILj22EflifffEEvT2_20rocsparse_direction_NS_24const_host_device_scalarIT0_EES1_PKS1_PKT1_SA_S7_PKT3_PKT4_S5_PT5_21rocsparse_index_base_b ; -- Begin function _ZN9rocsparseL20bsrxmvn_17_32_kernelILj22EflifffEEvT2_20rocsparse_direction_NS_24const_host_device_scalarIT0_EES1_PKS1_PKT1_SA_S7_PKT3_PKT4_S5_PT5_21rocsparse_index_base_b
	.p2align	8
	.type	_ZN9rocsparseL20bsrxmvn_17_32_kernelILj22EflifffEEvT2_20rocsparse_direction_NS_24const_host_device_scalarIT0_EES1_PKS1_PKT1_SA_S7_PKT3_PKT4_S5_PT5_21rocsparse_index_base_b,@function
_ZN9rocsparseL20bsrxmvn_17_32_kernelILj22EflifffEEvT2_20rocsparse_direction_NS_24const_host_device_scalarIT0_EES1_PKS1_PKT1_SA_S7_PKT3_PKT4_S5_PT5_21rocsparse_index_base_b: ; @_ZN9rocsparseL20bsrxmvn_17_32_kernelILj22EflifffEEvT2_20rocsparse_direction_NS_24const_host_device_scalarIT0_EES1_PKS1_PKT1_SA_S7_PKT3_PKT4_S5_PT5_21rocsparse_index_base_b
; %bb.0:
	s_clause 0x2
	s_load_b64 s[16:17], s[0:1], 0x58
	s_load_b64 s[12:13], s[0:1], 0x8
	;; [unrolled: 1-line block ×3, first 2 shown]
	s_mov_b32 s10, s15
	s_waitcnt lgkmcnt(0)
	s_bitcmp1_b32 s17, 0
	s_cselect_b32 s2, -1, 0
	s_delay_alu instid0(SALU_CYCLE_1)
	s_and_b32 vcc_lo, exec_lo, s2
	s_xor_b32 s2, s2, -1
	s_cbranch_vccnz .LBB69_2
; %bb.1:
	s_load_b32 s12, s[12:13], 0x0
.LBB69_2:
	s_and_not1_b32 vcc_lo, exec_lo, s2
	s_cbranch_vccnz .LBB69_4
; %bb.3:
	s_load_b32 s8, s[8:9], 0x0
.LBB69_4:
	s_waitcnt lgkmcnt(0)
	v_cmp_neq_f32_e64 s2, s12, 0
	v_cmp_neq_f32_e64 s3, s8, 1.0
	s_delay_alu instid0(VALU_DEP_1) | instskip(NEXT) | instid1(SALU_CYCLE_1)
	s_or_b32 s2, s2, s3
	s_and_not1_b32 vcc_lo, exec_lo, s2
	s_cbranch_vccnz .LBB69_42
; %bb.5:
	s_clause 0x1
	s_load_b128 s[4:7], s[0:1], 0x18
	s_load_b64 s[14:15], s[0:1], 0x28
	s_waitcnt lgkmcnt(0)
	s_cmp_eq_u64 s[4:5], 0
	s_cbranch_scc1 .LBB69_7
; %bb.6:
	s_ashr_i32 s11, s10, 31
	s_delay_alu instid0(SALU_CYCLE_1) | instskip(NEXT) | instid1(SALU_CYCLE_1)
	s_lshl_b64 s[2:3], s[10:11], 2
	s_add_u32 s2, s4, s2
	s_addc_u32 s3, s5, s3
	s_load_b32 s2, s[2:3], 0x0
	s_waitcnt lgkmcnt(0)
	s_sub_i32 s10, s2, s16
.LBB69_7:
	s_load_b32 s3, s[0:1], 0x4
	v_mul_u32_u24_e32 v1, 0xba3, v0
	v_dual_mov_b32 v7, 0 :: v_dual_lshlrev_b32 v6, 2, v0
	s_delay_alu instid0(VALU_DEP_2) | instskip(NEXT) | instid1(VALU_DEP_1)
	v_lshrrev_b32_e32 v1, 16, v1
	v_mul_lo_u16 v2, v1, 22
	s_delay_alu instid0(VALU_DEP_1)
	v_sub_nc_u16 v8, v0, v2
	s_waitcnt lgkmcnt(0)
	s_cmp_eq_u32 s3, 1
	s_cselect_b32 s2, -1, 0
	s_cmp_lg_u32 s3, 1
	s_cselect_b32 s3, -1, 0
	s_ashr_i32 s11, s10, 31
	s_delay_alu instid0(SALU_CYCLE_1) | instskip(NEXT) | instid1(SALU_CYCLE_1)
	s_lshl_b64 s[4:5], s[10:11], 3
	s_add_u32 s6, s6, s4
	s_addc_u32 s7, s7, s5
	s_add_u32 s9, s6, 8
	s_addc_u32 s11, s7, 0
	;; [unrolled: 2-line block ×3, first 2 shown]
	s_cmp_eq_u64 s[14:15], 0
	s_load_b64 s[14:15], s[0:1], 0x50
	s_cselect_b32 s5, s11, s5
	s_cselect_b32 s4, s9, s4
	s_load_b64 s[22:23], s[6:7], 0x0
	s_load_b64 s[18:19], s[4:5], 0x0
	s_waitcnt lgkmcnt(0)
	v_cmp_ge_i64_e64 s4, s[22:23], s[18:19]
	s_delay_alu instid0(VALU_DEP_1)
	s_and_b32 vcc_lo, exec_lo, s4
	s_cbranch_vccnz .LBB69_12
; %bb.8:
	v_mul_lo_u16 v2, v1, 12
	v_and_b32_e32 v3, 0xffff, v0
	s_sub_u32 s18, s18, s16
	s_subb_u32 s19, s19, 0
	s_sub_u32 s20, s22, s16
	v_lshrrev_b16 v2, 8, v2
	v_mul_u32_u24_e32 v3, 0x10f, v3
	s_subb_u32 s21, s23, 0
	s_clause 0x1
	s_load_b128 s[4:7], s[0:1], 0x30
	s_load_b64 s[0:1], s[0:1], 0x40
	s_mul_hi_u32 s9, s20, 0x790
	v_mul_lo_u16 v2, v2, 22
	v_lshrrev_b32_e32 v9, 17, v3
	s_mul_i32 s11, s21, 0x790
	v_dual_mov_b32 v7, 0 :: v_dual_and_b32 v4, 0xffff, v8
	s_delay_alu instid0(VALU_DEP_3) | instskip(SKIP_2) | instid1(VALU_DEP_1)
	v_sub_nc_u16 v1, v1, v2
	s_add_i32 s9, s9, s11
	v_add_co_u32 v2, s11, s22, v9
	v_add_co_ci_u32_e64 v3, null, s23, 0, s11
	s_delay_alu instid0(VALU_DEP_3) | instskip(NEXT) | instid1(VALU_DEP_3)
	v_and_b32_e32 v1, 0xff, v1
	v_sub_co_u32 v2, vcc_lo, v2, s16
	s_delay_alu instid0(VALU_DEP_3) | instskip(NEXT) | instid1(VALU_DEP_3)
	v_subrev_co_ci_u32_e32 v3, vcc_lo, 0, v3, vcc_lo
	v_cndmask_b32_e64 v1, v4, v1, s2
	v_lshlrev_b32_e32 v10, 2, v0
	s_mul_i32 s13, s20, 0x790
	s_delay_alu instid0(VALU_DEP_3) | instskip(SKIP_4) | instid1(VALU_DEP_1)
	v_lshlrev_b64 v[4:5], 2, v[2:3]
	s_waitcnt lgkmcnt(0)
	s_add_u32 s2, s6, s13
	s_addc_u32 s6, s7, s9
	v_add_co_u32 v2, s2, s2, v10
	v_add_co_ci_u32_e64 v3, null, s6, 0, s2
	v_add_co_u32 v4, vcc_lo, s4, v4
	v_add_co_ci_u32_e32 v5, vcc_lo, s5, v5, vcc_lo
	s_set_inst_prefetch_distance 0x1
	s_branch .LBB69_10
	.p2align	6
.LBB69_9:                               ;   in Loop: Header=BB69_10 Depth=1
	s_or_b32 exec_lo, exec_lo, s2
	s_add_u32 s20, s20, 1
	s_addc_u32 s21, s21, 0
	v_add_co_u32 v4, vcc_lo, v4, 4
	v_cmp_lt_i64_e64 s2, s[20:21], s[18:19]
	v_add_co_ci_u32_e32 v5, vcc_lo, 0, v5, vcc_lo
	s_delay_alu instid0(VALU_DEP_2)
	s_and_b32 vcc_lo, exec_lo, s2
	s_cbranch_vccz .LBB69_12
.LBB69_10:                              ; =>This Inner Loop Header: Depth=1
	v_add_co_u32 v10, s2, v9, s20
	s_delay_alu instid0(VALU_DEP_1) | instskip(SKIP_1) | instid1(VALU_DEP_1)
	v_add_co_ci_u32_e64 v11, null, 0, s21, s2
	s_mov_b32 s2, exec_lo
	v_cmpx_gt_i64_e64 s[18:19], v[10:11]
	s_cbranch_execz .LBB69_9
; %bb.11:                               ;   in Loop: Header=BB69_10 Depth=1
	global_load_b32 v10, v[4:5], off
	s_waitcnt vmcnt(0)
	v_subrev_nc_u32_e32 v12, s16, v10
	s_delay_alu instid0(VALU_DEP_1) | instskip(NEXT) | instid1(VALU_DEP_1)
	v_mad_u64_u32 v[10:11], null, v12, 22, v[1:2]
	v_ashrrev_i32_e32 v11, 31, v10
	s_delay_alu instid0(VALU_DEP_1) | instskip(NEXT) | instid1(VALU_DEP_1)
	v_lshlrev_b64 v[10:11], 2, v[10:11]
	v_add_co_u32 v10, vcc_lo, s0, v10
	s_delay_alu instid0(VALU_DEP_2)
	v_add_co_ci_u32_e32 v11, vcc_lo, s1, v11, vcc_lo
	global_load_b32 v12, v[2:3], off
	global_load_b32 v10, v[10:11], off
	v_add_co_u32 v2, vcc_lo, 0x790, v2
	v_add_co_ci_u32_e32 v3, vcc_lo, 0, v3, vcc_lo
	s_waitcnt vmcnt(0)
	v_fmac_f32_e32 v7, v12, v10
	s_branch .LBB69_9
.LBB69_12:
	s_set_inst_prefetch_distance 0x2
	s_and_b32 vcc_lo, exec_lo, s3
	ds_store_b32 v6, v7
	s_waitcnt lgkmcnt(0)
	s_barrier
	buffer_gl0_inv
	s_cbranch_vccz .LBB69_24
; %bb.13:
	s_mov_b32 s0, exec_lo
	v_cmpx_gt_u16_e32 6, v8
	s_cbranch_execz .LBB69_15
; %bb.14:
	ds_load_2addr_b32 v[1:2], v6 offset1:16
	s_waitcnt lgkmcnt(0)
	v_add_f32_e32 v1, v2, v1
	ds_store_b32 v6, v1
.LBB69_15:
	s_or_b32 exec_lo, exec_lo, s0
	s_delay_alu instid0(SALU_CYCLE_1)
	s_mov_b32 s0, exec_lo
	s_waitcnt lgkmcnt(0)
	s_barrier
	buffer_gl0_inv
	v_cmpx_gt_u16_e32 8, v8
	s_cbranch_execz .LBB69_17
; %bb.16:
	ds_load_2addr_b32 v[1:2], v6 offset1:8
	s_waitcnt lgkmcnt(0)
	v_add_f32_e32 v1, v2, v1
	ds_store_b32 v6, v1
.LBB69_17:
	s_or_b32 exec_lo, exec_lo, s0
	s_delay_alu instid0(SALU_CYCLE_1)
	s_mov_b32 s0, exec_lo
	s_waitcnt lgkmcnt(0)
	s_barrier
	buffer_gl0_inv
	;; [unrolled: 14-line block ×3, first 2 shown]
	v_cmpx_gt_u16_e32 2, v8
	s_cbranch_execz .LBB69_21
; %bb.20:
	ds_load_2addr_b32 v[1:2], v6 offset1:2
	s_waitcnt lgkmcnt(0)
	v_add_f32_e32 v1, v2, v1
	ds_store_b32 v6, v1
.LBB69_21:
	s_or_b32 exec_lo, exec_lo, s0
	s_mov_b32 s1, 0
	s_mov_b32 s0, 0
	s_mov_b32 s2, exec_lo
	s_waitcnt lgkmcnt(0)
	s_barrier
	buffer_gl0_inv
                                        ; implicit-def: $vgpr1
                                        ; implicit-def: $vgpr2
	v_cmpx_gt_u32_e32 22, v0
	s_xor_b32 s2, exec_lo, s2
; %bb.22:
	v_mul_u32_u24_e32 v1, 22, v0
	v_mad_u32_u24 v2, 0x54, v0, v6
	s_mov_b32 s0, exec_lo
	s_delay_alu instid0(VALU_DEP_2)
	v_or_b32_e32 v1, 1, v1
; %bb.23:
	s_or_b32 exec_lo, exec_lo, s2
	s_delay_alu instid0(SALU_CYCLE_1)
	s_and_b32 vcc_lo, exec_lo, s1
	s_cbranch_vccnz .LBB69_25
	s_branch .LBB69_36
.LBB69_24:
	s_mov_b32 s0, 0
                                        ; implicit-def: $vgpr1
                                        ; implicit-def: $vgpr2
	s_cbranch_execz .LBB69_36
.LBB69_25:
	s_mov_b32 s1, exec_lo
	v_cmpx_gt_u32_e32 0x84, v0
	s_cbranch_execz .LBB69_27
; %bb.26:
	ds_load_b32 v1, v6 offset:1408
	ds_load_b32 v2, v6
	s_waitcnt lgkmcnt(0)
	v_add_f32_e32 v1, v1, v2
	ds_store_b32 v6, v1
.LBB69_27:
	s_or_b32 exec_lo, exec_lo, s1
	s_delay_alu instid0(SALU_CYCLE_1)
	s_mov_b32 s1, exec_lo
	s_waitcnt lgkmcnt(0)
	s_barrier
	buffer_gl0_inv
	v_cmpx_gt_u32_e32 0xb0, v0
	s_cbranch_execz .LBB69_29
; %bb.28:
	ds_load_2addr_b32 v[1:2], v6 offset1:176
	s_waitcnt lgkmcnt(0)
	v_add_f32_e32 v1, v2, v1
	ds_store_b32 v6, v1
.LBB69_29:
	s_or_b32 exec_lo, exec_lo, s1
	s_delay_alu instid0(SALU_CYCLE_1)
	s_mov_b32 s1, exec_lo
	s_waitcnt lgkmcnt(0)
	s_barrier
	buffer_gl0_inv
	v_cmpx_gt_u32_e32 0x58, v0
	s_cbranch_execz .LBB69_31
; %bb.30:
	ds_load_2addr_b32 v[1:2], v6 offset1:88
	s_waitcnt lgkmcnt(0)
	v_add_f32_e32 v1, v2, v1
	ds_store_b32 v6, v1
.LBB69_31:
	s_or_b32 exec_lo, exec_lo, s1
	s_delay_alu instid0(SALU_CYCLE_1)
	s_mov_b32 s1, exec_lo
	s_waitcnt lgkmcnt(0)
	s_barrier
	buffer_gl0_inv
	v_cmpx_gt_u32_e32 44, v0
	s_cbranch_execz .LBB69_33
; %bb.32:
	ds_load_2addr_b32 v[1:2], v6 offset1:44
	s_waitcnt lgkmcnt(0)
	v_add_f32_e32 v1, v2, v1
	ds_store_b32 v6, v1
.LBB69_33:
	s_or_b32 exec_lo, exec_lo, s1
	s_delay_alu instid0(SALU_CYCLE_1)
	s_mov_b32 s1, exec_lo
	s_waitcnt lgkmcnt(0)
	buffer_gl0_inv
                                        ; implicit-def: $vgpr1
	v_cmpx_gt_u32_e32 22, v0
; %bb.34:
	v_add_nc_u32_e32 v1, 22, v0
	s_or_b32 s0, s0, exec_lo
                                        ; implicit-def: $vgpr7
; %bb.35:
	s_or_b32 exec_lo, exec_lo, s1
	v_mov_b32_e32 v2, v6
.LBB69_36:
	s_and_saveexec_b32 s1, s0
	s_cbranch_execz .LBB69_38
; %bb.37:
	v_lshlrev_b32_e32 v1, 2, v1
	ds_load_b32 v2, v2
	ds_load_b32 v1, v1
	s_waitcnt lgkmcnt(0)
	v_add_f32_e32 v7, v2, v1
.LBB69_38:
	s_or_b32 exec_lo, exec_lo, s1
	s_delay_alu instid0(SALU_CYCLE_1)
	s_mov_b32 s0, exec_lo
	v_cmpx_gt_u32_e32 22, v0
	s_cbranch_execz .LBB69_42
; %bb.39:
	v_cmp_eq_f32_e64 s0, s8, 0
	v_mul_f32_e32 v1, s12, v7
	s_delay_alu instid0(VALU_DEP_2)
	s_and_b32 vcc_lo, exec_lo, s0
	s_mov_b32 s0, 0
	s_cbranch_vccz .LBB69_43
; %bb.40:
	s_delay_alu instid0(VALU_DEP_1) | instskip(SKIP_1) | instid1(VALU_DEP_1)
	v_mad_u64_u32 v[2:3], null, s10, 22, v[0:1]
	v_mov_b32_e32 v3, 0
	v_lshlrev_b64 v[2:3], 2, v[2:3]
	s_delay_alu instid0(VALU_DEP_1) | instskip(NEXT) | instid1(VALU_DEP_2)
	v_add_co_u32 v2, vcc_lo, s14, v2
	v_add_co_ci_u32_e32 v3, vcc_lo, s15, v3, vcc_lo
	global_store_b32 v[2:3], v1, off
	s_and_not1_b32 vcc_lo, exec_lo, s0
	s_cbranch_vccnz .LBB69_42
.LBB69_41:
	v_mad_u64_u32 v[2:3], null, s10, 22, v[0:1]
	v_mov_b32_e32 v3, 0
	s_delay_alu instid0(VALU_DEP_1) | instskip(NEXT) | instid1(VALU_DEP_1)
	v_lshlrev_b64 v[2:3], 2, v[2:3]
	v_add_co_u32 v2, vcc_lo, s14, v2
	s_delay_alu instid0(VALU_DEP_2)
	v_add_co_ci_u32_e32 v3, vcc_lo, s15, v3, vcc_lo
	global_load_b32 v0, v[2:3], off
	s_waitcnt vmcnt(0)
	v_fmac_f32_e32 v1, s8, v0
	global_store_b32 v[2:3], v1, off
.LBB69_42:
	s_nop 0
	s_sendmsg sendmsg(MSG_DEALLOC_VGPRS)
	s_endpgm
.LBB69_43:
	s_branch .LBB69_41
	.section	.rodata,"a",@progbits
	.p2align	6, 0x0
	.amdhsa_kernel _ZN9rocsparseL20bsrxmvn_17_32_kernelILj22EflifffEEvT2_20rocsparse_direction_NS_24const_host_device_scalarIT0_EES1_PKS1_PKT1_SA_S7_PKT3_PKT4_S5_PT5_21rocsparse_index_base_b
		.amdhsa_group_segment_fixed_size 1936
		.amdhsa_private_segment_fixed_size 0
		.amdhsa_kernarg_size 96
		.amdhsa_user_sgpr_count 15
		.amdhsa_user_sgpr_dispatch_ptr 0
		.amdhsa_user_sgpr_queue_ptr 0
		.amdhsa_user_sgpr_kernarg_segment_ptr 1
		.amdhsa_user_sgpr_dispatch_id 0
		.amdhsa_user_sgpr_private_segment_size 0
		.amdhsa_wavefront_size32 1
		.amdhsa_uses_dynamic_stack 0
		.amdhsa_enable_private_segment 0
		.amdhsa_system_sgpr_workgroup_id_x 1
		.amdhsa_system_sgpr_workgroup_id_y 0
		.amdhsa_system_sgpr_workgroup_id_z 0
		.amdhsa_system_sgpr_workgroup_info 0
		.amdhsa_system_vgpr_workitem_id 0
		.amdhsa_next_free_vgpr 13
		.amdhsa_next_free_sgpr 24
		.amdhsa_reserve_vcc 1
		.amdhsa_float_round_mode_32 0
		.amdhsa_float_round_mode_16_64 0
		.amdhsa_float_denorm_mode_32 3
		.amdhsa_float_denorm_mode_16_64 3
		.amdhsa_dx10_clamp 1
		.amdhsa_ieee_mode 1
		.amdhsa_fp16_overflow 0
		.amdhsa_workgroup_processor_mode 1
		.amdhsa_memory_ordered 1
		.amdhsa_forward_progress 0
		.amdhsa_shared_vgpr_count 0
		.amdhsa_exception_fp_ieee_invalid_op 0
		.amdhsa_exception_fp_denorm_src 0
		.amdhsa_exception_fp_ieee_div_zero 0
		.amdhsa_exception_fp_ieee_overflow 0
		.amdhsa_exception_fp_ieee_underflow 0
		.amdhsa_exception_fp_ieee_inexact 0
		.amdhsa_exception_int_div_zero 0
	.end_amdhsa_kernel
	.section	.text._ZN9rocsparseL20bsrxmvn_17_32_kernelILj22EflifffEEvT2_20rocsparse_direction_NS_24const_host_device_scalarIT0_EES1_PKS1_PKT1_SA_S7_PKT3_PKT4_S5_PT5_21rocsparse_index_base_b,"axG",@progbits,_ZN9rocsparseL20bsrxmvn_17_32_kernelILj22EflifffEEvT2_20rocsparse_direction_NS_24const_host_device_scalarIT0_EES1_PKS1_PKT1_SA_S7_PKT3_PKT4_S5_PT5_21rocsparse_index_base_b,comdat
.Lfunc_end69:
	.size	_ZN9rocsparseL20bsrxmvn_17_32_kernelILj22EflifffEEvT2_20rocsparse_direction_NS_24const_host_device_scalarIT0_EES1_PKS1_PKT1_SA_S7_PKT3_PKT4_S5_PT5_21rocsparse_index_base_b, .Lfunc_end69-_ZN9rocsparseL20bsrxmvn_17_32_kernelILj22EflifffEEvT2_20rocsparse_direction_NS_24const_host_device_scalarIT0_EES1_PKS1_PKT1_SA_S7_PKT3_PKT4_S5_PT5_21rocsparse_index_base_b
                                        ; -- End function
	.section	.AMDGPU.csdata,"",@progbits
; Kernel info:
; codeLenInByte = 1636
; NumSgprs: 26
; NumVgprs: 13
; ScratchSize: 0
; MemoryBound: 0
; FloatMode: 240
; IeeeMode: 1
; LDSByteSize: 1936 bytes/workgroup (compile time only)
; SGPRBlocks: 3
; VGPRBlocks: 1
; NumSGPRsForWavesPerEU: 26
; NumVGPRsForWavesPerEU: 13
; Occupancy: 16
; WaveLimiterHint : 1
; COMPUTE_PGM_RSRC2:SCRATCH_EN: 0
; COMPUTE_PGM_RSRC2:USER_SGPR: 15
; COMPUTE_PGM_RSRC2:TRAP_HANDLER: 0
; COMPUTE_PGM_RSRC2:TGID_X_EN: 1
; COMPUTE_PGM_RSRC2:TGID_Y_EN: 0
; COMPUTE_PGM_RSRC2:TGID_Z_EN: 0
; COMPUTE_PGM_RSRC2:TIDIG_COMP_CNT: 0
	.section	.text._ZN9rocsparseL20bsrxmvn_17_32_kernelILj23EflifffEEvT2_20rocsparse_direction_NS_24const_host_device_scalarIT0_EES1_PKS1_PKT1_SA_S7_PKT3_PKT4_S5_PT5_21rocsparse_index_base_b,"axG",@progbits,_ZN9rocsparseL20bsrxmvn_17_32_kernelILj23EflifffEEvT2_20rocsparse_direction_NS_24const_host_device_scalarIT0_EES1_PKS1_PKT1_SA_S7_PKT3_PKT4_S5_PT5_21rocsparse_index_base_b,comdat
	.globl	_ZN9rocsparseL20bsrxmvn_17_32_kernelILj23EflifffEEvT2_20rocsparse_direction_NS_24const_host_device_scalarIT0_EES1_PKS1_PKT1_SA_S7_PKT3_PKT4_S5_PT5_21rocsparse_index_base_b ; -- Begin function _ZN9rocsparseL20bsrxmvn_17_32_kernelILj23EflifffEEvT2_20rocsparse_direction_NS_24const_host_device_scalarIT0_EES1_PKS1_PKT1_SA_S7_PKT3_PKT4_S5_PT5_21rocsparse_index_base_b
	.p2align	8
	.type	_ZN9rocsparseL20bsrxmvn_17_32_kernelILj23EflifffEEvT2_20rocsparse_direction_NS_24const_host_device_scalarIT0_EES1_PKS1_PKT1_SA_S7_PKT3_PKT4_S5_PT5_21rocsparse_index_base_b,@function
_ZN9rocsparseL20bsrxmvn_17_32_kernelILj23EflifffEEvT2_20rocsparse_direction_NS_24const_host_device_scalarIT0_EES1_PKS1_PKT1_SA_S7_PKT3_PKT4_S5_PT5_21rocsparse_index_base_b: ; @_ZN9rocsparseL20bsrxmvn_17_32_kernelILj23EflifffEEvT2_20rocsparse_direction_NS_24const_host_device_scalarIT0_EES1_PKS1_PKT1_SA_S7_PKT3_PKT4_S5_PT5_21rocsparse_index_base_b
; %bb.0:
	s_mov_b32 s10, s15
	s_clause 0x2
	s_load_b64 s[14:15], s[0:1], 0x58
	s_load_b64 s[12:13], s[0:1], 0x8
	;; [unrolled: 1-line block ×3, first 2 shown]
	s_waitcnt lgkmcnt(0)
	s_bitcmp1_b32 s15, 0
	s_cselect_b32 s2, -1, 0
	s_delay_alu instid0(SALU_CYCLE_1)
	s_and_b32 vcc_lo, exec_lo, s2
	s_xor_b32 s2, s2, -1
	s_cbranch_vccnz .LBB70_2
; %bb.1:
	s_load_b32 s12, s[12:13], 0x0
.LBB70_2:
	s_and_not1_b32 vcc_lo, exec_lo, s2
	s_cbranch_vccnz .LBB70_4
; %bb.3:
	s_load_b32 s8, s[8:9], 0x0
.LBB70_4:
	s_waitcnt lgkmcnt(0)
	v_cmp_neq_f32_e64 s2, s12, 0
	v_cmp_neq_f32_e64 s3, s8, 1.0
	s_delay_alu instid0(VALU_DEP_1) | instskip(NEXT) | instid1(SALU_CYCLE_1)
	s_or_b32 s2, s2, s3
	s_and_not1_b32 vcc_lo, exec_lo, s2
	s_cbranch_vccnz .LBB70_42
; %bb.5:
	s_clause 0x1
	s_load_b128 s[4:7], s[0:1], 0x18
	s_load_b64 s[16:17], s[0:1], 0x28
	s_waitcnt lgkmcnt(0)
	s_cmp_eq_u64 s[4:5], 0
	s_cbranch_scc1 .LBB70_7
; %bb.6:
	s_ashr_i32 s11, s10, 31
	s_delay_alu instid0(SALU_CYCLE_1) | instskip(NEXT) | instid1(SALU_CYCLE_1)
	s_lshl_b64 s[2:3], s[10:11], 2
	s_add_u32 s2, s4, s2
	s_addc_u32 s3, s5, s3
	s_load_b32 s2, s[2:3], 0x0
	s_waitcnt lgkmcnt(0)
	s_sub_i32 s10, s2, s14
.LBB70_7:
	s_load_b32 s3, s[0:1], 0x4
	v_mul_u32_u24_e32 v1, 0xb22, v0
	v_dual_mov_b32 v7, 0 :: v_dual_lshlrev_b32 v6, 2, v0
	s_delay_alu instid0(VALU_DEP_2) | instskip(NEXT) | instid1(VALU_DEP_1)
	v_lshrrev_b32_e32 v1, 16, v1
	v_mul_lo_u16 v2, v1, 23
	s_delay_alu instid0(VALU_DEP_1)
	v_sub_nc_u16 v8, v0, v2
	s_waitcnt lgkmcnt(0)
	s_cmp_eq_u32 s3, 1
	s_cselect_b32 s2, -1, 0
	s_cmp_lg_u32 s3, 1
	s_cselect_b32 s3, -1, 0
	s_ashr_i32 s11, s10, 31
	s_delay_alu instid0(SALU_CYCLE_1) | instskip(NEXT) | instid1(SALU_CYCLE_1)
	s_lshl_b64 s[4:5], s[10:11], 3
	s_add_u32 s6, s6, s4
	s_addc_u32 s7, s7, s5
	s_add_u32 s9, s6, 8
	s_addc_u32 s11, s7, 0
	;; [unrolled: 2-line block ×3, first 2 shown]
	s_cmp_eq_u64 s[16:17], 0
	s_cselect_b32 s5, s11, s5
	s_cselect_b32 s4, s9, s4
	s_load_b64 s[18:19], s[6:7], 0x0
	s_load_b64 s[6:7], s[4:5], 0x0
	;; [unrolled: 1-line block ×3, first 2 shown]
	s_waitcnt lgkmcnt(0)
	v_cmp_ge_i64_e64 s9, s[18:19], s[6:7]
	s_delay_alu instid0(VALU_DEP_1)
	s_and_b32 vcc_lo, exec_lo, s9
	s_cbranch_vccnz .LBB70_12
; %bb.8:
	v_and_b32_e32 v1, 0xffff, v1
	v_cmp_lt_u32_e32 vcc_lo, 0x210, v0
	s_clause 0x1
	s_load_b128 s[20:23], s[0:1], 0x30
	s_load_b64 s[0:1], s[0:1], 0x40
	s_sub_u32 s6, s6, s14
	s_subb_u32 s7, s7, 0
	v_subrev_nc_u32_e32 v3, 23, v1
	v_cndmask_b32_e64 v9, 0, 1, vcc_lo
	v_cmp_gt_u32_e32 vcc_lo, 0x211, v0
	v_and_b32_e32 v2, 0xffff, v8
	s_sub_u32 s16, s18, s14
	s_subb_u32 s17, s19, 0
	s_mul_hi_u32 s9, s16, 0x844
	v_cndmask_b32_e32 v1, v3, v1, vcc_lo
	s_mul_i32 s11, s17, 0x844
	v_lshlrev_b32_e32 v7, 2, v0
	s_add_i32 s9, s9, s11
	s_delay_alu instid0(VALU_DEP_2) | instskip(SKIP_1) | instid1(VALU_DEP_1)
	v_cndmask_b32_e64 v1, v2, v1, s2
	v_add_co_u32 v2, s2, s18, v9
	v_add_co_ci_u32_e64 v3, null, s19, 0, s2
	s_mul_i32 s2, s16, 0x844
	s_delay_alu instid0(VALU_DEP_2) | instskip(NEXT) | instid1(VALU_DEP_2)
	v_sub_co_u32 v2, vcc_lo, v2, s14
	v_subrev_co_ci_u32_e32 v3, vcc_lo, 0, v3, vcc_lo
	s_waitcnt lgkmcnt(0)
	s_add_u32 s2, s22, s2
	s_addc_u32 s9, s23, s9
	s_delay_alu instid0(VALU_DEP_1) | instskip(SKIP_1) | instid1(VALU_DEP_1)
	v_lshlrev_b64 v[4:5], 2, v[2:3]
	v_add_co_u32 v2, s2, s2, v7
	v_add_co_ci_u32_e64 v3, null, s9, 0, s2
	v_mov_b32_e32 v7, 0
	s_delay_alu instid0(VALU_DEP_4)
	v_add_co_u32 v4, vcc_lo, s20, v4
	v_add_co_ci_u32_e32 v5, vcc_lo, s21, v5, vcc_lo
	s_set_inst_prefetch_distance 0x1
	s_branch .LBB70_10
	.p2align	6
.LBB70_9:                               ;   in Loop: Header=BB70_10 Depth=1
	s_or_b32 exec_lo, exec_lo, s2
	s_add_u32 s16, s16, 1
	s_addc_u32 s17, s17, 0
	v_add_co_u32 v4, vcc_lo, v4, 4
	v_cmp_lt_i64_e64 s2, s[16:17], s[6:7]
	v_add_co_ci_u32_e32 v5, vcc_lo, 0, v5, vcc_lo
	s_delay_alu instid0(VALU_DEP_2)
	s_and_b32 vcc_lo, exec_lo, s2
	s_cbranch_vccz .LBB70_12
.LBB70_10:                              ; =>This Inner Loop Header: Depth=1
	v_add_co_u32 v10, s2, v9, s16
	s_delay_alu instid0(VALU_DEP_1) | instskip(SKIP_1) | instid1(VALU_DEP_1)
	v_add_co_ci_u32_e64 v11, null, 0, s17, s2
	s_mov_b32 s2, exec_lo
	v_cmpx_gt_i64_e64 s[6:7], v[10:11]
	s_cbranch_execz .LBB70_9
; %bb.11:                               ;   in Loop: Header=BB70_10 Depth=1
	global_load_b32 v10, v[4:5], off
	s_waitcnt vmcnt(0)
	v_subrev_nc_u32_e32 v12, s14, v10
	s_delay_alu instid0(VALU_DEP_1) | instskip(NEXT) | instid1(VALU_DEP_1)
	v_mad_u64_u32 v[10:11], null, v12, 23, v[1:2]
	v_ashrrev_i32_e32 v11, 31, v10
	s_delay_alu instid0(VALU_DEP_1) | instskip(NEXT) | instid1(VALU_DEP_1)
	v_lshlrev_b64 v[10:11], 2, v[10:11]
	v_add_co_u32 v10, vcc_lo, s0, v10
	s_delay_alu instid0(VALU_DEP_2)
	v_add_co_ci_u32_e32 v11, vcc_lo, s1, v11, vcc_lo
	global_load_b32 v12, v[2:3], off
	global_load_b32 v10, v[10:11], off
	v_add_co_u32 v2, vcc_lo, 0x844, v2
	v_add_co_ci_u32_e32 v3, vcc_lo, 0, v3, vcc_lo
	s_waitcnt vmcnt(0)
	v_fmac_f32_e32 v7, v12, v10
	s_branch .LBB70_9
.LBB70_12:
	s_set_inst_prefetch_distance 0x2
	s_and_b32 vcc_lo, exec_lo, s3
	ds_store_b32 v6, v7
	s_waitcnt lgkmcnt(0)
	s_barrier
	buffer_gl0_inv
	s_cbranch_vccz .LBB70_24
; %bb.13:
	s_mov_b32 s0, exec_lo
	v_cmpx_gt_u16_e32 7, v8
	s_cbranch_execz .LBB70_15
; %bb.14:
	ds_load_2addr_b32 v[1:2], v6 offset1:16
	s_waitcnt lgkmcnt(0)
	v_add_f32_e32 v1, v2, v1
	ds_store_b32 v6, v1
.LBB70_15:
	s_or_b32 exec_lo, exec_lo, s0
	s_delay_alu instid0(SALU_CYCLE_1)
	s_mov_b32 s0, exec_lo
	s_waitcnt lgkmcnt(0)
	s_barrier
	buffer_gl0_inv
	v_cmpx_gt_u16_e32 8, v8
	s_cbranch_execz .LBB70_17
; %bb.16:
	ds_load_2addr_b32 v[1:2], v6 offset1:8
	s_waitcnt lgkmcnt(0)
	v_add_f32_e32 v1, v2, v1
	ds_store_b32 v6, v1
.LBB70_17:
	s_or_b32 exec_lo, exec_lo, s0
	s_delay_alu instid0(SALU_CYCLE_1)
	s_mov_b32 s0, exec_lo
	s_waitcnt lgkmcnt(0)
	s_barrier
	buffer_gl0_inv
	;; [unrolled: 14-line block ×3, first 2 shown]
	v_cmpx_gt_u16_e32 2, v8
	s_cbranch_execz .LBB70_21
; %bb.20:
	ds_load_2addr_b32 v[1:2], v6 offset1:2
	s_waitcnt lgkmcnt(0)
	v_add_f32_e32 v1, v2, v1
	ds_store_b32 v6, v1
.LBB70_21:
	s_or_b32 exec_lo, exec_lo, s0
	s_mov_b32 s1, 0
	s_mov_b32 s0, 0
	s_mov_b32 s2, exec_lo
	s_waitcnt lgkmcnt(0)
	s_barrier
	buffer_gl0_inv
                                        ; implicit-def: $vgpr1
                                        ; implicit-def: $vgpr2
	v_cmpx_gt_u32_e32 23, v0
	s_xor_b32 s2, exec_lo, s2
; %bb.22:
	v_mad_u32_u24 v1, v0, 23, 1
	v_mad_u32_u24 v2, 0x58, v0, v6
	s_mov_b32 s0, exec_lo
; %bb.23:
	s_or_b32 exec_lo, exec_lo, s2
	s_delay_alu instid0(SALU_CYCLE_1)
	s_and_b32 vcc_lo, exec_lo, s1
	s_cbranch_vccnz .LBB70_25
	s_branch .LBB70_36
.LBB70_24:
	s_mov_b32 s0, 0
                                        ; implicit-def: $vgpr1
                                        ; implicit-def: $vgpr2
	s_cbranch_execz .LBB70_36
.LBB70_25:
	s_mov_b32 s1, exec_lo
	v_cmpx_gt_u32_e32 0xa1, v0
	s_cbranch_execz .LBB70_27
; %bb.26:
	ds_load_b32 v1, v6 offset:1472
	ds_load_b32 v2, v6
	s_waitcnt lgkmcnt(0)
	v_add_f32_e32 v1, v1, v2
	ds_store_b32 v6, v1
.LBB70_27:
	s_or_b32 exec_lo, exec_lo, s1
	s_delay_alu instid0(SALU_CYCLE_1)
	s_mov_b32 s1, exec_lo
	s_waitcnt lgkmcnt(0)
	s_barrier
	buffer_gl0_inv
	v_cmpx_gt_u32_e32 0xb8, v0
	s_cbranch_execz .LBB70_29
; %bb.28:
	ds_load_2addr_b32 v[1:2], v6 offset1:184
	s_waitcnt lgkmcnt(0)
	v_add_f32_e32 v1, v2, v1
	ds_store_b32 v6, v1
.LBB70_29:
	s_or_b32 exec_lo, exec_lo, s1
	s_delay_alu instid0(SALU_CYCLE_1)
	s_mov_b32 s1, exec_lo
	s_waitcnt lgkmcnt(0)
	s_barrier
	buffer_gl0_inv
	v_cmpx_gt_u32_e32 0x5c, v0
	s_cbranch_execz .LBB70_31
; %bb.30:
	ds_load_2addr_b32 v[1:2], v6 offset1:92
	s_waitcnt lgkmcnt(0)
	v_add_f32_e32 v1, v2, v1
	ds_store_b32 v6, v1
.LBB70_31:
	s_or_b32 exec_lo, exec_lo, s1
	s_delay_alu instid0(SALU_CYCLE_1)
	s_mov_b32 s1, exec_lo
	s_waitcnt lgkmcnt(0)
	s_barrier
	buffer_gl0_inv
	v_cmpx_gt_u32_e32 46, v0
	s_cbranch_execz .LBB70_33
; %bb.32:
	ds_load_2addr_b32 v[1:2], v6 offset1:46
	s_waitcnt lgkmcnt(0)
	v_add_f32_e32 v1, v2, v1
	ds_store_b32 v6, v1
.LBB70_33:
	s_or_b32 exec_lo, exec_lo, s1
	s_delay_alu instid0(SALU_CYCLE_1)
	s_mov_b32 s1, exec_lo
	s_waitcnt lgkmcnt(0)
	buffer_gl0_inv
                                        ; implicit-def: $vgpr1
	v_cmpx_gt_u32_e32 23, v0
; %bb.34:
	v_add_nc_u32_e32 v1, 23, v0
	s_or_b32 s0, s0, exec_lo
                                        ; implicit-def: $vgpr7
; %bb.35:
	s_or_b32 exec_lo, exec_lo, s1
	v_mov_b32_e32 v2, v6
.LBB70_36:
	s_and_saveexec_b32 s1, s0
	s_cbranch_execz .LBB70_38
; %bb.37:
	v_lshlrev_b32_e32 v1, 2, v1
	ds_load_b32 v2, v2
	ds_load_b32 v1, v1
	s_waitcnt lgkmcnt(0)
	v_add_f32_e32 v7, v2, v1
.LBB70_38:
	s_or_b32 exec_lo, exec_lo, s1
	s_delay_alu instid0(SALU_CYCLE_1)
	s_mov_b32 s0, exec_lo
	v_cmpx_gt_u32_e32 23, v0
	s_cbranch_execz .LBB70_42
; %bb.39:
	v_cmp_eq_f32_e64 s0, s8, 0
	v_mul_f32_e32 v1, s12, v7
	s_delay_alu instid0(VALU_DEP_2)
	s_and_b32 vcc_lo, exec_lo, s0
	s_mov_b32 s0, 0
	s_cbranch_vccz .LBB70_43
; %bb.40:
	s_delay_alu instid0(VALU_DEP_1) | instskip(SKIP_1) | instid1(VALU_DEP_1)
	v_mad_u64_u32 v[2:3], null, s10, 23, v[0:1]
	v_mov_b32_e32 v3, 0
	v_lshlrev_b64 v[2:3], 2, v[2:3]
	s_delay_alu instid0(VALU_DEP_1) | instskip(NEXT) | instid1(VALU_DEP_2)
	v_add_co_u32 v2, vcc_lo, s4, v2
	v_add_co_ci_u32_e32 v3, vcc_lo, s5, v3, vcc_lo
	global_store_b32 v[2:3], v1, off
	s_and_not1_b32 vcc_lo, exec_lo, s0
	s_cbranch_vccnz .LBB70_42
.LBB70_41:
	v_mad_u64_u32 v[2:3], null, s10, 23, v[0:1]
	v_mov_b32_e32 v3, 0
	s_delay_alu instid0(VALU_DEP_1) | instskip(NEXT) | instid1(VALU_DEP_1)
	v_lshlrev_b64 v[2:3], 2, v[2:3]
	v_add_co_u32 v2, vcc_lo, s4, v2
	s_delay_alu instid0(VALU_DEP_2)
	v_add_co_ci_u32_e32 v3, vcc_lo, s5, v3, vcc_lo
	global_load_b32 v0, v[2:3], off
	s_waitcnt vmcnt(0)
	v_fmac_f32_e32 v1, s8, v0
	global_store_b32 v[2:3], v1, off
.LBB70_42:
	s_nop 0
	s_sendmsg sendmsg(MSG_DEALLOC_VGPRS)
	s_endpgm
.LBB70_43:
	s_branch .LBB70_41
	.section	.rodata,"a",@progbits
	.p2align	6, 0x0
	.amdhsa_kernel _ZN9rocsparseL20bsrxmvn_17_32_kernelILj23EflifffEEvT2_20rocsparse_direction_NS_24const_host_device_scalarIT0_EES1_PKS1_PKT1_SA_S7_PKT3_PKT4_S5_PT5_21rocsparse_index_base_b
		.amdhsa_group_segment_fixed_size 2116
		.amdhsa_private_segment_fixed_size 0
		.amdhsa_kernarg_size 96
		.amdhsa_user_sgpr_count 15
		.amdhsa_user_sgpr_dispatch_ptr 0
		.amdhsa_user_sgpr_queue_ptr 0
		.amdhsa_user_sgpr_kernarg_segment_ptr 1
		.amdhsa_user_sgpr_dispatch_id 0
		.amdhsa_user_sgpr_private_segment_size 0
		.amdhsa_wavefront_size32 1
		.amdhsa_uses_dynamic_stack 0
		.amdhsa_enable_private_segment 0
		.amdhsa_system_sgpr_workgroup_id_x 1
		.amdhsa_system_sgpr_workgroup_id_y 0
		.amdhsa_system_sgpr_workgroup_id_z 0
		.amdhsa_system_sgpr_workgroup_info 0
		.amdhsa_system_vgpr_workitem_id 0
		.amdhsa_next_free_vgpr 13
		.amdhsa_next_free_sgpr 24
		.amdhsa_reserve_vcc 1
		.amdhsa_float_round_mode_32 0
		.amdhsa_float_round_mode_16_64 0
		.amdhsa_float_denorm_mode_32 3
		.amdhsa_float_denorm_mode_16_64 3
		.amdhsa_dx10_clamp 1
		.amdhsa_ieee_mode 1
		.amdhsa_fp16_overflow 0
		.amdhsa_workgroup_processor_mode 1
		.amdhsa_memory_ordered 1
		.amdhsa_forward_progress 0
		.amdhsa_shared_vgpr_count 0
		.amdhsa_exception_fp_ieee_invalid_op 0
		.amdhsa_exception_fp_denorm_src 0
		.amdhsa_exception_fp_ieee_div_zero 0
		.amdhsa_exception_fp_ieee_overflow 0
		.amdhsa_exception_fp_ieee_underflow 0
		.amdhsa_exception_fp_ieee_inexact 0
		.amdhsa_exception_int_div_zero 0
	.end_amdhsa_kernel
	.section	.text._ZN9rocsparseL20bsrxmvn_17_32_kernelILj23EflifffEEvT2_20rocsparse_direction_NS_24const_host_device_scalarIT0_EES1_PKS1_PKT1_SA_S7_PKT3_PKT4_S5_PT5_21rocsparse_index_base_b,"axG",@progbits,_ZN9rocsparseL20bsrxmvn_17_32_kernelILj23EflifffEEvT2_20rocsparse_direction_NS_24const_host_device_scalarIT0_EES1_PKS1_PKT1_SA_S7_PKT3_PKT4_S5_PT5_21rocsparse_index_base_b,comdat
.Lfunc_end70:
	.size	_ZN9rocsparseL20bsrxmvn_17_32_kernelILj23EflifffEEvT2_20rocsparse_direction_NS_24const_host_device_scalarIT0_EES1_PKS1_PKT1_SA_S7_PKT3_PKT4_S5_PT5_21rocsparse_index_base_b, .Lfunc_end70-_ZN9rocsparseL20bsrxmvn_17_32_kernelILj23EflifffEEvT2_20rocsparse_direction_NS_24const_host_device_scalarIT0_EES1_PKS1_PKT1_SA_S7_PKT3_PKT4_S5_PT5_21rocsparse_index_base_b
                                        ; -- End function
	.section	.AMDGPU.csdata,"",@progbits
; Kernel info:
; codeLenInByte = 1612
; NumSgprs: 26
; NumVgprs: 13
; ScratchSize: 0
; MemoryBound: 0
; FloatMode: 240
; IeeeMode: 1
; LDSByteSize: 2116 bytes/workgroup (compile time only)
; SGPRBlocks: 3
; VGPRBlocks: 1
; NumSGPRsForWavesPerEU: 26
; NumVGPRsForWavesPerEU: 13
; Occupancy: 13
; WaveLimiterHint : 1
; COMPUTE_PGM_RSRC2:SCRATCH_EN: 0
; COMPUTE_PGM_RSRC2:USER_SGPR: 15
; COMPUTE_PGM_RSRC2:TRAP_HANDLER: 0
; COMPUTE_PGM_RSRC2:TGID_X_EN: 1
; COMPUTE_PGM_RSRC2:TGID_Y_EN: 0
; COMPUTE_PGM_RSRC2:TGID_Z_EN: 0
; COMPUTE_PGM_RSRC2:TIDIG_COMP_CNT: 0
	.section	.text._ZN9rocsparseL20bsrxmvn_17_32_kernelILj24EflifffEEvT2_20rocsparse_direction_NS_24const_host_device_scalarIT0_EES1_PKS1_PKT1_SA_S7_PKT3_PKT4_S5_PT5_21rocsparse_index_base_b,"axG",@progbits,_ZN9rocsparseL20bsrxmvn_17_32_kernelILj24EflifffEEvT2_20rocsparse_direction_NS_24const_host_device_scalarIT0_EES1_PKS1_PKT1_SA_S7_PKT3_PKT4_S5_PT5_21rocsparse_index_base_b,comdat
	.globl	_ZN9rocsparseL20bsrxmvn_17_32_kernelILj24EflifffEEvT2_20rocsparse_direction_NS_24const_host_device_scalarIT0_EES1_PKS1_PKT1_SA_S7_PKT3_PKT4_S5_PT5_21rocsparse_index_base_b ; -- Begin function _ZN9rocsparseL20bsrxmvn_17_32_kernelILj24EflifffEEvT2_20rocsparse_direction_NS_24const_host_device_scalarIT0_EES1_PKS1_PKT1_SA_S7_PKT3_PKT4_S5_PT5_21rocsparse_index_base_b
	.p2align	8
	.type	_ZN9rocsparseL20bsrxmvn_17_32_kernelILj24EflifffEEvT2_20rocsparse_direction_NS_24const_host_device_scalarIT0_EES1_PKS1_PKT1_SA_S7_PKT3_PKT4_S5_PT5_21rocsparse_index_base_b,@function
_ZN9rocsparseL20bsrxmvn_17_32_kernelILj24EflifffEEvT2_20rocsparse_direction_NS_24const_host_device_scalarIT0_EES1_PKS1_PKT1_SA_S7_PKT3_PKT4_S5_PT5_21rocsparse_index_base_b: ; @_ZN9rocsparseL20bsrxmvn_17_32_kernelILj24EflifffEEvT2_20rocsparse_direction_NS_24const_host_device_scalarIT0_EES1_PKS1_PKT1_SA_S7_PKT3_PKT4_S5_PT5_21rocsparse_index_base_b
; %bb.0:
	s_mov_b32 s10, s15
	s_clause 0x2
	s_load_b64 s[14:15], s[0:1], 0x58
	s_load_b64 s[12:13], s[0:1], 0x8
	;; [unrolled: 1-line block ×3, first 2 shown]
	s_waitcnt lgkmcnt(0)
	s_bitcmp1_b32 s15, 0
	s_cselect_b32 s2, -1, 0
	s_delay_alu instid0(SALU_CYCLE_1)
	s_and_b32 vcc_lo, exec_lo, s2
	s_xor_b32 s2, s2, -1
	s_cbranch_vccnz .LBB71_2
; %bb.1:
	s_load_b32 s12, s[12:13], 0x0
.LBB71_2:
	s_and_not1_b32 vcc_lo, exec_lo, s2
	s_cbranch_vccnz .LBB71_4
; %bb.3:
	s_load_b32 s8, s[8:9], 0x0
.LBB71_4:
	s_waitcnt lgkmcnt(0)
	v_cmp_neq_f32_e64 s2, s12, 0
	v_cmp_neq_f32_e64 s3, s8, 1.0
	s_delay_alu instid0(VALU_DEP_1) | instskip(NEXT) | instid1(SALU_CYCLE_1)
	s_or_b32 s2, s2, s3
	s_and_not1_b32 vcc_lo, exec_lo, s2
	s_cbranch_vccnz .LBB71_42
; %bb.5:
	s_clause 0x1
	s_load_b128 s[4:7], s[0:1], 0x18
	s_load_b64 s[16:17], s[0:1], 0x28
	s_waitcnt lgkmcnt(0)
	s_cmp_eq_u64 s[4:5], 0
	s_cbranch_scc1 .LBB71_7
; %bb.6:
	s_ashr_i32 s11, s10, 31
	s_delay_alu instid0(SALU_CYCLE_1) | instskip(NEXT) | instid1(SALU_CYCLE_1)
	s_lshl_b64 s[2:3], s[10:11], 2
	s_add_u32 s2, s4, s2
	s_addc_u32 s3, s5, s3
	s_load_b32 s2, s[2:3], 0x0
	s_waitcnt lgkmcnt(0)
	s_sub_i32 s10, s2, s14
.LBB71_7:
	s_load_b32 s3, s[0:1], 0x4
	v_mul_u32_u24_e32 v1, 0xaab, v0
	v_dual_mov_b32 v7, 0 :: v_dual_lshlrev_b32 v6, 2, v0
	s_delay_alu instid0(VALU_DEP_2) | instskip(NEXT) | instid1(VALU_DEP_1)
	v_lshrrev_b32_e32 v1, 16, v1
	v_mul_lo_u16 v2, v1, 24
	s_delay_alu instid0(VALU_DEP_1)
	v_sub_nc_u16 v8, v0, v2
	s_waitcnt lgkmcnt(0)
	s_cmp_eq_u32 s3, 1
	s_cselect_b32 s2, -1, 0
	s_cmp_lg_u32 s3, 1
	s_cselect_b32 s3, -1, 0
	s_ashr_i32 s11, s10, 31
	s_delay_alu instid0(SALU_CYCLE_1) | instskip(NEXT) | instid1(SALU_CYCLE_1)
	s_lshl_b64 s[4:5], s[10:11], 3
	s_add_u32 s6, s6, s4
	s_addc_u32 s7, s7, s5
	s_add_u32 s9, s6, 8
	s_addc_u32 s11, s7, 0
	;; [unrolled: 2-line block ×3, first 2 shown]
	s_cmp_eq_u64 s[16:17], 0
	s_cselect_b32 s5, s11, s5
	s_cselect_b32 s4, s9, s4
	s_load_b64 s[18:19], s[6:7], 0x0
	s_load_b64 s[6:7], s[4:5], 0x0
	;; [unrolled: 1-line block ×3, first 2 shown]
	s_waitcnt lgkmcnt(0)
	v_cmp_ge_i64_e64 s9, s[18:19], s[6:7]
	s_delay_alu instid0(VALU_DEP_1)
	s_and_b32 vcc_lo, exec_lo, s9
	s_cbranch_vccnz .LBB71_12
; %bb.8:
	v_and_b32_e32 v1, 0xffff, v1
	v_cmp_lt_u32_e32 vcc_lo, 0x23f, v0
	s_clause 0x1
	s_load_b128 s[20:23], s[0:1], 0x30
	s_load_b64 s[0:1], s[0:1], 0x40
	s_sub_u32 s6, s6, s14
	s_subb_u32 s7, s7, 0
	v_subrev_nc_u32_e32 v3, 24, v1
	v_cndmask_b32_e64 v9, 0, 1, vcc_lo
	v_cmp_gt_u32_e32 vcc_lo, 0x240, v0
	v_and_b32_e32 v2, 0xffff, v8
	s_sub_u32 s16, s18, s14
	s_subb_u32 s17, s19, 0
	s_mul_hi_u32 s9, s16, 0x900
	v_cndmask_b32_e32 v1, v3, v1, vcc_lo
	s_mul_i32 s11, s17, 0x900
	v_lshlrev_b32_e32 v7, 2, v0
	s_add_i32 s9, s9, s11
	s_delay_alu instid0(VALU_DEP_2) | instskip(SKIP_1) | instid1(VALU_DEP_1)
	v_cndmask_b32_e64 v1, v2, v1, s2
	v_add_co_u32 v2, s2, s18, v9
	v_add_co_ci_u32_e64 v3, null, s19, 0, s2
	s_mul_i32 s2, s16, 0x900
	s_delay_alu instid0(VALU_DEP_2) | instskip(NEXT) | instid1(VALU_DEP_2)
	v_sub_co_u32 v2, vcc_lo, v2, s14
	v_subrev_co_ci_u32_e32 v3, vcc_lo, 0, v3, vcc_lo
	s_waitcnt lgkmcnt(0)
	s_add_u32 s2, s22, s2
	s_addc_u32 s9, s23, s9
	s_delay_alu instid0(VALU_DEP_1) | instskip(SKIP_1) | instid1(VALU_DEP_1)
	v_lshlrev_b64 v[4:5], 2, v[2:3]
	v_add_co_u32 v2, s2, s2, v7
	v_add_co_ci_u32_e64 v3, null, s9, 0, s2
	v_mov_b32_e32 v7, 0
	s_delay_alu instid0(VALU_DEP_4)
	v_add_co_u32 v4, vcc_lo, s20, v4
	v_add_co_ci_u32_e32 v5, vcc_lo, s21, v5, vcc_lo
	s_set_inst_prefetch_distance 0x1
	s_branch .LBB71_10
	.p2align	6
.LBB71_9:                               ;   in Loop: Header=BB71_10 Depth=1
	s_or_b32 exec_lo, exec_lo, s2
	s_add_u32 s16, s16, 1
	s_addc_u32 s17, s17, 0
	v_add_co_u32 v4, vcc_lo, v4, 4
	v_cmp_lt_i64_e64 s2, s[16:17], s[6:7]
	v_add_co_ci_u32_e32 v5, vcc_lo, 0, v5, vcc_lo
	s_delay_alu instid0(VALU_DEP_2)
	s_and_b32 vcc_lo, exec_lo, s2
	s_cbranch_vccz .LBB71_12
.LBB71_10:                              ; =>This Inner Loop Header: Depth=1
	v_add_co_u32 v10, s2, v9, s16
	s_delay_alu instid0(VALU_DEP_1) | instskip(SKIP_1) | instid1(VALU_DEP_1)
	v_add_co_ci_u32_e64 v11, null, 0, s17, s2
	s_mov_b32 s2, exec_lo
	v_cmpx_gt_i64_e64 s[6:7], v[10:11]
	s_cbranch_execz .LBB71_9
; %bb.11:                               ;   in Loop: Header=BB71_10 Depth=1
	global_load_b32 v10, v[4:5], off
	s_waitcnt vmcnt(0)
	v_subrev_nc_u32_e32 v12, s14, v10
	s_delay_alu instid0(VALU_DEP_1) | instskip(NEXT) | instid1(VALU_DEP_1)
	v_mad_u64_u32 v[10:11], null, v12, 24, v[1:2]
	v_ashrrev_i32_e32 v11, 31, v10
	s_delay_alu instid0(VALU_DEP_1) | instskip(NEXT) | instid1(VALU_DEP_1)
	v_lshlrev_b64 v[10:11], 2, v[10:11]
	v_add_co_u32 v10, vcc_lo, s0, v10
	s_delay_alu instid0(VALU_DEP_2)
	v_add_co_ci_u32_e32 v11, vcc_lo, s1, v11, vcc_lo
	global_load_b32 v12, v[2:3], off
	global_load_b32 v10, v[10:11], off
	v_add_co_u32 v2, vcc_lo, 0x900, v2
	v_add_co_ci_u32_e32 v3, vcc_lo, 0, v3, vcc_lo
	s_waitcnt vmcnt(0)
	v_fmac_f32_e32 v7, v12, v10
	s_branch .LBB71_9
.LBB71_12:
	s_set_inst_prefetch_distance 0x2
	s_and_b32 vcc_lo, exec_lo, s3
	ds_store_b32 v6, v7
	s_waitcnt lgkmcnt(0)
	s_barrier
	buffer_gl0_inv
	s_cbranch_vccz .LBB71_24
; %bb.13:
	v_cmp_gt_u16_e32 vcc_lo, 8, v8
	s_and_saveexec_b32 s0, vcc_lo
	s_cbranch_execz .LBB71_15
; %bb.14:
	ds_load_2addr_b32 v[1:2], v6 offset1:16
	s_waitcnt lgkmcnt(0)
	v_add_f32_e32 v1, v2, v1
	ds_store_b32 v6, v1
.LBB71_15:
	s_or_b32 exec_lo, exec_lo, s0
	s_waitcnt lgkmcnt(0)
	s_barrier
	buffer_gl0_inv
	s_and_saveexec_b32 s0, vcc_lo
	s_cbranch_execz .LBB71_17
; %bb.16:
	ds_load_2addr_b32 v[1:2], v6 offset1:8
	s_waitcnt lgkmcnt(0)
	v_add_f32_e32 v1, v2, v1
	ds_store_b32 v6, v1
.LBB71_17:
	s_or_b32 exec_lo, exec_lo, s0
	s_delay_alu instid0(SALU_CYCLE_1)
	s_mov_b32 s0, exec_lo
	s_waitcnt lgkmcnt(0)
	s_barrier
	buffer_gl0_inv
	v_cmpx_gt_u16_e32 4, v8
	s_cbranch_execz .LBB71_19
; %bb.18:
	ds_load_2addr_b32 v[1:2], v6 offset1:4
	s_waitcnt lgkmcnt(0)
	v_add_f32_e32 v1, v2, v1
	ds_store_b32 v6, v1
.LBB71_19:
	s_or_b32 exec_lo, exec_lo, s0
	s_delay_alu instid0(SALU_CYCLE_1)
	s_mov_b32 s0, exec_lo
	s_waitcnt lgkmcnt(0)
	s_barrier
	buffer_gl0_inv
	v_cmpx_gt_u16_e32 2, v8
	s_cbranch_execz .LBB71_21
; %bb.20:
	ds_load_2addr_b32 v[1:2], v6 offset1:2
	s_waitcnt lgkmcnt(0)
	v_add_f32_e32 v1, v2, v1
	ds_store_b32 v6, v1
.LBB71_21:
	s_or_b32 exec_lo, exec_lo, s0
	s_mov_b32 s1, 0
	s_mov_b32 s0, 0
	s_mov_b32 s2, exec_lo
	s_waitcnt lgkmcnt(0)
	s_barrier
	buffer_gl0_inv
                                        ; implicit-def: $vgpr1
                                        ; implicit-def: $vgpr2
	v_cmpx_gt_u32_e32 24, v0
	s_xor_b32 s2, exec_lo, s2
; %bb.22:
	v_mul_u32_u24_e32 v1, 24, v0
	v_mad_u32_u24 v2, 0x5c, v0, v6
	s_mov_b32 s0, exec_lo
	s_delay_alu instid0(VALU_DEP_2)
	v_or_b32_e32 v1, 1, v1
; %bb.23:
	s_or_b32 exec_lo, exec_lo, s2
	s_delay_alu instid0(SALU_CYCLE_1)
	s_and_b32 vcc_lo, exec_lo, s1
	s_cbranch_vccnz .LBB71_25
	s_branch .LBB71_36
.LBB71_24:
	s_mov_b32 s0, 0
                                        ; implicit-def: $vgpr1
                                        ; implicit-def: $vgpr2
	s_cbranch_execz .LBB71_36
.LBB71_25:
	v_cmp_gt_u32_e32 vcc_lo, 0xc0, v0
	s_and_saveexec_b32 s1, vcc_lo
	s_cbranch_execz .LBB71_27
; %bb.26:
	ds_load_2addr_stride64_b32 v[1:2], v6 offset1:6
	s_waitcnt lgkmcnt(0)
	v_add_f32_e32 v1, v2, v1
	ds_store_b32 v6, v1
.LBB71_27:
	s_or_b32 exec_lo, exec_lo, s1
	s_waitcnt lgkmcnt(0)
	s_barrier
	buffer_gl0_inv
	s_and_saveexec_b32 s1, vcc_lo
	s_cbranch_execz .LBB71_29
; %bb.28:
	ds_load_2addr_stride64_b32 v[1:2], v6 offset1:3
	s_waitcnt lgkmcnt(0)
	v_add_f32_e32 v1, v2, v1
	ds_store_b32 v6, v1
.LBB71_29:
	s_or_b32 exec_lo, exec_lo, s1
	s_delay_alu instid0(SALU_CYCLE_1)
	s_mov_b32 s1, exec_lo
	s_waitcnt lgkmcnt(0)
	s_barrier
	buffer_gl0_inv
	v_cmpx_gt_u32_e32 0x60, v0
	s_cbranch_execz .LBB71_31
; %bb.30:
	ds_load_2addr_b32 v[1:2], v6 offset1:96
	s_waitcnt lgkmcnt(0)
	v_add_f32_e32 v1, v2, v1
	ds_store_b32 v6, v1
.LBB71_31:
	s_or_b32 exec_lo, exec_lo, s1
	s_delay_alu instid0(SALU_CYCLE_1)
	s_mov_b32 s1, exec_lo
	s_waitcnt lgkmcnt(0)
	s_barrier
	buffer_gl0_inv
	v_cmpx_gt_u32_e32 48, v0
	s_cbranch_execz .LBB71_33
; %bb.32:
	ds_load_2addr_b32 v[1:2], v6 offset1:48
	s_waitcnt lgkmcnt(0)
	v_add_f32_e32 v1, v2, v1
	ds_store_b32 v6, v1
.LBB71_33:
	s_or_b32 exec_lo, exec_lo, s1
	s_delay_alu instid0(SALU_CYCLE_1)
	s_mov_b32 s1, exec_lo
	s_waitcnt lgkmcnt(0)
	buffer_gl0_inv
                                        ; implicit-def: $vgpr1
	v_cmpx_gt_u32_e32 24, v0
; %bb.34:
	v_add_nc_u32_e32 v1, 24, v0
	s_or_b32 s0, s0, exec_lo
                                        ; implicit-def: $vgpr7
; %bb.35:
	s_or_b32 exec_lo, exec_lo, s1
	v_mov_b32_e32 v2, v6
.LBB71_36:
	s_and_saveexec_b32 s1, s0
	s_cbranch_execz .LBB71_38
; %bb.37:
	v_lshlrev_b32_e32 v1, 2, v1
	ds_load_b32 v2, v2
	ds_load_b32 v1, v1
	s_waitcnt lgkmcnt(0)
	v_add_f32_e32 v7, v2, v1
.LBB71_38:
	s_or_b32 exec_lo, exec_lo, s1
	s_delay_alu instid0(SALU_CYCLE_1)
	s_mov_b32 s0, exec_lo
	v_cmpx_gt_u32_e32 24, v0
	s_cbranch_execz .LBB71_42
; %bb.39:
	v_cmp_eq_f32_e64 s0, s8, 0
	v_mul_f32_e32 v1, s12, v7
	s_delay_alu instid0(VALU_DEP_2)
	s_and_b32 vcc_lo, exec_lo, s0
	s_mov_b32 s0, 0
	s_cbranch_vccz .LBB71_43
; %bb.40:
	s_delay_alu instid0(VALU_DEP_1) | instskip(SKIP_1) | instid1(VALU_DEP_1)
	v_mad_u64_u32 v[2:3], null, s10, 24, v[0:1]
	v_mov_b32_e32 v3, 0
	v_lshlrev_b64 v[2:3], 2, v[2:3]
	s_delay_alu instid0(VALU_DEP_1) | instskip(NEXT) | instid1(VALU_DEP_2)
	v_add_co_u32 v2, vcc_lo, s4, v2
	v_add_co_ci_u32_e32 v3, vcc_lo, s5, v3, vcc_lo
	global_store_b32 v[2:3], v1, off
	s_and_not1_b32 vcc_lo, exec_lo, s0
	s_cbranch_vccnz .LBB71_42
.LBB71_41:
	v_mad_u64_u32 v[2:3], null, s10, 24, v[0:1]
	v_mov_b32_e32 v3, 0
	s_delay_alu instid0(VALU_DEP_1) | instskip(NEXT) | instid1(VALU_DEP_1)
	v_lshlrev_b64 v[2:3], 2, v[2:3]
	v_add_co_u32 v2, vcc_lo, s4, v2
	s_delay_alu instid0(VALU_DEP_2)
	v_add_co_ci_u32_e32 v3, vcc_lo, s5, v3, vcc_lo
	global_load_b32 v0, v[2:3], off
	s_waitcnt vmcnt(0)
	v_fmac_f32_e32 v1, s8, v0
	global_store_b32 v[2:3], v1, off
.LBB71_42:
	s_nop 0
	s_sendmsg sendmsg(MSG_DEALLOC_VGPRS)
	s_endpgm
.LBB71_43:
	s_branch .LBB71_41
	.section	.rodata,"a",@progbits
	.p2align	6, 0x0
	.amdhsa_kernel _ZN9rocsparseL20bsrxmvn_17_32_kernelILj24EflifffEEvT2_20rocsparse_direction_NS_24const_host_device_scalarIT0_EES1_PKS1_PKT1_SA_S7_PKT3_PKT4_S5_PT5_21rocsparse_index_base_b
		.amdhsa_group_segment_fixed_size 2304
		.amdhsa_private_segment_fixed_size 0
		.amdhsa_kernarg_size 96
		.amdhsa_user_sgpr_count 15
		.amdhsa_user_sgpr_dispatch_ptr 0
		.amdhsa_user_sgpr_queue_ptr 0
		.amdhsa_user_sgpr_kernarg_segment_ptr 1
		.amdhsa_user_sgpr_dispatch_id 0
		.amdhsa_user_sgpr_private_segment_size 0
		.amdhsa_wavefront_size32 1
		.amdhsa_uses_dynamic_stack 0
		.amdhsa_enable_private_segment 0
		.amdhsa_system_sgpr_workgroup_id_x 1
		.amdhsa_system_sgpr_workgroup_id_y 0
		.amdhsa_system_sgpr_workgroup_id_z 0
		.amdhsa_system_sgpr_workgroup_info 0
		.amdhsa_system_vgpr_workitem_id 0
		.amdhsa_next_free_vgpr 13
		.amdhsa_next_free_sgpr 24
		.amdhsa_reserve_vcc 1
		.amdhsa_float_round_mode_32 0
		.amdhsa_float_round_mode_16_64 0
		.amdhsa_float_denorm_mode_32 3
		.amdhsa_float_denorm_mode_16_64 3
		.amdhsa_dx10_clamp 1
		.amdhsa_ieee_mode 1
		.amdhsa_fp16_overflow 0
		.amdhsa_workgroup_processor_mode 1
		.amdhsa_memory_ordered 1
		.amdhsa_forward_progress 0
		.amdhsa_shared_vgpr_count 0
		.amdhsa_exception_fp_ieee_invalid_op 0
		.amdhsa_exception_fp_denorm_src 0
		.amdhsa_exception_fp_ieee_div_zero 0
		.amdhsa_exception_fp_ieee_overflow 0
		.amdhsa_exception_fp_ieee_underflow 0
		.amdhsa_exception_fp_ieee_inexact 0
		.amdhsa_exception_int_div_zero 0
	.end_amdhsa_kernel
	.section	.text._ZN9rocsparseL20bsrxmvn_17_32_kernelILj24EflifffEEvT2_20rocsparse_direction_NS_24const_host_device_scalarIT0_EES1_PKS1_PKT1_SA_S7_PKT3_PKT4_S5_PT5_21rocsparse_index_base_b,"axG",@progbits,_ZN9rocsparseL20bsrxmvn_17_32_kernelILj24EflifffEEvT2_20rocsparse_direction_NS_24const_host_device_scalarIT0_EES1_PKS1_PKT1_SA_S7_PKT3_PKT4_S5_PT5_21rocsparse_index_base_b,comdat
.Lfunc_end71:
	.size	_ZN9rocsparseL20bsrxmvn_17_32_kernelILj24EflifffEEvT2_20rocsparse_direction_NS_24const_host_device_scalarIT0_EES1_PKS1_PKT1_SA_S7_PKT3_PKT4_S5_PT5_21rocsparse_index_base_b, .Lfunc_end71-_ZN9rocsparseL20bsrxmvn_17_32_kernelILj24EflifffEEvT2_20rocsparse_direction_NS_24const_host_device_scalarIT0_EES1_PKS1_PKT1_SA_S7_PKT3_PKT4_S5_PT5_21rocsparse_index_base_b
                                        ; -- End function
	.section	.AMDGPU.csdata,"",@progbits
; Kernel info:
; codeLenInByte = 1588
; NumSgprs: 26
; NumVgprs: 13
; ScratchSize: 0
; MemoryBound: 0
; FloatMode: 240
; IeeeMode: 1
; LDSByteSize: 2304 bytes/workgroup (compile time only)
; SGPRBlocks: 3
; VGPRBlocks: 1
; NumSGPRsForWavesPerEU: 26
; NumVGPRsForWavesPerEU: 13
; Occupancy: 14
; WaveLimiterHint : 1
; COMPUTE_PGM_RSRC2:SCRATCH_EN: 0
; COMPUTE_PGM_RSRC2:USER_SGPR: 15
; COMPUTE_PGM_RSRC2:TRAP_HANDLER: 0
; COMPUTE_PGM_RSRC2:TGID_X_EN: 1
; COMPUTE_PGM_RSRC2:TGID_Y_EN: 0
; COMPUTE_PGM_RSRC2:TGID_Z_EN: 0
; COMPUTE_PGM_RSRC2:TIDIG_COMP_CNT: 0
	.section	.text._ZN9rocsparseL20bsrxmvn_17_32_kernelILj25EflifffEEvT2_20rocsparse_direction_NS_24const_host_device_scalarIT0_EES1_PKS1_PKT1_SA_S7_PKT3_PKT4_S5_PT5_21rocsparse_index_base_b,"axG",@progbits,_ZN9rocsparseL20bsrxmvn_17_32_kernelILj25EflifffEEvT2_20rocsparse_direction_NS_24const_host_device_scalarIT0_EES1_PKS1_PKT1_SA_S7_PKT3_PKT4_S5_PT5_21rocsparse_index_base_b,comdat
	.globl	_ZN9rocsparseL20bsrxmvn_17_32_kernelILj25EflifffEEvT2_20rocsparse_direction_NS_24const_host_device_scalarIT0_EES1_PKS1_PKT1_SA_S7_PKT3_PKT4_S5_PT5_21rocsparse_index_base_b ; -- Begin function _ZN9rocsparseL20bsrxmvn_17_32_kernelILj25EflifffEEvT2_20rocsparse_direction_NS_24const_host_device_scalarIT0_EES1_PKS1_PKT1_SA_S7_PKT3_PKT4_S5_PT5_21rocsparse_index_base_b
	.p2align	8
	.type	_ZN9rocsparseL20bsrxmvn_17_32_kernelILj25EflifffEEvT2_20rocsparse_direction_NS_24const_host_device_scalarIT0_EES1_PKS1_PKT1_SA_S7_PKT3_PKT4_S5_PT5_21rocsparse_index_base_b,@function
_ZN9rocsparseL20bsrxmvn_17_32_kernelILj25EflifffEEvT2_20rocsparse_direction_NS_24const_host_device_scalarIT0_EES1_PKS1_PKT1_SA_S7_PKT3_PKT4_S5_PT5_21rocsparse_index_base_b: ; @_ZN9rocsparseL20bsrxmvn_17_32_kernelILj25EflifffEEvT2_20rocsparse_direction_NS_24const_host_device_scalarIT0_EES1_PKS1_PKT1_SA_S7_PKT3_PKT4_S5_PT5_21rocsparse_index_base_b
; %bb.0:
	s_mov_b32 s10, s15
	s_clause 0x2
	s_load_b64 s[14:15], s[0:1], 0x58
	s_load_b64 s[12:13], s[0:1], 0x8
	s_load_b64 s[8:9], s[0:1], 0x48
	s_waitcnt lgkmcnt(0)
	s_bitcmp1_b32 s15, 0
	s_cselect_b32 s2, -1, 0
	s_delay_alu instid0(SALU_CYCLE_1)
	s_and_b32 vcc_lo, exec_lo, s2
	s_xor_b32 s2, s2, -1
	s_cbranch_vccnz .LBB72_2
; %bb.1:
	s_load_b32 s12, s[12:13], 0x0
.LBB72_2:
	s_and_not1_b32 vcc_lo, exec_lo, s2
	s_cbranch_vccnz .LBB72_4
; %bb.3:
	s_load_b32 s8, s[8:9], 0x0
.LBB72_4:
	s_waitcnt lgkmcnt(0)
	v_cmp_neq_f32_e64 s2, s12, 0
	v_cmp_neq_f32_e64 s3, s8, 1.0
	s_delay_alu instid0(VALU_DEP_1) | instskip(NEXT) | instid1(SALU_CYCLE_1)
	s_or_b32 s2, s2, s3
	s_and_not1_b32 vcc_lo, exec_lo, s2
	s_cbranch_vccnz .LBB72_42
; %bb.5:
	s_clause 0x1
	s_load_b128 s[4:7], s[0:1], 0x18
	s_load_b64 s[16:17], s[0:1], 0x28
	s_waitcnt lgkmcnt(0)
	s_cmp_eq_u64 s[4:5], 0
	s_cbranch_scc1 .LBB72_7
; %bb.6:
	s_ashr_i32 s11, s10, 31
	s_delay_alu instid0(SALU_CYCLE_1) | instskip(NEXT) | instid1(SALU_CYCLE_1)
	s_lshl_b64 s[2:3], s[10:11], 2
	s_add_u32 s2, s4, s2
	s_addc_u32 s3, s5, s3
	s_load_b32 s2, s[2:3], 0x0
	s_waitcnt lgkmcnt(0)
	s_sub_i32 s10, s2, s14
.LBB72_7:
	s_load_b32 s3, s[0:1], 0x4
	v_mul_u32_u24_e32 v1, 0xa3e, v0
	v_dual_mov_b32 v7, 0 :: v_dual_lshlrev_b32 v6, 2, v0
	s_delay_alu instid0(VALU_DEP_2) | instskip(NEXT) | instid1(VALU_DEP_1)
	v_lshrrev_b32_e32 v1, 16, v1
	v_mul_lo_u16 v2, v1, 25
	s_delay_alu instid0(VALU_DEP_1)
	v_sub_nc_u16 v8, v0, v2
	s_waitcnt lgkmcnt(0)
	s_cmp_eq_u32 s3, 1
	s_cselect_b32 s2, -1, 0
	s_cmp_lg_u32 s3, 1
	s_cselect_b32 s3, -1, 0
	s_ashr_i32 s11, s10, 31
	s_delay_alu instid0(SALU_CYCLE_1) | instskip(NEXT) | instid1(SALU_CYCLE_1)
	s_lshl_b64 s[4:5], s[10:11], 3
	s_add_u32 s6, s6, s4
	s_addc_u32 s7, s7, s5
	s_add_u32 s9, s6, 8
	s_addc_u32 s11, s7, 0
	s_add_u32 s4, s16, s4
	s_addc_u32 s5, s17, s5
	s_cmp_eq_u64 s[16:17], 0
	s_cselect_b32 s5, s11, s5
	s_cselect_b32 s4, s9, s4
	s_load_b64 s[18:19], s[6:7], 0x0
	s_load_b64 s[6:7], s[4:5], 0x0
	;; [unrolled: 1-line block ×3, first 2 shown]
	s_waitcnt lgkmcnt(0)
	v_cmp_ge_i64_e64 s9, s[18:19], s[6:7]
	s_delay_alu instid0(VALU_DEP_1)
	s_and_b32 vcc_lo, exec_lo, s9
	s_cbranch_vccnz .LBB72_12
; %bb.8:
	v_and_b32_e32 v1, 0xffff, v1
	v_cmp_lt_u32_e32 vcc_lo, 0x270, v0
	s_clause 0x1
	s_load_b128 s[20:23], s[0:1], 0x30
	s_load_b64 s[0:1], s[0:1], 0x40
	s_sub_u32 s6, s6, s14
	s_subb_u32 s7, s7, 0
	v_subrev_nc_u32_e32 v3, 25, v1
	v_cndmask_b32_e64 v9, 0, 1, vcc_lo
	v_cmp_gt_u32_e32 vcc_lo, 0x271, v0
	v_and_b32_e32 v2, 0xffff, v8
	s_sub_u32 s16, s18, s14
	s_subb_u32 s17, s19, 0
	s_mul_hi_u32 s9, s16, 0x9c4
	v_cndmask_b32_e32 v1, v3, v1, vcc_lo
	s_mul_i32 s11, s17, 0x9c4
	v_lshlrev_b32_e32 v7, 2, v0
	s_add_i32 s9, s9, s11
	s_delay_alu instid0(VALU_DEP_2) | instskip(SKIP_1) | instid1(VALU_DEP_1)
	v_cndmask_b32_e64 v1, v2, v1, s2
	v_add_co_u32 v2, s2, s18, v9
	v_add_co_ci_u32_e64 v3, null, s19, 0, s2
	s_mul_i32 s2, s16, 0x9c4
	s_delay_alu instid0(VALU_DEP_2) | instskip(NEXT) | instid1(VALU_DEP_2)
	v_sub_co_u32 v2, vcc_lo, v2, s14
	v_subrev_co_ci_u32_e32 v3, vcc_lo, 0, v3, vcc_lo
	s_waitcnt lgkmcnt(0)
	s_add_u32 s2, s22, s2
	s_addc_u32 s9, s23, s9
	s_delay_alu instid0(VALU_DEP_1) | instskip(SKIP_1) | instid1(VALU_DEP_1)
	v_lshlrev_b64 v[4:5], 2, v[2:3]
	v_add_co_u32 v2, s2, s2, v7
	v_add_co_ci_u32_e64 v3, null, s9, 0, s2
	v_mov_b32_e32 v7, 0
	s_delay_alu instid0(VALU_DEP_4)
	v_add_co_u32 v4, vcc_lo, s20, v4
	v_add_co_ci_u32_e32 v5, vcc_lo, s21, v5, vcc_lo
	s_set_inst_prefetch_distance 0x1
	s_branch .LBB72_10
	.p2align	6
.LBB72_9:                               ;   in Loop: Header=BB72_10 Depth=1
	s_or_b32 exec_lo, exec_lo, s2
	s_add_u32 s16, s16, 1
	s_addc_u32 s17, s17, 0
	v_add_co_u32 v4, vcc_lo, v4, 4
	v_cmp_lt_i64_e64 s2, s[16:17], s[6:7]
	v_add_co_ci_u32_e32 v5, vcc_lo, 0, v5, vcc_lo
	s_delay_alu instid0(VALU_DEP_2)
	s_and_b32 vcc_lo, exec_lo, s2
	s_cbranch_vccz .LBB72_12
.LBB72_10:                              ; =>This Inner Loop Header: Depth=1
	v_add_co_u32 v10, s2, v9, s16
	s_delay_alu instid0(VALU_DEP_1) | instskip(SKIP_1) | instid1(VALU_DEP_1)
	v_add_co_ci_u32_e64 v11, null, 0, s17, s2
	s_mov_b32 s2, exec_lo
	v_cmpx_gt_i64_e64 s[6:7], v[10:11]
	s_cbranch_execz .LBB72_9
; %bb.11:                               ;   in Loop: Header=BB72_10 Depth=1
	global_load_b32 v10, v[4:5], off
	s_waitcnt vmcnt(0)
	v_subrev_nc_u32_e32 v12, s14, v10
	s_delay_alu instid0(VALU_DEP_1) | instskip(NEXT) | instid1(VALU_DEP_1)
	v_mad_u64_u32 v[10:11], null, v12, 25, v[1:2]
	v_ashrrev_i32_e32 v11, 31, v10
	s_delay_alu instid0(VALU_DEP_1) | instskip(NEXT) | instid1(VALU_DEP_1)
	v_lshlrev_b64 v[10:11], 2, v[10:11]
	v_add_co_u32 v10, vcc_lo, s0, v10
	s_delay_alu instid0(VALU_DEP_2)
	v_add_co_ci_u32_e32 v11, vcc_lo, s1, v11, vcc_lo
	global_load_b32 v12, v[2:3], off
	global_load_b32 v10, v[10:11], off
	v_add_co_u32 v2, vcc_lo, 0x9c4, v2
	v_add_co_ci_u32_e32 v3, vcc_lo, 0, v3, vcc_lo
	s_waitcnt vmcnt(0)
	v_fmac_f32_e32 v7, v12, v10
	s_branch .LBB72_9
.LBB72_12:
	s_set_inst_prefetch_distance 0x2
	s_and_b32 vcc_lo, exec_lo, s3
	ds_store_b32 v6, v7
	s_waitcnt lgkmcnt(0)
	s_barrier
	buffer_gl0_inv
	s_cbranch_vccz .LBB72_24
; %bb.13:
	s_mov_b32 s0, exec_lo
	v_cmpx_gt_u16_e32 9, v8
	s_cbranch_execz .LBB72_15
; %bb.14:
	ds_load_2addr_b32 v[1:2], v6 offset1:16
	s_waitcnt lgkmcnt(0)
	v_add_f32_e32 v1, v2, v1
	ds_store_b32 v6, v1
.LBB72_15:
	s_or_b32 exec_lo, exec_lo, s0
	s_delay_alu instid0(SALU_CYCLE_1)
	s_mov_b32 s0, exec_lo
	s_waitcnt lgkmcnt(0)
	s_barrier
	buffer_gl0_inv
	v_cmpx_gt_u16_e32 8, v8
	s_cbranch_execz .LBB72_17
; %bb.16:
	ds_load_2addr_b32 v[1:2], v6 offset1:8
	s_waitcnt lgkmcnt(0)
	v_add_f32_e32 v1, v2, v1
	ds_store_b32 v6, v1
.LBB72_17:
	s_or_b32 exec_lo, exec_lo, s0
	s_delay_alu instid0(SALU_CYCLE_1)
	s_mov_b32 s0, exec_lo
	s_waitcnt lgkmcnt(0)
	s_barrier
	buffer_gl0_inv
	;; [unrolled: 14-line block ×3, first 2 shown]
	v_cmpx_gt_u16_e32 2, v8
	s_cbranch_execz .LBB72_21
; %bb.20:
	ds_load_2addr_b32 v[1:2], v6 offset1:2
	s_waitcnt lgkmcnt(0)
	v_add_f32_e32 v1, v2, v1
	ds_store_b32 v6, v1
.LBB72_21:
	s_or_b32 exec_lo, exec_lo, s0
	s_mov_b32 s1, 0
	s_mov_b32 s0, 0
	s_mov_b32 s2, exec_lo
	s_waitcnt lgkmcnt(0)
	s_barrier
	buffer_gl0_inv
                                        ; implicit-def: $vgpr1
                                        ; implicit-def: $vgpr2
	v_cmpx_gt_u32_e32 25, v0
	s_xor_b32 s2, exec_lo, s2
; %bb.22:
	v_mad_u32_u24 v1, v0, 25, 1
	v_mad_u32_u24 v2, 0x60, v0, v6
	s_mov_b32 s0, exec_lo
; %bb.23:
	s_or_b32 exec_lo, exec_lo, s2
	s_delay_alu instid0(SALU_CYCLE_1)
	s_and_b32 vcc_lo, exec_lo, s1
	s_cbranch_vccnz .LBB72_25
	s_branch .LBB72_36
.LBB72_24:
	s_mov_b32 s0, 0
                                        ; implicit-def: $vgpr1
                                        ; implicit-def: $vgpr2
	s_cbranch_execz .LBB72_36
.LBB72_25:
	s_mov_b32 s1, exec_lo
	v_cmpx_gt_u32_e32 0xe1, v0
	s_cbranch_execz .LBB72_27
; %bb.26:
	ds_load_b32 v1, v6 offset:1600
	ds_load_b32 v2, v6
	s_waitcnt lgkmcnt(0)
	v_add_f32_e32 v1, v1, v2
	ds_store_b32 v6, v1
.LBB72_27:
	s_or_b32 exec_lo, exec_lo, s1
	s_delay_alu instid0(SALU_CYCLE_1)
	s_mov_b32 s1, exec_lo
	s_waitcnt lgkmcnt(0)
	s_barrier
	buffer_gl0_inv
	v_cmpx_gt_u32_e32 0xc8, v0
	s_cbranch_execz .LBB72_29
; %bb.28:
	ds_load_2addr_b32 v[1:2], v6 offset1:200
	s_waitcnt lgkmcnt(0)
	v_add_f32_e32 v1, v2, v1
	ds_store_b32 v6, v1
.LBB72_29:
	s_or_b32 exec_lo, exec_lo, s1
	s_delay_alu instid0(SALU_CYCLE_1)
	s_mov_b32 s1, exec_lo
	s_waitcnt lgkmcnt(0)
	s_barrier
	buffer_gl0_inv
	v_cmpx_gt_u32_e32 0x64, v0
	s_cbranch_execz .LBB72_31
; %bb.30:
	ds_load_2addr_b32 v[1:2], v6 offset1:100
	s_waitcnt lgkmcnt(0)
	v_add_f32_e32 v1, v2, v1
	ds_store_b32 v6, v1
.LBB72_31:
	;; [unrolled: 14-line block ×3, first 2 shown]
	s_or_b32 exec_lo, exec_lo, s1
	s_delay_alu instid0(SALU_CYCLE_1)
	s_mov_b32 s1, exec_lo
	s_waitcnt lgkmcnt(0)
	buffer_gl0_inv
                                        ; implicit-def: $vgpr1
	v_cmpx_gt_u32_e32 25, v0
; %bb.34:
	v_add_nc_u32_e32 v1, 25, v0
	s_or_b32 s0, s0, exec_lo
                                        ; implicit-def: $vgpr7
; %bb.35:
	s_or_b32 exec_lo, exec_lo, s1
	v_mov_b32_e32 v2, v6
.LBB72_36:
	s_and_saveexec_b32 s1, s0
	s_cbranch_execz .LBB72_38
; %bb.37:
	v_lshlrev_b32_e32 v1, 2, v1
	ds_load_b32 v2, v2
	ds_load_b32 v1, v1
	s_waitcnt lgkmcnt(0)
	v_add_f32_e32 v7, v2, v1
.LBB72_38:
	s_or_b32 exec_lo, exec_lo, s1
	s_delay_alu instid0(SALU_CYCLE_1)
	s_mov_b32 s0, exec_lo
	v_cmpx_gt_u32_e32 25, v0
	s_cbranch_execz .LBB72_42
; %bb.39:
	v_cmp_eq_f32_e64 s0, s8, 0
	v_mul_f32_e32 v1, s12, v7
	s_delay_alu instid0(VALU_DEP_2)
	s_and_b32 vcc_lo, exec_lo, s0
	s_mov_b32 s0, 0
	s_cbranch_vccz .LBB72_43
; %bb.40:
	s_delay_alu instid0(VALU_DEP_1) | instskip(SKIP_1) | instid1(VALU_DEP_1)
	v_mad_u64_u32 v[2:3], null, s10, 25, v[0:1]
	v_mov_b32_e32 v3, 0
	v_lshlrev_b64 v[2:3], 2, v[2:3]
	s_delay_alu instid0(VALU_DEP_1) | instskip(NEXT) | instid1(VALU_DEP_2)
	v_add_co_u32 v2, vcc_lo, s4, v2
	v_add_co_ci_u32_e32 v3, vcc_lo, s5, v3, vcc_lo
	global_store_b32 v[2:3], v1, off
	s_and_not1_b32 vcc_lo, exec_lo, s0
	s_cbranch_vccnz .LBB72_42
.LBB72_41:
	v_mad_u64_u32 v[2:3], null, s10, 25, v[0:1]
	v_mov_b32_e32 v3, 0
	s_delay_alu instid0(VALU_DEP_1) | instskip(NEXT) | instid1(VALU_DEP_1)
	v_lshlrev_b64 v[2:3], 2, v[2:3]
	v_add_co_u32 v2, vcc_lo, s4, v2
	s_delay_alu instid0(VALU_DEP_2)
	v_add_co_ci_u32_e32 v3, vcc_lo, s5, v3, vcc_lo
	global_load_b32 v0, v[2:3], off
	s_waitcnt vmcnt(0)
	v_fmac_f32_e32 v1, s8, v0
	global_store_b32 v[2:3], v1, off
.LBB72_42:
	s_nop 0
	s_sendmsg sendmsg(MSG_DEALLOC_VGPRS)
	s_endpgm
.LBB72_43:
	s_branch .LBB72_41
	.section	.rodata,"a",@progbits
	.p2align	6, 0x0
	.amdhsa_kernel _ZN9rocsparseL20bsrxmvn_17_32_kernelILj25EflifffEEvT2_20rocsparse_direction_NS_24const_host_device_scalarIT0_EES1_PKS1_PKT1_SA_S7_PKT3_PKT4_S5_PT5_21rocsparse_index_base_b
		.amdhsa_group_segment_fixed_size 2500
		.amdhsa_private_segment_fixed_size 0
		.amdhsa_kernarg_size 96
		.amdhsa_user_sgpr_count 15
		.amdhsa_user_sgpr_dispatch_ptr 0
		.amdhsa_user_sgpr_queue_ptr 0
		.amdhsa_user_sgpr_kernarg_segment_ptr 1
		.amdhsa_user_sgpr_dispatch_id 0
		.amdhsa_user_sgpr_private_segment_size 0
		.amdhsa_wavefront_size32 1
		.amdhsa_uses_dynamic_stack 0
		.amdhsa_enable_private_segment 0
		.amdhsa_system_sgpr_workgroup_id_x 1
		.amdhsa_system_sgpr_workgroup_id_y 0
		.amdhsa_system_sgpr_workgroup_id_z 0
		.amdhsa_system_sgpr_workgroup_info 0
		.amdhsa_system_vgpr_workitem_id 0
		.amdhsa_next_free_vgpr 13
		.amdhsa_next_free_sgpr 24
		.amdhsa_reserve_vcc 1
		.amdhsa_float_round_mode_32 0
		.amdhsa_float_round_mode_16_64 0
		.amdhsa_float_denorm_mode_32 3
		.amdhsa_float_denorm_mode_16_64 3
		.amdhsa_dx10_clamp 1
		.amdhsa_ieee_mode 1
		.amdhsa_fp16_overflow 0
		.amdhsa_workgroup_processor_mode 1
		.amdhsa_memory_ordered 1
		.amdhsa_forward_progress 0
		.amdhsa_shared_vgpr_count 0
		.amdhsa_exception_fp_ieee_invalid_op 0
		.amdhsa_exception_fp_denorm_src 0
		.amdhsa_exception_fp_ieee_div_zero 0
		.amdhsa_exception_fp_ieee_overflow 0
		.amdhsa_exception_fp_ieee_underflow 0
		.amdhsa_exception_fp_ieee_inexact 0
		.amdhsa_exception_int_div_zero 0
	.end_amdhsa_kernel
	.section	.text._ZN9rocsparseL20bsrxmvn_17_32_kernelILj25EflifffEEvT2_20rocsparse_direction_NS_24const_host_device_scalarIT0_EES1_PKS1_PKT1_SA_S7_PKT3_PKT4_S5_PT5_21rocsparse_index_base_b,"axG",@progbits,_ZN9rocsparseL20bsrxmvn_17_32_kernelILj25EflifffEEvT2_20rocsparse_direction_NS_24const_host_device_scalarIT0_EES1_PKS1_PKT1_SA_S7_PKT3_PKT4_S5_PT5_21rocsparse_index_base_b,comdat
.Lfunc_end72:
	.size	_ZN9rocsparseL20bsrxmvn_17_32_kernelILj25EflifffEEvT2_20rocsparse_direction_NS_24const_host_device_scalarIT0_EES1_PKS1_PKT1_SA_S7_PKT3_PKT4_S5_PT5_21rocsparse_index_base_b, .Lfunc_end72-_ZN9rocsparseL20bsrxmvn_17_32_kernelILj25EflifffEEvT2_20rocsparse_direction_NS_24const_host_device_scalarIT0_EES1_PKS1_PKT1_SA_S7_PKT3_PKT4_S5_PT5_21rocsparse_index_base_b
                                        ; -- End function
	.section	.AMDGPU.csdata,"",@progbits
; Kernel info:
; codeLenInByte = 1612
; NumSgprs: 26
; NumVgprs: 13
; ScratchSize: 0
; MemoryBound: 0
; FloatMode: 240
; IeeeMode: 1
; LDSByteSize: 2500 bytes/workgroup (compile time only)
; SGPRBlocks: 3
; VGPRBlocks: 1
; NumSGPRsForWavesPerEU: 26
; NumVGPRsForWavesPerEU: 13
; Occupancy: 15
; WaveLimiterHint : 1
; COMPUTE_PGM_RSRC2:SCRATCH_EN: 0
; COMPUTE_PGM_RSRC2:USER_SGPR: 15
; COMPUTE_PGM_RSRC2:TRAP_HANDLER: 0
; COMPUTE_PGM_RSRC2:TGID_X_EN: 1
; COMPUTE_PGM_RSRC2:TGID_Y_EN: 0
; COMPUTE_PGM_RSRC2:TGID_Z_EN: 0
; COMPUTE_PGM_RSRC2:TIDIG_COMP_CNT: 0
	.section	.text._ZN9rocsparseL20bsrxmvn_17_32_kernelILj26EflifffEEvT2_20rocsparse_direction_NS_24const_host_device_scalarIT0_EES1_PKS1_PKT1_SA_S7_PKT3_PKT4_S5_PT5_21rocsparse_index_base_b,"axG",@progbits,_ZN9rocsparseL20bsrxmvn_17_32_kernelILj26EflifffEEvT2_20rocsparse_direction_NS_24const_host_device_scalarIT0_EES1_PKS1_PKT1_SA_S7_PKT3_PKT4_S5_PT5_21rocsparse_index_base_b,comdat
	.globl	_ZN9rocsparseL20bsrxmvn_17_32_kernelILj26EflifffEEvT2_20rocsparse_direction_NS_24const_host_device_scalarIT0_EES1_PKS1_PKT1_SA_S7_PKT3_PKT4_S5_PT5_21rocsparse_index_base_b ; -- Begin function _ZN9rocsparseL20bsrxmvn_17_32_kernelILj26EflifffEEvT2_20rocsparse_direction_NS_24const_host_device_scalarIT0_EES1_PKS1_PKT1_SA_S7_PKT3_PKT4_S5_PT5_21rocsparse_index_base_b
	.p2align	8
	.type	_ZN9rocsparseL20bsrxmvn_17_32_kernelILj26EflifffEEvT2_20rocsparse_direction_NS_24const_host_device_scalarIT0_EES1_PKS1_PKT1_SA_S7_PKT3_PKT4_S5_PT5_21rocsparse_index_base_b,@function
_ZN9rocsparseL20bsrxmvn_17_32_kernelILj26EflifffEEvT2_20rocsparse_direction_NS_24const_host_device_scalarIT0_EES1_PKS1_PKT1_SA_S7_PKT3_PKT4_S5_PT5_21rocsparse_index_base_b: ; @_ZN9rocsparseL20bsrxmvn_17_32_kernelILj26EflifffEEvT2_20rocsparse_direction_NS_24const_host_device_scalarIT0_EES1_PKS1_PKT1_SA_S7_PKT3_PKT4_S5_PT5_21rocsparse_index_base_b
; %bb.0:
	s_mov_b32 s10, s15
	s_clause 0x2
	s_load_b64 s[14:15], s[0:1], 0x58
	s_load_b64 s[12:13], s[0:1], 0x8
	;; [unrolled: 1-line block ×3, first 2 shown]
	s_waitcnt lgkmcnt(0)
	s_bitcmp1_b32 s15, 0
	s_cselect_b32 s2, -1, 0
	s_delay_alu instid0(SALU_CYCLE_1)
	s_and_b32 vcc_lo, exec_lo, s2
	s_xor_b32 s2, s2, -1
	s_cbranch_vccnz .LBB73_2
; %bb.1:
	s_load_b32 s12, s[12:13], 0x0
.LBB73_2:
	s_and_not1_b32 vcc_lo, exec_lo, s2
	s_cbranch_vccnz .LBB73_4
; %bb.3:
	s_load_b32 s8, s[8:9], 0x0
.LBB73_4:
	s_waitcnt lgkmcnt(0)
	v_cmp_neq_f32_e64 s2, s12, 0
	v_cmp_neq_f32_e64 s3, s8, 1.0
	s_delay_alu instid0(VALU_DEP_1) | instskip(NEXT) | instid1(SALU_CYCLE_1)
	s_or_b32 s2, s2, s3
	s_and_not1_b32 vcc_lo, exec_lo, s2
	s_cbranch_vccnz .LBB73_42
; %bb.5:
	s_clause 0x1
	s_load_b128 s[4:7], s[0:1], 0x18
	s_load_b64 s[16:17], s[0:1], 0x28
	s_waitcnt lgkmcnt(0)
	s_cmp_eq_u64 s[4:5], 0
	s_cbranch_scc1 .LBB73_7
; %bb.6:
	s_ashr_i32 s11, s10, 31
	s_delay_alu instid0(SALU_CYCLE_1) | instskip(NEXT) | instid1(SALU_CYCLE_1)
	s_lshl_b64 s[2:3], s[10:11], 2
	s_add_u32 s2, s4, s2
	s_addc_u32 s3, s5, s3
	s_load_b32 s2, s[2:3], 0x0
	s_waitcnt lgkmcnt(0)
	s_sub_i32 s10, s2, s14
.LBB73_7:
	s_load_b32 s3, s[0:1], 0x4
	v_mul_u32_u24_e32 v1, 0x9d9, v0
	v_dual_mov_b32 v7, 0 :: v_dual_lshlrev_b32 v6, 2, v0
	s_delay_alu instid0(VALU_DEP_2) | instskip(NEXT) | instid1(VALU_DEP_1)
	v_lshrrev_b32_e32 v1, 16, v1
	v_mul_lo_u16 v2, v1, 26
	s_delay_alu instid0(VALU_DEP_1)
	v_sub_nc_u16 v8, v0, v2
	s_waitcnt lgkmcnt(0)
	s_cmp_eq_u32 s3, 1
	s_cselect_b32 s2, -1, 0
	s_cmp_lg_u32 s3, 1
	s_cselect_b32 s3, -1, 0
	s_ashr_i32 s11, s10, 31
	s_delay_alu instid0(SALU_CYCLE_1) | instskip(NEXT) | instid1(SALU_CYCLE_1)
	s_lshl_b64 s[4:5], s[10:11], 3
	s_add_u32 s6, s6, s4
	s_addc_u32 s7, s7, s5
	s_add_u32 s9, s6, 8
	s_addc_u32 s11, s7, 0
	;; [unrolled: 2-line block ×3, first 2 shown]
	s_cmp_eq_u64 s[16:17], 0
	s_cselect_b32 s5, s11, s5
	s_cselect_b32 s4, s9, s4
	s_load_b64 s[18:19], s[6:7], 0x0
	s_load_b64 s[6:7], s[4:5], 0x0
	;; [unrolled: 1-line block ×3, first 2 shown]
	s_waitcnt lgkmcnt(0)
	v_cmp_ge_i64_e64 s9, s[18:19], s[6:7]
	s_delay_alu instid0(VALU_DEP_1)
	s_and_b32 vcc_lo, exec_lo, s9
	s_cbranch_vccnz .LBB73_12
; %bb.8:
	v_and_b32_e32 v1, 0xffff, v1
	v_cmp_lt_u32_e32 vcc_lo, 0x2a3, v0
	s_clause 0x1
	s_load_b128 s[20:23], s[0:1], 0x30
	s_load_b64 s[0:1], s[0:1], 0x40
	s_sub_u32 s6, s6, s14
	s_subb_u32 s7, s7, 0
	v_subrev_nc_u32_e32 v3, 26, v1
	v_cndmask_b32_e64 v9, 0, 1, vcc_lo
	v_cmp_gt_u32_e32 vcc_lo, 0x2a4, v0
	v_and_b32_e32 v2, 0xffff, v8
	s_sub_u32 s16, s18, s14
	s_subb_u32 s17, s19, 0
	s_mul_hi_u32 s9, s16, 0xa90
	v_cndmask_b32_e32 v1, v3, v1, vcc_lo
	s_mul_i32 s11, s17, 0xa90
	v_lshlrev_b32_e32 v7, 2, v0
	s_add_i32 s9, s9, s11
	s_delay_alu instid0(VALU_DEP_2) | instskip(SKIP_1) | instid1(VALU_DEP_1)
	v_cndmask_b32_e64 v1, v2, v1, s2
	v_add_co_u32 v2, s2, s18, v9
	v_add_co_ci_u32_e64 v3, null, s19, 0, s2
	s_mul_i32 s2, s16, 0xa90
	s_delay_alu instid0(VALU_DEP_2) | instskip(NEXT) | instid1(VALU_DEP_2)
	v_sub_co_u32 v2, vcc_lo, v2, s14
	v_subrev_co_ci_u32_e32 v3, vcc_lo, 0, v3, vcc_lo
	s_waitcnt lgkmcnt(0)
	s_add_u32 s2, s22, s2
	s_addc_u32 s9, s23, s9
	s_delay_alu instid0(VALU_DEP_1) | instskip(SKIP_1) | instid1(VALU_DEP_1)
	v_lshlrev_b64 v[4:5], 2, v[2:3]
	v_add_co_u32 v2, s2, s2, v7
	v_add_co_ci_u32_e64 v3, null, s9, 0, s2
	v_mov_b32_e32 v7, 0
	s_delay_alu instid0(VALU_DEP_4)
	v_add_co_u32 v4, vcc_lo, s20, v4
	v_add_co_ci_u32_e32 v5, vcc_lo, s21, v5, vcc_lo
	s_set_inst_prefetch_distance 0x1
	s_branch .LBB73_10
	.p2align	6
.LBB73_9:                               ;   in Loop: Header=BB73_10 Depth=1
	s_or_b32 exec_lo, exec_lo, s2
	s_add_u32 s16, s16, 1
	s_addc_u32 s17, s17, 0
	v_add_co_u32 v4, vcc_lo, v4, 4
	v_cmp_lt_i64_e64 s2, s[16:17], s[6:7]
	v_add_co_ci_u32_e32 v5, vcc_lo, 0, v5, vcc_lo
	s_delay_alu instid0(VALU_DEP_2)
	s_and_b32 vcc_lo, exec_lo, s2
	s_cbranch_vccz .LBB73_12
.LBB73_10:                              ; =>This Inner Loop Header: Depth=1
	v_add_co_u32 v10, s2, v9, s16
	s_delay_alu instid0(VALU_DEP_1) | instskip(SKIP_1) | instid1(VALU_DEP_1)
	v_add_co_ci_u32_e64 v11, null, 0, s17, s2
	s_mov_b32 s2, exec_lo
	v_cmpx_gt_i64_e64 s[6:7], v[10:11]
	s_cbranch_execz .LBB73_9
; %bb.11:                               ;   in Loop: Header=BB73_10 Depth=1
	global_load_b32 v10, v[4:5], off
	s_waitcnt vmcnt(0)
	v_subrev_nc_u32_e32 v12, s14, v10
	s_delay_alu instid0(VALU_DEP_1) | instskip(NEXT) | instid1(VALU_DEP_1)
	v_mad_u64_u32 v[10:11], null, v12, 26, v[1:2]
	v_ashrrev_i32_e32 v11, 31, v10
	s_delay_alu instid0(VALU_DEP_1) | instskip(NEXT) | instid1(VALU_DEP_1)
	v_lshlrev_b64 v[10:11], 2, v[10:11]
	v_add_co_u32 v10, vcc_lo, s0, v10
	s_delay_alu instid0(VALU_DEP_2)
	v_add_co_ci_u32_e32 v11, vcc_lo, s1, v11, vcc_lo
	global_load_b32 v12, v[2:3], off
	global_load_b32 v10, v[10:11], off
	v_add_co_u32 v2, vcc_lo, 0xa90, v2
	v_add_co_ci_u32_e32 v3, vcc_lo, 0, v3, vcc_lo
	s_waitcnt vmcnt(0)
	v_fmac_f32_e32 v7, v12, v10
	s_branch .LBB73_9
.LBB73_12:
	s_set_inst_prefetch_distance 0x2
	s_and_b32 vcc_lo, exec_lo, s3
	ds_store_b32 v6, v7
	s_waitcnt lgkmcnt(0)
	s_barrier
	buffer_gl0_inv
	s_cbranch_vccz .LBB73_24
; %bb.13:
	s_mov_b32 s0, exec_lo
	v_cmpx_gt_u16_e32 10, v8
	s_cbranch_execz .LBB73_15
; %bb.14:
	ds_load_2addr_b32 v[1:2], v6 offset1:16
	s_waitcnt lgkmcnt(0)
	v_add_f32_e32 v1, v2, v1
	ds_store_b32 v6, v1
.LBB73_15:
	s_or_b32 exec_lo, exec_lo, s0
	s_delay_alu instid0(SALU_CYCLE_1)
	s_mov_b32 s0, exec_lo
	s_waitcnt lgkmcnt(0)
	s_barrier
	buffer_gl0_inv
	v_cmpx_gt_u16_e32 8, v8
	s_cbranch_execz .LBB73_17
; %bb.16:
	ds_load_2addr_b32 v[1:2], v6 offset1:8
	s_waitcnt lgkmcnt(0)
	v_add_f32_e32 v1, v2, v1
	ds_store_b32 v6, v1
.LBB73_17:
	s_or_b32 exec_lo, exec_lo, s0
	s_delay_alu instid0(SALU_CYCLE_1)
	s_mov_b32 s0, exec_lo
	s_waitcnt lgkmcnt(0)
	s_barrier
	buffer_gl0_inv
	;; [unrolled: 14-line block ×3, first 2 shown]
	v_cmpx_gt_u16_e32 2, v8
	s_cbranch_execz .LBB73_21
; %bb.20:
	ds_load_2addr_b32 v[1:2], v6 offset1:2
	s_waitcnt lgkmcnt(0)
	v_add_f32_e32 v1, v2, v1
	ds_store_b32 v6, v1
.LBB73_21:
	s_or_b32 exec_lo, exec_lo, s0
	s_mov_b32 s1, 0
	s_mov_b32 s0, 0
	s_mov_b32 s2, exec_lo
	s_waitcnt lgkmcnt(0)
	s_barrier
	buffer_gl0_inv
                                        ; implicit-def: $vgpr1
                                        ; implicit-def: $vgpr2
	v_cmpx_gt_u32_e32 26, v0
	s_xor_b32 s2, exec_lo, s2
; %bb.22:
	v_mul_u32_u24_e32 v1, 26, v0
	v_mad_u32_u24 v2, 0x64, v0, v6
	s_mov_b32 s0, exec_lo
	s_delay_alu instid0(VALU_DEP_2)
	v_or_b32_e32 v1, 1, v1
; %bb.23:
	s_or_b32 exec_lo, exec_lo, s2
	s_delay_alu instid0(SALU_CYCLE_1)
	s_and_b32 vcc_lo, exec_lo, s1
	s_cbranch_vccnz .LBB73_25
	s_branch .LBB73_36
.LBB73_24:
	s_mov_b32 s0, 0
                                        ; implicit-def: $vgpr1
                                        ; implicit-def: $vgpr2
	s_cbranch_execz .LBB73_36
.LBB73_25:
	s_mov_b32 s1, exec_lo
	v_cmpx_gt_u32_e32 0x104, v0
	s_cbranch_execz .LBB73_27
; %bb.26:
	ds_load_b32 v1, v6 offset:1664
	ds_load_b32 v2, v6
	s_waitcnt lgkmcnt(0)
	v_add_f32_e32 v1, v1, v2
	ds_store_b32 v6, v1
.LBB73_27:
	s_or_b32 exec_lo, exec_lo, s1
	s_delay_alu instid0(SALU_CYCLE_1)
	s_mov_b32 s1, exec_lo
	s_waitcnt lgkmcnt(0)
	s_barrier
	buffer_gl0_inv
	v_cmpx_gt_u32_e32 0xd0, v0
	s_cbranch_execz .LBB73_29
; %bb.28:
	ds_load_2addr_b32 v[1:2], v6 offset1:208
	s_waitcnt lgkmcnt(0)
	v_add_f32_e32 v1, v2, v1
	ds_store_b32 v6, v1
.LBB73_29:
	s_or_b32 exec_lo, exec_lo, s1
	s_delay_alu instid0(SALU_CYCLE_1)
	s_mov_b32 s1, exec_lo
	s_waitcnt lgkmcnt(0)
	s_barrier
	buffer_gl0_inv
	v_cmpx_gt_u32_e32 0x68, v0
	s_cbranch_execz .LBB73_31
; %bb.30:
	ds_load_2addr_b32 v[1:2], v6 offset1:104
	s_waitcnt lgkmcnt(0)
	v_add_f32_e32 v1, v2, v1
	ds_store_b32 v6, v1
.LBB73_31:
	;; [unrolled: 14-line block ×3, first 2 shown]
	s_or_b32 exec_lo, exec_lo, s1
	s_delay_alu instid0(SALU_CYCLE_1)
	s_mov_b32 s1, exec_lo
	s_waitcnt lgkmcnt(0)
	buffer_gl0_inv
                                        ; implicit-def: $vgpr1
	v_cmpx_gt_u32_e32 26, v0
; %bb.34:
	v_add_nc_u32_e32 v1, 26, v0
	s_or_b32 s0, s0, exec_lo
                                        ; implicit-def: $vgpr7
; %bb.35:
	s_or_b32 exec_lo, exec_lo, s1
	v_mov_b32_e32 v2, v6
.LBB73_36:
	s_and_saveexec_b32 s1, s0
	s_cbranch_execz .LBB73_38
; %bb.37:
	v_lshlrev_b32_e32 v1, 2, v1
	ds_load_b32 v2, v2
	ds_load_b32 v1, v1
	s_waitcnt lgkmcnt(0)
	v_add_f32_e32 v7, v2, v1
.LBB73_38:
	s_or_b32 exec_lo, exec_lo, s1
	s_delay_alu instid0(SALU_CYCLE_1)
	s_mov_b32 s0, exec_lo
	v_cmpx_gt_u32_e32 26, v0
	s_cbranch_execz .LBB73_42
; %bb.39:
	v_cmp_eq_f32_e64 s0, s8, 0
	v_mul_f32_e32 v1, s12, v7
	s_delay_alu instid0(VALU_DEP_2)
	s_and_b32 vcc_lo, exec_lo, s0
	s_mov_b32 s0, 0
	s_cbranch_vccz .LBB73_43
; %bb.40:
	s_delay_alu instid0(VALU_DEP_1) | instskip(SKIP_1) | instid1(VALU_DEP_1)
	v_mad_u64_u32 v[2:3], null, s10, 26, v[0:1]
	v_mov_b32_e32 v3, 0
	v_lshlrev_b64 v[2:3], 2, v[2:3]
	s_delay_alu instid0(VALU_DEP_1) | instskip(NEXT) | instid1(VALU_DEP_2)
	v_add_co_u32 v2, vcc_lo, s4, v2
	v_add_co_ci_u32_e32 v3, vcc_lo, s5, v3, vcc_lo
	global_store_b32 v[2:3], v1, off
	s_and_not1_b32 vcc_lo, exec_lo, s0
	s_cbranch_vccnz .LBB73_42
.LBB73_41:
	v_mad_u64_u32 v[2:3], null, s10, 26, v[0:1]
	v_mov_b32_e32 v3, 0
	s_delay_alu instid0(VALU_DEP_1) | instskip(NEXT) | instid1(VALU_DEP_1)
	v_lshlrev_b64 v[2:3], 2, v[2:3]
	v_add_co_u32 v2, vcc_lo, s4, v2
	s_delay_alu instid0(VALU_DEP_2)
	v_add_co_ci_u32_e32 v3, vcc_lo, s5, v3, vcc_lo
	global_load_b32 v0, v[2:3], off
	s_waitcnt vmcnt(0)
	v_fmac_f32_e32 v1, s8, v0
	global_store_b32 v[2:3], v1, off
.LBB73_42:
	s_nop 0
	s_sendmsg sendmsg(MSG_DEALLOC_VGPRS)
	s_endpgm
.LBB73_43:
	s_branch .LBB73_41
	.section	.rodata,"a",@progbits
	.p2align	6, 0x0
	.amdhsa_kernel _ZN9rocsparseL20bsrxmvn_17_32_kernelILj26EflifffEEvT2_20rocsparse_direction_NS_24const_host_device_scalarIT0_EES1_PKS1_PKT1_SA_S7_PKT3_PKT4_S5_PT5_21rocsparse_index_base_b
		.amdhsa_group_segment_fixed_size 2704
		.amdhsa_private_segment_fixed_size 0
		.amdhsa_kernarg_size 96
		.amdhsa_user_sgpr_count 15
		.amdhsa_user_sgpr_dispatch_ptr 0
		.amdhsa_user_sgpr_queue_ptr 0
		.amdhsa_user_sgpr_kernarg_segment_ptr 1
		.amdhsa_user_sgpr_dispatch_id 0
		.amdhsa_user_sgpr_private_segment_size 0
		.amdhsa_wavefront_size32 1
		.amdhsa_uses_dynamic_stack 0
		.amdhsa_enable_private_segment 0
		.amdhsa_system_sgpr_workgroup_id_x 1
		.amdhsa_system_sgpr_workgroup_id_y 0
		.amdhsa_system_sgpr_workgroup_id_z 0
		.amdhsa_system_sgpr_workgroup_info 0
		.amdhsa_system_vgpr_workitem_id 0
		.amdhsa_next_free_vgpr 13
		.amdhsa_next_free_sgpr 24
		.amdhsa_reserve_vcc 1
		.amdhsa_float_round_mode_32 0
		.amdhsa_float_round_mode_16_64 0
		.amdhsa_float_denorm_mode_32 3
		.amdhsa_float_denorm_mode_16_64 3
		.amdhsa_dx10_clamp 1
		.amdhsa_ieee_mode 1
		.amdhsa_fp16_overflow 0
		.amdhsa_workgroup_processor_mode 1
		.amdhsa_memory_ordered 1
		.amdhsa_forward_progress 0
		.amdhsa_shared_vgpr_count 0
		.amdhsa_exception_fp_ieee_invalid_op 0
		.amdhsa_exception_fp_denorm_src 0
		.amdhsa_exception_fp_ieee_div_zero 0
		.amdhsa_exception_fp_ieee_overflow 0
		.amdhsa_exception_fp_ieee_underflow 0
		.amdhsa_exception_fp_ieee_inexact 0
		.amdhsa_exception_int_div_zero 0
	.end_amdhsa_kernel
	.section	.text._ZN9rocsparseL20bsrxmvn_17_32_kernelILj26EflifffEEvT2_20rocsparse_direction_NS_24const_host_device_scalarIT0_EES1_PKS1_PKT1_SA_S7_PKT3_PKT4_S5_PT5_21rocsparse_index_base_b,"axG",@progbits,_ZN9rocsparseL20bsrxmvn_17_32_kernelILj26EflifffEEvT2_20rocsparse_direction_NS_24const_host_device_scalarIT0_EES1_PKS1_PKT1_SA_S7_PKT3_PKT4_S5_PT5_21rocsparse_index_base_b,comdat
.Lfunc_end73:
	.size	_ZN9rocsparseL20bsrxmvn_17_32_kernelILj26EflifffEEvT2_20rocsparse_direction_NS_24const_host_device_scalarIT0_EES1_PKS1_PKT1_SA_S7_PKT3_PKT4_S5_PT5_21rocsparse_index_base_b, .Lfunc_end73-_ZN9rocsparseL20bsrxmvn_17_32_kernelILj26EflifffEEvT2_20rocsparse_direction_NS_24const_host_device_scalarIT0_EES1_PKS1_PKT1_SA_S7_PKT3_PKT4_S5_PT5_21rocsparse_index_base_b
                                        ; -- End function
	.section	.AMDGPU.csdata,"",@progbits
; Kernel info:
; codeLenInByte = 1616
; NumSgprs: 26
; NumVgprs: 13
; ScratchSize: 0
; MemoryBound: 0
; FloatMode: 240
; IeeeMode: 1
; LDSByteSize: 2704 bytes/workgroup (compile time only)
; SGPRBlocks: 3
; VGPRBlocks: 1
; NumSGPRsForWavesPerEU: 26
; NumVGPRsForWavesPerEU: 13
; Occupancy: 11
; WaveLimiterHint : 1
; COMPUTE_PGM_RSRC2:SCRATCH_EN: 0
; COMPUTE_PGM_RSRC2:USER_SGPR: 15
; COMPUTE_PGM_RSRC2:TRAP_HANDLER: 0
; COMPUTE_PGM_RSRC2:TGID_X_EN: 1
; COMPUTE_PGM_RSRC2:TGID_Y_EN: 0
; COMPUTE_PGM_RSRC2:TGID_Z_EN: 0
; COMPUTE_PGM_RSRC2:TIDIG_COMP_CNT: 0
	.section	.text._ZN9rocsparseL20bsrxmvn_17_32_kernelILj27EflifffEEvT2_20rocsparse_direction_NS_24const_host_device_scalarIT0_EES1_PKS1_PKT1_SA_S7_PKT3_PKT4_S5_PT5_21rocsparse_index_base_b,"axG",@progbits,_ZN9rocsparseL20bsrxmvn_17_32_kernelILj27EflifffEEvT2_20rocsparse_direction_NS_24const_host_device_scalarIT0_EES1_PKS1_PKT1_SA_S7_PKT3_PKT4_S5_PT5_21rocsparse_index_base_b,comdat
	.globl	_ZN9rocsparseL20bsrxmvn_17_32_kernelILj27EflifffEEvT2_20rocsparse_direction_NS_24const_host_device_scalarIT0_EES1_PKS1_PKT1_SA_S7_PKT3_PKT4_S5_PT5_21rocsparse_index_base_b ; -- Begin function _ZN9rocsparseL20bsrxmvn_17_32_kernelILj27EflifffEEvT2_20rocsparse_direction_NS_24const_host_device_scalarIT0_EES1_PKS1_PKT1_SA_S7_PKT3_PKT4_S5_PT5_21rocsparse_index_base_b
	.p2align	8
	.type	_ZN9rocsparseL20bsrxmvn_17_32_kernelILj27EflifffEEvT2_20rocsparse_direction_NS_24const_host_device_scalarIT0_EES1_PKS1_PKT1_SA_S7_PKT3_PKT4_S5_PT5_21rocsparse_index_base_b,@function
_ZN9rocsparseL20bsrxmvn_17_32_kernelILj27EflifffEEvT2_20rocsparse_direction_NS_24const_host_device_scalarIT0_EES1_PKS1_PKT1_SA_S7_PKT3_PKT4_S5_PT5_21rocsparse_index_base_b: ; @_ZN9rocsparseL20bsrxmvn_17_32_kernelILj27EflifffEEvT2_20rocsparse_direction_NS_24const_host_device_scalarIT0_EES1_PKS1_PKT1_SA_S7_PKT3_PKT4_S5_PT5_21rocsparse_index_base_b
; %bb.0:
	s_mov_b32 s10, s15
	s_clause 0x2
	s_load_b64 s[14:15], s[0:1], 0x58
	s_load_b64 s[12:13], s[0:1], 0x8
	;; [unrolled: 1-line block ×3, first 2 shown]
	s_waitcnt lgkmcnt(0)
	s_bitcmp1_b32 s15, 0
	s_cselect_b32 s2, -1, 0
	s_delay_alu instid0(SALU_CYCLE_1)
	s_and_b32 vcc_lo, exec_lo, s2
	s_xor_b32 s2, s2, -1
	s_cbranch_vccnz .LBB74_2
; %bb.1:
	s_load_b32 s12, s[12:13], 0x0
.LBB74_2:
	s_and_not1_b32 vcc_lo, exec_lo, s2
	s_cbranch_vccnz .LBB74_4
; %bb.3:
	s_load_b32 s8, s[8:9], 0x0
.LBB74_4:
	s_waitcnt lgkmcnt(0)
	v_cmp_neq_f32_e64 s2, s12, 0
	v_cmp_neq_f32_e64 s3, s8, 1.0
	s_delay_alu instid0(VALU_DEP_1) | instskip(NEXT) | instid1(SALU_CYCLE_1)
	s_or_b32 s2, s2, s3
	s_and_not1_b32 vcc_lo, exec_lo, s2
	s_cbranch_vccnz .LBB74_42
; %bb.5:
	s_clause 0x1
	s_load_b128 s[4:7], s[0:1], 0x18
	s_load_b64 s[16:17], s[0:1], 0x28
	s_waitcnt lgkmcnt(0)
	s_cmp_eq_u64 s[4:5], 0
	s_cbranch_scc1 .LBB74_7
; %bb.6:
	s_ashr_i32 s11, s10, 31
	s_delay_alu instid0(SALU_CYCLE_1) | instskip(NEXT) | instid1(SALU_CYCLE_1)
	s_lshl_b64 s[2:3], s[10:11], 2
	s_add_u32 s2, s4, s2
	s_addc_u32 s3, s5, s3
	s_load_b32 s2, s[2:3], 0x0
	s_waitcnt lgkmcnt(0)
	s_sub_i32 s10, s2, s14
.LBB74_7:
	s_load_b32 s3, s[0:1], 0x4
	v_mul_u32_u24_e32 v1, 0x97c, v0
	v_dual_mov_b32 v7, 0 :: v_dual_lshlrev_b32 v6, 2, v0
	s_delay_alu instid0(VALU_DEP_2) | instskip(NEXT) | instid1(VALU_DEP_1)
	v_lshrrev_b32_e32 v1, 16, v1
	v_mul_lo_u16 v2, v1, 27
	s_delay_alu instid0(VALU_DEP_1)
	v_sub_nc_u16 v8, v0, v2
	s_waitcnt lgkmcnt(0)
	s_cmp_eq_u32 s3, 1
	s_cselect_b32 s2, -1, 0
	s_cmp_lg_u32 s3, 1
	s_cselect_b32 s3, -1, 0
	s_ashr_i32 s11, s10, 31
	s_delay_alu instid0(SALU_CYCLE_1) | instskip(NEXT) | instid1(SALU_CYCLE_1)
	s_lshl_b64 s[4:5], s[10:11], 3
	s_add_u32 s6, s6, s4
	s_addc_u32 s7, s7, s5
	s_add_u32 s9, s6, 8
	s_addc_u32 s11, s7, 0
	;; [unrolled: 2-line block ×3, first 2 shown]
	s_cmp_eq_u64 s[16:17], 0
	s_cselect_b32 s5, s11, s5
	s_cselect_b32 s4, s9, s4
	s_load_b64 s[18:19], s[6:7], 0x0
	s_load_b64 s[6:7], s[4:5], 0x0
	;; [unrolled: 1-line block ×3, first 2 shown]
	s_waitcnt lgkmcnt(0)
	v_cmp_ge_i64_e64 s9, s[18:19], s[6:7]
	s_delay_alu instid0(VALU_DEP_1)
	s_and_b32 vcc_lo, exec_lo, s9
	s_cbranch_vccnz .LBB74_12
; %bb.8:
	v_and_b32_e32 v1, 0xffff, v1
	v_cmp_lt_u32_e32 vcc_lo, 0x2d8, v0
	s_clause 0x1
	s_load_b128 s[20:23], s[0:1], 0x30
	s_load_b64 s[0:1], s[0:1], 0x40
	s_sub_u32 s6, s6, s14
	s_subb_u32 s7, s7, 0
	v_subrev_nc_u32_e32 v3, 27, v1
	v_cndmask_b32_e64 v9, 0, 1, vcc_lo
	v_cmp_gt_u32_e32 vcc_lo, 0x2d9, v0
	v_and_b32_e32 v2, 0xffff, v8
	s_sub_u32 s16, s18, s14
	s_subb_u32 s17, s19, 0
	s_mul_hi_u32 s9, s16, 0xb64
	v_cndmask_b32_e32 v1, v3, v1, vcc_lo
	s_mul_i32 s11, s17, 0xb64
	v_lshlrev_b32_e32 v7, 2, v0
	s_add_i32 s9, s9, s11
	s_delay_alu instid0(VALU_DEP_2) | instskip(SKIP_1) | instid1(VALU_DEP_1)
	v_cndmask_b32_e64 v1, v2, v1, s2
	v_add_co_u32 v2, s2, s18, v9
	v_add_co_ci_u32_e64 v3, null, s19, 0, s2
	s_mul_i32 s2, s16, 0xb64
	s_delay_alu instid0(VALU_DEP_2) | instskip(NEXT) | instid1(VALU_DEP_2)
	v_sub_co_u32 v2, vcc_lo, v2, s14
	v_subrev_co_ci_u32_e32 v3, vcc_lo, 0, v3, vcc_lo
	s_waitcnt lgkmcnt(0)
	s_add_u32 s2, s22, s2
	s_addc_u32 s9, s23, s9
	s_delay_alu instid0(VALU_DEP_1) | instskip(SKIP_1) | instid1(VALU_DEP_1)
	v_lshlrev_b64 v[4:5], 2, v[2:3]
	v_add_co_u32 v2, s2, s2, v7
	v_add_co_ci_u32_e64 v3, null, s9, 0, s2
	v_mov_b32_e32 v7, 0
	s_delay_alu instid0(VALU_DEP_4)
	v_add_co_u32 v4, vcc_lo, s20, v4
	v_add_co_ci_u32_e32 v5, vcc_lo, s21, v5, vcc_lo
	s_set_inst_prefetch_distance 0x1
	s_branch .LBB74_10
	.p2align	6
.LBB74_9:                               ;   in Loop: Header=BB74_10 Depth=1
	s_or_b32 exec_lo, exec_lo, s2
	s_add_u32 s16, s16, 1
	s_addc_u32 s17, s17, 0
	v_add_co_u32 v4, vcc_lo, v4, 4
	v_cmp_lt_i64_e64 s2, s[16:17], s[6:7]
	v_add_co_ci_u32_e32 v5, vcc_lo, 0, v5, vcc_lo
	s_delay_alu instid0(VALU_DEP_2)
	s_and_b32 vcc_lo, exec_lo, s2
	s_cbranch_vccz .LBB74_12
.LBB74_10:                              ; =>This Inner Loop Header: Depth=1
	v_add_co_u32 v10, s2, v9, s16
	s_delay_alu instid0(VALU_DEP_1) | instskip(SKIP_1) | instid1(VALU_DEP_1)
	v_add_co_ci_u32_e64 v11, null, 0, s17, s2
	s_mov_b32 s2, exec_lo
	v_cmpx_gt_i64_e64 s[6:7], v[10:11]
	s_cbranch_execz .LBB74_9
; %bb.11:                               ;   in Loop: Header=BB74_10 Depth=1
	global_load_b32 v10, v[4:5], off
	s_waitcnt vmcnt(0)
	v_subrev_nc_u32_e32 v12, s14, v10
	s_delay_alu instid0(VALU_DEP_1) | instskip(NEXT) | instid1(VALU_DEP_1)
	v_mad_u64_u32 v[10:11], null, v12, 27, v[1:2]
	v_ashrrev_i32_e32 v11, 31, v10
	s_delay_alu instid0(VALU_DEP_1) | instskip(NEXT) | instid1(VALU_DEP_1)
	v_lshlrev_b64 v[10:11], 2, v[10:11]
	v_add_co_u32 v10, vcc_lo, s0, v10
	s_delay_alu instid0(VALU_DEP_2)
	v_add_co_ci_u32_e32 v11, vcc_lo, s1, v11, vcc_lo
	global_load_b32 v12, v[2:3], off
	global_load_b32 v10, v[10:11], off
	v_add_co_u32 v2, vcc_lo, 0xb64, v2
	v_add_co_ci_u32_e32 v3, vcc_lo, 0, v3, vcc_lo
	s_waitcnt vmcnt(0)
	v_fmac_f32_e32 v7, v12, v10
	s_branch .LBB74_9
.LBB74_12:
	s_set_inst_prefetch_distance 0x2
	s_and_b32 vcc_lo, exec_lo, s3
	ds_store_b32 v6, v7
	s_waitcnt lgkmcnt(0)
	s_barrier
	buffer_gl0_inv
	s_cbranch_vccz .LBB74_24
; %bb.13:
	s_mov_b32 s0, exec_lo
	v_cmpx_gt_u16_e32 11, v8
	s_cbranch_execz .LBB74_15
; %bb.14:
	ds_load_2addr_b32 v[1:2], v6 offset1:16
	s_waitcnt lgkmcnt(0)
	v_add_f32_e32 v1, v2, v1
	ds_store_b32 v6, v1
.LBB74_15:
	s_or_b32 exec_lo, exec_lo, s0
	s_delay_alu instid0(SALU_CYCLE_1)
	s_mov_b32 s0, exec_lo
	s_waitcnt lgkmcnt(0)
	s_barrier
	buffer_gl0_inv
	v_cmpx_gt_u16_e32 8, v8
	s_cbranch_execz .LBB74_17
; %bb.16:
	ds_load_2addr_b32 v[1:2], v6 offset1:8
	s_waitcnt lgkmcnt(0)
	v_add_f32_e32 v1, v2, v1
	ds_store_b32 v6, v1
.LBB74_17:
	s_or_b32 exec_lo, exec_lo, s0
	s_delay_alu instid0(SALU_CYCLE_1)
	s_mov_b32 s0, exec_lo
	s_waitcnt lgkmcnt(0)
	s_barrier
	buffer_gl0_inv
	;; [unrolled: 14-line block ×3, first 2 shown]
	v_cmpx_gt_u16_e32 2, v8
	s_cbranch_execz .LBB74_21
; %bb.20:
	ds_load_2addr_b32 v[1:2], v6 offset1:2
	s_waitcnt lgkmcnt(0)
	v_add_f32_e32 v1, v2, v1
	ds_store_b32 v6, v1
.LBB74_21:
	s_or_b32 exec_lo, exec_lo, s0
	s_mov_b32 s1, 0
	s_mov_b32 s0, 0
	s_mov_b32 s2, exec_lo
	s_waitcnt lgkmcnt(0)
	s_barrier
	buffer_gl0_inv
                                        ; implicit-def: $vgpr1
                                        ; implicit-def: $vgpr2
	v_cmpx_gt_u32_e32 27, v0
	s_xor_b32 s2, exec_lo, s2
; %bb.22:
	v_mad_u32_u24 v1, v0, 27, 1
	v_mad_u32_u24 v2, 0x68, v0, v6
	s_mov_b32 s0, exec_lo
; %bb.23:
	s_or_b32 exec_lo, exec_lo, s2
	s_delay_alu instid0(SALU_CYCLE_1)
	s_and_b32 vcc_lo, exec_lo, s1
	s_cbranch_vccnz .LBB74_25
	s_branch .LBB74_36
.LBB74_24:
	s_mov_b32 s0, 0
                                        ; implicit-def: $vgpr1
                                        ; implicit-def: $vgpr2
	s_cbranch_execz .LBB74_36
.LBB74_25:
	s_mov_b32 s1, exec_lo
	v_cmpx_gt_u32_e32 0x129, v0
	s_cbranch_execz .LBB74_27
; %bb.26:
	ds_load_b32 v1, v6 offset:1728
	ds_load_b32 v2, v6
	s_waitcnt lgkmcnt(0)
	v_add_f32_e32 v1, v1, v2
	ds_store_b32 v6, v1
.LBB74_27:
	s_or_b32 exec_lo, exec_lo, s1
	s_delay_alu instid0(SALU_CYCLE_1)
	s_mov_b32 s1, exec_lo
	s_waitcnt lgkmcnt(0)
	s_barrier
	buffer_gl0_inv
	v_cmpx_gt_u32_e32 0xd8, v0
	s_cbranch_execz .LBB74_29
; %bb.28:
	ds_load_2addr_b32 v[1:2], v6 offset1:216
	s_waitcnt lgkmcnt(0)
	v_add_f32_e32 v1, v2, v1
	ds_store_b32 v6, v1
.LBB74_29:
	s_or_b32 exec_lo, exec_lo, s1
	s_delay_alu instid0(SALU_CYCLE_1)
	s_mov_b32 s1, exec_lo
	s_waitcnt lgkmcnt(0)
	s_barrier
	buffer_gl0_inv
	v_cmpx_gt_u32_e32 0x6c, v0
	s_cbranch_execz .LBB74_31
; %bb.30:
	ds_load_2addr_b32 v[1:2], v6 offset1:108
	s_waitcnt lgkmcnt(0)
	v_add_f32_e32 v1, v2, v1
	ds_store_b32 v6, v1
.LBB74_31:
	;; [unrolled: 14-line block ×3, first 2 shown]
	s_or_b32 exec_lo, exec_lo, s1
	s_delay_alu instid0(SALU_CYCLE_1)
	s_mov_b32 s1, exec_lo
	s_waitcnt lgkmcnt(0)
	buffer_gl0_inv
                                        ; implicit-def: $vgpr1
	v_cmpx_gt_u32_e32 27, v0
; %bb.34:
	v_add_nc_u32_e32 v1, 27, v0
	s_or_b32 s0, s0, exec_lo
                                        ; implicit-def: $vgpr7
; %bb.35:
	s_or_b32 exec_lo, exec_lo, s1
	v_mov_b32_e32 v2, v6
.LBB74_36:
	s_and_saveexec_b32 s1, s0
	s_cbranch_execz .LBB74_38
; %bb.37:
	v_lshlrev_b32_e32 v1, 2, v1
	ds_load_b32 v2, v2
	ds_load_b32 v1, v1
	s_waitcnt lgkmcnt(0)
	v_add_f32_e32 v7, v2, v1
.LBB74_38:
	s_or_b32 exec_lo, exec_lo, s1
	s_delay_alu instid0(SALU_CYCLE_1)
	s_mov_b32 s0, exec_lo
	v_cmpx_gt_u32_e32 27, v0
	s_cbranch_execz .LBB74_42
; %bb.39:
	v_cmp_eq_f32_e64 s0, s8, 0
	v_mul_f32_e32 v1, s12, v7
	s_delay_alu instid0(VALU_DEP_2)
	s_and_b32 vcc_lo, exec_lo, s0
	s_mov_b32 s0, 0
	s_cbranch_vccz .LBB74_43
; %bb.40:
	s_delay_alu instid0(VALU_DEP_1) | instskip(SKIP_1) | instid1(VALU_DEP_1)
	v_mad_u64_u32 v[2:3], null, s10, 27, v[0:1]
	v_mov_b32_e32 v3, 0
	v_lshlrev_b64 v[2:3], 2, v[2:3]
	s_delay_alu instid0(VALU_DEP_1) | instskip(NEXT) | instid1(VALU_DEP_2)
	v_add_co_u32 v2, vcc_lo, s4, v2
	v_add_co_ci_u32_e32 v3, vcc_lo, s5, v3, vcc_lo
	global_store_b32 v[2:3], v1, off
	s_and_not1_b32 vcc_lo, exec_lo, s0
	s_cbranch_vccnz .LBB74_42
.LBB74_41:
	v_mad_u64_u32 v[2:3], null, s10, 27, v[0:1]
	v_mov_b32_e32 v3, 0
	s_delay_alu instid0(VALU_DEP_1) | instskip(NEXT) | instid1(VALU_DEP_1)
	v_lshlrev_b64 v[2:3], 2, v[2:3]
	v_add_co_u32 v2, vcc_lo, s4, v2
	s_delay_alu instid0(VALU_DEP_2)
	v_add_co_ci_u32_e32 v3, vcc_lo, s5, v3, vcc_lo
	global_load_b32 v0, v[2:3], off
	s_waitcnt vmcnt(0)
	v_fmac_f32_e32 v1, s8, v0
	global_store_b32 v[2:3], v1, off
.LBB74_42:
	s_nop 0
	s_sendmsg sendmsg(MSG_DEALLOC_VGPRS)
	s_endpgm
.LBB74_43:
	s_branch .LBB74_41
	.section	.rodata,"a",@progbits
	.p2align	6, 0x0
	.amdhsa_kernel _ZN9rocsparseL20bsrxmvn_17_32_kernelILj27EflifffEEvT2_20rocsparse_direction_NS_24const_host_device_scalarIT0_EES1_PKS1_PKT1_SA_S7_PKT3_PKT4_S5_PT5_21rocsparse_index_base_b
		.amdhsa_group_segment_fixed_size 2916
		.amdhsa_private_segment_fixed_size 0
		.amdhsa_kernarg_size 96
		.amdhsa_user_sgpr_count 15
		.amdhsa_user_sgpr_dispatch_ptr 0
		.amdhsa_user_sgpr_queue_ptr 0
		.amdhsa_user_sgpr_kernarg_segment_ptr 1
		.amdhsa_user_sgpr_dispatch_id 0
		.amdhsa_user_sgpr_private_segment_size 0
		.amdhsa_wavefront_size32 1
		.amdhsa_uses_dynamic_stack 0
		.amdhsa_enable_private_segment 0
		.amdhsa_system_sgpr_workgroup_id_x 1
		.amdhsa_system_sgpr_workgroup_id_y 0
		.amdhsa_system_sgpr_workgroup_id_z 0
		.amdhsa_system_sgpr_workgroup_info 0
		.amdhsa_system_vgpr_workitem_id 0
		.amdhsa_next_free_vgpr 13
		.amdhsa_next_free_sgpr 24
		.amdhsa_reserve_vcc 1
		.amdhsa_float_round_mode_32 0
		.amdhsa_float_round_mode_16_64 0
		.amdhsa_float_denorm_mode_32 3
		.amdhsa_float_denorm_mode_16_64 3
		.amdhsa_dx10_clamp 1
		.amdhsa_ieee_mode 1
		.amdhsa_fp16_overflow 0
		.amdhsa_workgroup_processor_mode 1
		.amdhsa_memory_ordered 1
		.amdhsa_forward_progress 0
		.amdhsa_shared_vgpr_count 0
		.amdhsa_exception_fp_ieee_invalid_op 0
		.amdhsa_exception_fp_denorm_src 0
		.amdhsa_exception_fp_ieee_div_zero 0
		.amdhsa_exception_fp_ieee_overflow 0
		.amdhsa_exception_fp_ieee_underflow 0
		.amdhsa_exception_fp_ieee_inexact 0
		.amdhsa_exception_int_div_zero 0
	.end_amdhsa_kernel
	.section	.text._ZN9rocsparseL20bsrxmvn_17_32_kernelILj27EflifffEEvT2_20rocsparse_direction_NS_24const_host_device_scalarIT0_EES1_PKS1_PKT1_SA_S7_PKT3_PKT4_S5_PT5_21rocsparse_index_base_b,"axG",@progbits,_ZN9rocsparseL20bsrxmvn_17_32_kernelILj27EflifffEEvT2_20rocsparse_direction_NS_24const_host_device_scalarIT0_EES1_PKS1_PKT1_SA_S7_PKT3_PKT4_S5_PT5_21rocsparse_index_base_b,comdat
.Lfunc_end74:
	.size	_ZN9rocsparseL20bsrxmvn_17_32_kernelILj27EflifffEEvT2_20rocsparse_direction_NS_24const_host_device_scalarIT0_EES1_PKS1_PKT1_SA_S7_PKT3_PKT4_S5_PT5_21rocsparse_index_base_b, .Lfunc_end74-_ZN9rocsparseL20bsrxmvn_17_32_kernelILj27EflifffEEvT2_20rocsparse_direction_NS_24const_host_device_scalarIT0_EES1_PKS1_PKT1_SA_S7_PKT3_PKT4_S5_PT5_21rocsparse_index_base_b
                                        ; -- End function
	.section	.AMDGPU.csdata,"",@progbits
; Kernel info:
; codeLenInByte = 1612
; NumSgprs: 26
; NumVgprs: 13
; ScratchSize: 0
; MemoryBound: 0
; FloatMode: 240
; IeeeMode: 1
; LDSByteSize: 2916 bytes/workgroup (compile time only)
; SGPRBlocks: 3
; VGPRBlocks: 1
; NumSGPRsForWavesPerEU: 26
; NumVGPRsForWavesPerEU: 13
; Occupancy: 12
; WaveLimiterHint : 1
; COMPUTE_PGM_RSRC2:SCRATCH_EN: 0
; COMPUTE_PGM_RSRC2:USER_SGPR: 15
; COMPUTE_PGM_RSRC2:TRAP_HANDLER: 0
; COMPUTE_PGM_RSRC2:TGID_X_EN: 1
; COMPUTE_PGM_RSRC2:TGID_Y_EN: 0
; COMPUTE_PGM_RSRC2:TGID_Z_EN: 0
; COMPUTE_PGM_RSRC2:TIDIG_COMP_CNT: 0
	.section	.text._ZN9rocsparseL20bsrxmvn_17_32_kernelILj28EflifffEEvT2_20rocsparse_direction_NS_24const_host_device_scalarIT0_EES1_PKS1_PKT1_SA_S7_PKT3_PKT4_S5_PT5_21rocsparse_index_base_b,"axG",@progbits,_ZN9rocsparseL20bsrxmvn_17_32_kernelILj28EflifffEEvT2_20rocsparse_direction_NS_24const_host_device_scalarIT0_EES1_PKS1_PKT1_SA_S7_PKT3_PKT4_S5_PT5_21rocsparse_index_base_b,comdat
	.globl	_ZN9rocsparseL20bsrxmvn_17_32_kernelILj28EflifffEEvT2_20rocsparse_direction_NS_24const_host_device_scalarIT0_EES1_PKS1_PKT1_SA_S7_PKT3_PKT4_S5_PT5_21rocsparse_index_base_b ; -- Begin function _ZN9rocsparseL20bsrxmvn_17_32_kernelILj28EflifffEEvT2_20rocsparse_direction_NS_24const_host_device_scalarIT0_EES1_PKS1_PKT1_SA_S7_PKT3_PKT4_S5_PT5_21rocsparse_index_base_b
	.p2align	8
	.type	_ZN9rocsparseL20bsrxmvn_17_32_kernelILj28EflifffEEvT2_20rocsparse_direction_NS_24const_host_device_scalarIT0_EES1_PKS1_PKT1_SA_S7_PKT3_PKT4_S5_PT5_21rocsparse_index_base_b,@function
_ZN9rocsparseL20bsrxmvn_17_32_kernelILj28EflifffEEvT2_20rocsparse_direction_NS_24const_host_device_scalarIT0_EES1_PKS1_PKT1_SA_S7_PKT3_PKT4_S5_PT5_21rocsparse_index_base_b: ; @_ZN9rocsparseL20bsrxmvn_17_32_kernelILj28EflifffEEvT2_20rocsparse_direction_NS_24const_host_device_scalarIT0_EES1_PKS1_PKT1_SA_S7_PKT3_PKT4_S5_PT5_21rocsparse_index_base_b
; %bb.0:
	s_mov_b32 s10, s15
	s_clause 0x2
	s_load_b64 s[14:15], s[0:1], 0x58
	s_load_b64 s[12:13], s[0:1], 0x8
	;; [unrolled: 1-line block ×3, first 2 shown]
	s_waitcnt lgkmcnt(0)
	s_bitcmp1_b32 s15, 0
	s_cselect_b32 s2, -1, 0
	s_delay_alu instid0(SALU_CYCLE_1)
	s_and_b32 vcc_lo, exec_lo, s2
	s_xor_b32 s2, s2, -1
	s_cbranch_vccnz .LBB75_2
; %bb.1:
	s_load_b32 s12, s[12:13], 0x0
.LBB75_2:
	s_and_not1_b32 vcc_lo, exec_lo, s2
	s_cbranch_vccnz .LBB75_4
; %bb.3:
	s_load_b32 s8, s[8:9], 0x0
.LBB75_4:
	s_waitcnt lgkmcnt(0)
	v_cmp_neq_f32_e64 s2, s12, 0
	v_cmp_neq_f32_e64 s3, s8, 1.0
	s_delay_alu instid0(VALU_DEP_1) | instskip(NEXT) | instid1(SALU_CYCLE_1)
	s_or_b32 s2, s2, s3
	s_and_not1_b32 vcc_lo, exec_lo, s2
	s_cbranch_vccnz .LBB75_42
; %bb.5:
	s_clause 0x1
	s_load_b128 s[4:7], s[0:1], 0x18
	s_load_b64 s[16:17], s[0:1], 0x28
	s_waitcnt lgkmcnt(0)
	s_cmp_eq_u64 s[4:5], 0
	s_cbranch_scc1 .LBB75_7
; %bb.6:
	s_ashr_i32 s11, s10, 31
	s_delay_alu instid0(SALU_CYCLE_1) | instskip(NEXT) | instid1(SALU_CYCLE_1)
	s_lshl_b64 s[2:3], s[10:11], 2
	s_add_u32 s2, s4, s2
	s_addc_u32 s3, s5, s3
	s_load_b32 s2, s[2:3], 0x0
	s_waitcnt lgkmcnt(0)
	s_sub_i32 s10, s2, s14
.LBB75_7:
	s_load_b32 s3, s[0:1], 0x4
	v_mul_u32_u24_e32 v1, 0x925, v0
	v_dual_mov_b32 v7, 0 :: v_dual_lshlrev_b32 v6, 2, v0
	s_delay_alu instid0(VALU_DEP_2) | instskip(NEXT) | instid1(VALU_DEP_1)
	v_lshrrev_b32_e32 v1, 16, v1
	v_mul_lo_u16 v2, v1, 28
	s_delay_alu instid0(VALU_DEP_1)
	v_sub_nc_u16 v8, v0, v2
	s_waitcnt lgkmcnt(0)
	s_cmp_eq_u32 s3, 1
	s_cselect_b32 s2, -1, 0
	s_cmp_lg_u32 s3, 1
	s_cselect_b32 s3, -1, 0
	s_ashr_i32 s11, s10, 31
	s_delay_alu instid0(SALU_CYCLE_1) | instskip(NEXT) | instid1(SALU_CYCLE_1)
	s_lshl_b64 s[4:5], s[10:11], 3
	s_add_u32 s6, s6, s4
	s_addc_u32 s7, s7, s5
	s_add_u32 s9, s6, 8
	s_addc_u32 s11, s7, 0
	;; [unrolled: 2-line block ×3, first 2 shown]
	s_cmp_eq_u64 s[16:17], 0
	s_cselect_b32 s5, s11, s5
	s_cselect_b32 s4, s9, s4
	s_load_b64 s[18:19], s[6:7], 0x0
	s_load_b64 s[6:7], s[4:5], 0x0
	;; [unrolled: 1-line block ×3, first 2 shown]
	s_waitcnt lgkmcnt(0)
	v_cmp_ge_i64_e64 s9, s[18:19], s[6:7]
	s_delay_alu instid0(VALU_DEP_1)
	s_and_b32 vcc_lo, exec_lo, s9
	s_cbranch_vccnz .LBB75_12
; %bb.8:
	v_and_b32_e32 v1, 0xffff, v1
	v_cmp_lt_u32_e32 vcc_lo, 0x30f, v0
	s_clause 0x1
	s_load_b128 s[20:23], s[0:1], 0x30
	s_load_b64 s[0:1], s[0:1], 0x40
	s_sub_u32 s6, s6, s14
	s_subb_u32 s7, s7, 0
	v_subrev_nc_u32_e32 v3, 28, v1
	v_cndmask_b32_e64 v9, 0, 1, vcc_lo
	v_cmp_gt_u32_e32 vcc_lo, 0x310, v0
	v_and_b32_e32 v2, 0xffff, v8
	s_sub_u32 s16, s18, s14
	s_subb_u32 s17, s19, 0
	s_mul_hi_u32 s9, s16, 0xc40
	v_cndmask_b32_e32 v1, v3, v1, vcc_lo
	s_mul_i32 s11, s17, 0xc40
	v_lshlrev_b32_e32 v7, 2, v0
	s_add_i32 s9, s9, s11
	s_delay_alu instid0(VALU_DEP_2) | instskip(SKIP_1) | instid1(VALU_DEP_1)
	v_cndmask_b32_e64 v1, v2, v1, s2
	v_add_co_u32 v2, s2, s18, v9
	v_add_co_ci_u32_e64 v3, null, s19, 0, s2
	s_mul_i32 s2, s16, 0xc40
	s_delay_alu instid0(VALU_DEP_2) | instskip(NEXT) | instid1(VALU_DEP_2)
	v_sub_co_u32 v2, vcc_lo, v2, s14
	v_subrev_co_ci_u32_e32 v3, vcc_lo, 0, v3, vcc_lo
	s_waitcnt lgkmcnt(0)
	s_add_u32 s2, s22, s2
	s_addc_u32 s9, s23, s9
	s_delay_alu instid0(VALU_DEP_1) | instskip(SKIP_1) | instid1(VALU_DEP_1)
	v_lshlrev_b64 v[4:5], 2, v[2:3]
	v_add_co_u32 v2, s2, s2, v7
	v_add_co_ci_u32_e64 v3, null, s9, 0, s2
	v_mov_b32_e32 v7, 0
	s_delay_alu instid0(VALU_DEP_4)
	v_add_co_u32 v4, vcc_lo, s20, v4
	v_add_co_ci_u32_e32 v5, vcc_lo, s21, v5, vcc_lo
	s_set_inst_prefetch_distance 0x1
	s_branch .LBB75_10
	.p2align	6
.LBB75_9:                               ;   in Loop: Header=BB75_10 Depth=1
	s_or_b32 exec_lo, exec_lo, s2
	s_add_u32 s16, s16, 1
	s_addc_u32 s17, s17, 0
	v_add_co_u32 v4, vcc_lo, v4, 4
	v_cmp_lt_i64_e64 s2, s[16:17], s[6:7]
	v_add_co_ci_u32_e32 v5, vcc_lo, 0, v5, vcc_lo
	s_delay_alu instid0(VALU_DEP_2)
	s_and_b32 vcc_lo, exec_lo, s2
	s_cbranch_vccz .LBB75_12
.LBB75_10:                              ; =>This Inner Loop Header: Depth=1
	v_add_co_u32 v10, s2, v9, s16
	s_delay_alu instid0(VALU_DEP_1) | instskip(SKIP_1) | instid1(VALU_DEP_1)
	v_add_co_ci_u32_e64 v11, null, 0, s17, s2
	s_mov_b32 s2, exec_lo
	v_cmpx_gt_i64_e64 s[6:7], v[10:11]
	s_cbranch_execz .LBB75_9
; %bb.11:                               ;   in Loop: Header=BB75_10 Depth=1
	global_load_b32 v10, v[4:5], off
	s_waitcnt vmcnt(0)
	v_subrev_nc_u32_e32 v12, s14, v10
	s_delay_alu instid0(VALU_DEP_1) | instskip(NEXT) | instid1(VALU_DEP_1)
	v_mad_u64_u32 v[10:11], null, v12, 28, v[1:2]
	v_ashrrev_i32_e32 v11, 31, v10
	s_delay_alu instid0(VALU_DEP_1) | instskip(NEXT) | instid1(VALU_DEP_1)
	v_lshlrev_b64 v[10:11], 2, v[10:11]
	v_add_co_u32 v10, vcc_lo, s0, v10
	s_delay_alu instid0(VALU_DEP_2)
	v_add_co_ci_u32_e32 v11, vcc_lo, s1, v11, vcc_lo
	global_load_b32 v12, v[2:3], off
	global_load_b32 v10, v[10:11], off
	v_add_co_u32 v2, vcc_lo, 0xc40, v2
	v_add_co_ci_u32_e32 v3, vcc_lo, 0, v3, vcc_lo
	s_waitcnt vmcnt(0)
	v_fmac_f32_e32 v7, v12, v10
	s_branch .LBB75_9
.LBB75_12:
	s_set_inst_prefetch_distance 0x2
	s_and_b32 vcc_lo, exec_lo, s3
	ds_store_b32 v6, v7
	s_waitcnt lgkmcnt(0)
	s_barrier
	buffer_gl0_inv
	s_cbranch_vccz .LBB75_24
; %bb.13:
	s_mov_b32 s0, exec_lo
	v_cmpx_gt_u16_e32 12, v8
	s_cbranch_execz .LBB75_15
; %bb.14:
	ds_load_2addr_b32 v[1:2], v6 offset1:16
	s_waitcnt lgkmcnt(0)
	v_add_f32_e32 v1, v2, v1
	ds_store_b32 v6, v1
.LBB75_15:
	s_or_b32 exec_lo, exec_lo, s0
	s_delay_alu instid0(SALU_CYCLE_1)
	s_mov_b32 s0, exec_lo
	s_waitcnt lgkmcnt(0)
	s_barrier
	buffer_gl0_inv
	v_cmpx_gt_u16_e32 8, v8
	s_cbranch_execz .LBB75_17
; %bb.16:
	ds_load_2addr_b32 v[1:2], v6 offset1:8
	s_waitcnt lgkmcnt(0)
	v_add_f32_e32 v1, v2, v1
	ds_store_b32 v6, v1
.LBB75_17:
	s_or_b32 exec_lo, exec_lo, s0
	s_delay_alu instid0(SALU_CYCLE_1)
	s_mov_b32 s0, exec_lo
	s_waitcnt lgkmcnt(0)
	s_barrier
	buffer_gl0_inv
	v_cmpx_gt_u16_e32 4, v8
	s_cbranch_execz .LBB75_19
; %bb.18:
	ds_load_2addr_b32 v[1:2], v6 offset1:4
	s_waitcnt lgkmcnt(0)
	v_add_f32_e32 v1, v2, v1
	ds_store_b32 v6, v1
.LBB75_19:
	s_or_b32 exec_lo, exec_lo, s0
	s_delay_alu instid0(SALU_CYCLE_1)
	s_mov_b32 s0, exec_lo
	s_waitcnt lgkmcnt(0)
	s_barrier
	buffer_gl0_inv
	v_cmpx_gt_u16_e32 2, v8
	s_cbranch_execz .LBB75_21
; %bb.20:
	ds_load_2addr_b32 v[1:2], v6 offset1:2
	s_waitcnt lgkmcnt(0)
	v_add_f32_e32 v1, v2, v1
	ds_store_b32 v6, v1
.LBB75_21:
	s_or_b32 exec_lo, exec_lo, s0
	s_mov_b32 s1, 0
	s_mov_b32 s0, 0
	s_mov_b32 s2, exec_lo
	s_waitcnt lgkmcnt(0)
	s_barrier
	buffer_gl0_inv
                                        ; implicit-def: $vgpr1
                                        ; implicit-def: $vgpr2
	v_cmpx_gt_u32_e32 28, v0
	s_xor_b32 s2, exec_lo, s2
; %bb.22:
	v_mul_u32_u24_e32 v1, 28, v0
	v_mad_u32_u24 v2, 0x6c, v0, v6
	s_mov_b32 s0, exec_lo
	s_delay_alu instid0(VALU_DEP_2)
	v_or_b32_e32 v1, 1, v1
; %bb.23:
	s_or_b32 exec_lo, exec_lo, s2
	s_delay_alu instid0(SALU_CYCLE_1)
	s_and_b32 vcc_lo, exec_lo, s1
	s_cbranch_vccnz .LBB75_25
	s_branch .LBB75_36
.LBB75_24:
	s_mov_b32 s0, 0
                                        ; implicit-def: $vgpr1
                                        ; implicit-def: $vgpr2
	s_cbranch_execz .LBB75_36
.LBB75_25:
	s_mov_b32 s1, exec_lo
	v_cmpx_gt_u32_e32 0x150, v0
	s_cbranch_execz .LBB75_27
; %bb.26:
	ds_load_2addr_stride64_b32 v[1:2], v6 offset1:7
	s_waitcnt lgkmcnt(0)
	v_add_f32_e32 v1, v2, v1
	ds_store_b32 v6, v1
.LBB75_27:
	s_or_b32 exec_lo, exec_lo, s1
	s_delay_alu instid0(SALU_CYCLE_1)
	s_mov_b32 s1, exec_lo
	s_waitcnt lgkmcnt(0)
	s_barrier
	buffer_gl0_inv
	v_cmpx_gt_u32_e32 0xe0, v0
	s_cbranch_execz .LBB75_29
; %bb.28:
	ds_load_2addr_b32 v[1:2], v6 offset1:224
	s_waitcnt lgkmcnt(0)
	v_add_f32_e32 v1, v2, v1
	ds_store_b32 v6, v1
.LBB75_29:
	s_or_b32 exec_lo, exec_lo, s1
	s_delay_alu instid0(SALU_CYCLE_1)
	s_mov_b32 s1, exec_lo
	s_waitcnt lgkmcnt(0)
	s_barrier
	buffer_gl0_inv
	v_cmpx_gt_u32_e32 0x70, v0
	s_cbranch_execz .LBB75_31
; %bb.30:
	ds_load_2addr_b32 v[1:2], v6 offset1:112
	s_waitcnt lgkmcnt(0)
	v_add_f32_e32 v1, v2, v1
	ds_store_b32 v6, v1
.LBB75_31:
	;; [unrolled: 14-line block ×3, first 2 shown]
	s_or_b32 exec_lo, exec_lo, s1
	s_delay_alu instid0(SALU_CYCLE_1)
	s_mov_b32 s1, exec_lo
	s_waitcnt lgkmcnt(0)
	buffer_gl0_inv
                                        ; implicit-def: $vgpr1
	v_cmpx_gt_u32_e32 28, v0
; %bb.34:
	v_add_nc_u32_e32 v1, 28, v0
	s_or_b32 s0, s0, exec_lo
                                        ; implicit-def: $vgpr7
; %bb.35:
	s_or_b32 exec_lo, exec_lo, s1
	v_mov_b32_e32 v2, v6
.LBB75_36:
	s_and_saveexec_b32 s1, s0
	s_cbranch_execz .LBB75_38
; %bb.37:
	v_lshlrev_b32_e32 v1, 2, v1
	ds_load_b32 v2, v2
	ds_load_b32 v1, v1
	s_waitcnt lgkmcnt(0)
	v_add_f32_e32 v7, v2, v1
.LBB75_38:
	s_or_b32 exec_lo, exec_lo, s1
	s_delay_alu instid0(SALU_CYCLE_1)
	s_mov_b32 s0, exec_lo
	v_cmpx_gt_u32_e32 28, v0
	s_cbranch_execz .LBB75_42
; %bb.39:
	v_cmp_eq_f32_e64 s0, s8, 0
	v_mul_f32_e32 v1, s12, v7
	s_delay_alu instid0(VALU_DEP_2)
	s_and_b32 vcc_lo, exec_lo, s0
	s_mov_b32 s0, 0
	s_cbranch_vccz .LBB75_43
; %bb.40:
	s_delay_alu instid0(VALU_DEP_1) | instskip(SKIP_1) | instid1(VALU_DEP_1)
	v_mad_u64_u32 v[2:3], null, s10, 28, v[0:1]
	v_mov_b32_e32 v3, 0
	v_lshlrev_b64 v[2:3], 2, v[2:3]
	s_delay_alu instid0(VALU_DEP_1) | instskip(NEXT) | instid1(VALU_DEP_2)
	v_add_co_u32 v2, vcc_lo, s4, v2
	v_add_co_ci_u32_e32 v3, vcc_lo, s5, v3, vcc_lo
	global_store_b32 v[2:3], v1, off
	s_and_not1_b32 vcc_lo, exec_lo, s0
	s_cbranch_vccnz .LBB75_42
.LBB75_41:
	v_mad_u64_u32 v[2:3], null, s10, 28, v[0:1]
	v_mov_b32_e32 v3, 0
	s_delay_alu instid0(VALU_DEP_1) | instskip(NEXT) | instid1(VALU_DEP_1)
	v_lshlrev_b64 v[2:3], 2, v[2:3]
	v_add_co_u32 v2, vcc_lo, s4, v2
	s_delay_alu instid0(VALU_DEP_2)
	v_add_co_ci_u32_e32 v3, vcc_lo, s5, v3, vcc_lo
	global_load_b32 v0, v[2:3], off
	s_waitcnt vmcnt(0)
	v_fmac_f32_e32 v1, s8, v0
	global_store_b32 v[2:3], v1, off
.LBB75_42:
	s_nop 0
	s_sendmsg sendmsg(MSG_DEALLOC_VGPRS)
	s_endpgm
.LBB75_43:
	s_branch .LBB75_41
	.section	.rodata,"a",@progbits
	.p2align	6, 0x0
	.amdhsa_kernel _ZN9rocsparseL20bsrxmvn_17_32_kernelILj28EflifffEEvT2_20rocsparse_direction_NS_24const_host_device_scalarIT0_EES1_PKS1_PKT1_SA_S7_PKT3_PKT4_S5_PT5_21rocsparse_index_base_b
		.amdhsa_group_segment_fixed_size 3136
		.amdhsa_private_segment_fixed_size 0
		.amdhsa_kernarg_size 96
		.amdhsa_user_sgpr_count 15
		.amdhsa_user_sgpr_dispatch_ptr 0
		.amdhsa_user_sgpr_queue_ptr 0
		.amdhsa_user_sgpr_kernarg_segment_ptr 1
		.amdhsa_user_sgpr_dispatch_id 0
		.amdhsa_user_sgpr_private_segment_size 0
		.amdhsa_wavefront_size32 1
		.amdhsa_uses_dynamic_stack 0
		.amdhsa_enable_private_segment 0
		.amdhsa_system_sgpr_workgroup_id_x 1
		.amdhsa_system_sgpr_workgroup_id_y 0
		.amdhsa_system_sgpr_workgroup_id_z 0
		.amdhsa_system_sgpr_workgroup_info 0
		.amdhsa_system_vgpr_workitem_id 0
		.amdhsa_next_free_vgpr 13
		.amdhsa_next_free_sgpr 24
		.amdhsa_reserve_vcc 1
		.amdhsa_float_round_mode_32 0
		.amdhsa_float_round_mode_16_64 0
		.amdhsa_float_denorm_mode_32 3
		.amdhsa_float_denorm_mode_16_64 3
		.amdhsa_dx10_clamp 1
		.amdhsa_ieee_mode 1
		.amdhsa_fp16_overflow 0
		.amdhsa_workgroup_processor_mode 1
		.amdhsa_memory_ordered 1
		.amdhsa_forward_progress 0
		.amdhsa_shared_vgpr_count 0
		.amdhsa_exception_fp_ieee_invalid_op 0
		.amdhsa_exception_fp_denorm_src 0
		.amdhsa_exception_fp_ieee_div_zero 0
		.amdhsa_exception_fp_ieee_overflow 0
		.amdhsa_exception_fp_ieee_underflow 0
		.amdhsa_exception_fp_ieee_inexact 0
		.amdhsa_exception_int_div_zero 0
	.end_amdhsa_kernel
	.section	.text._ZN9rocsparseL20bsrxmvn_17_32_kernelILj28EflifffEEvT2_20rocsparse_direction_NS_24const_host_device_scalarIT0_EES1_PKS1_PKT1_SA_S7_PKT3_PKT4_S5_PT5_21rocsparse_index_base_b,"axG",@progbits,_ZN9rocsparseL20bsrxmvn_17_32_kernelILj28EflifffEEvT2_20rocsparse_direction_NS_24const_host_device_scalarIT0_EES1_PKS1_PKT1_SA_S7_PKT3_PKT4_S5_PT5_21rocsparse_index_base_b,comdat
.Lfunc_end75:
	.size	_ZN9rocsparseL20bsrxmvn_17_32_kernelILj28EflifffEEvT2_20rocsparse_direction_NS_24const_host_device_scalarIT0_EES1_PKS1_PKT1_SA_S7_PKT3_PKT4_S5_PT5_21rocsparse_index_base_b, .Lfunc_end75-_ZN9rocsparseL20bsrxmvn_17_32_kernelILj28EflifffEEvT2_20rocsparse_direction_NS_24const_host_device_scalarIT0_EES1_PKS1_PKT1_SA_S7_PKT3_PKT4_S5_PT5_21rocsparse_index_base_b
                                        ; -- End function
	.section	.AMDGPU.csdata,"",@progbits
; Kernel info:
; codeLenInByte = 1608
; NumSgprs: 26
; NumVgprs: 13
; ScratchSize: 0
; MemoryBound: 0
; FloatMode: 240
; IeeeMode: 1
; LDSByteSize: 3136 bytes/workgroup (compile time only)
; SGPRBlocks: 3
; VGPRBlocks: 1
; NumSGPRsForWavesPerEU: 26
; NumVGPRsForWavesPerEU: 13
; Occupancy: 13
; WaveLimiterHint : 1
; COMPUTE_PGM_RSRC2:SCRATCH_EN: 0
; COMPUTE_PGM_RSRC2:USER_SGPR: 15
; COMPUTE_PGM_RSRC2:TRAP_HANDLER: 0
; COMPUTE_PGM_RSRC2:TGID_X_EN: 1
; COMPUTE_PGM_RSRC2:TGID_Y_EN: 0
; COMPUTE_PGM_RSRC2:TGID_Z_EN: 0
; COMPUTE_PGM_RSRC2:TIDIG_COMP_CNT: 0
	.section	.text._ZN9rocsparseL20bsrxmvn_17_32_kernelILj29EflifffEEvT2_20rocsparse_direction_NS_24const_host_device_scalarIT0_EES1_PKS1_PKT1_SA_S7_PKT3_PKT4_S5_PT5_21rocsparse_index_base_b,"axG",@progbits,_ZN9rocsparseL20bsrxmvn_17_32_kernelILj29EflifffEEvT2_20rocsparse_direction_NS_24const_host_device_scalarIT0_EES1_PKS1_PKT1_SA_S7_PKT3_PKT4_S5_PT5_21rocsparse_index_base_b,comdat
	.globl	_ZN9rocsparseL20bsrxmvn_17_32_kernelILj29EflifffEEvT2_20rocsparse_direction_NS_24const_host_device_scalarIT0_EES1_PKS1_PKT1_SA_S7_PKT3_PKT4_S5_PT5_21rocsparse_index_base_b ; -- Begin function _ZN9rocsparseL20bsrxmvn_17_32_kernelILj29EflifffEEvT2_20rocsparse_direction_NS_24const_host_device_scalarIT0_EES1_PKS1_PKT1_SA_S7_PKT3_PKT4_S5_PT5_21rocsparse_index_base_b
	.p2align	8
	.type	_ZN9rocsparseL20bsrxmvn_17_32_kernelILj29EflifffEEvT2_20rocsparse_direction_NS_24const_host_device_scalarIT0_EES1_PKS1_PKT1_SA_S7_PKT3_PKT4_S5_PT5_21rocsparse_index_base_b,@function
_ZN9rocsparseL20bsrxmvn_17_32_kernelILj29EflifffEEvT2_20rocsparse_direction_NS_24const_host_device_scalarIT0_EES1_PKS1_PKT1_SA_S7_PKT3_PKT4_S5_PT5_21rocsparse_index_base_b: ; @_ZN9rocsparseL20bsrxmvn_17_32_kernelILj29EflifffEEvT2_20rocsparse_direction_NS_24const_host_device_scalarIT0_EES1_PKS1_PKT1_SA_S7_PKT3_PKT4_S5_PT5_21rocsparse_index_base_b
; %bb.0:
	s_mov_b32 s10, s15
	s_clause 0x2
	s_load_b64 s[14:15], s[0:1], 0x58
	s_load_b64 s[12:13], s[0:1], 0x8
	;; [unrolled: 1-line block ×3, first 2 shown]
	s_waitcnt lgkmcnt(0)
	s_bitcmp1_b32 s15, 0
	s_cselect_b32 s2, -1, 0
	s_delay_alu instid0(SALU_CYCLE_1)
	s_and_b32 vcc_lo, exec_lo, s2
	s_xor_b32 s2, s2, -1
	s_cbranch_vccnz .LBB76_2
; %bb.1:
	s_load_b32 s12, s[12:13], 0x0
.LBB76_2:
	s_and_not1_b32 vcc_lo, exec_lo, s2
	s_cbranch_vccnz .LBB76_4
; %bb.3:
	s_load_b32 s8, s[8:9], 0x0
.LBB76_4:
	s_waitcnt lgkmcnt(0)
	v_cmp_neq_f32_e64 s2, s12, 0
	v_cmp_neq_f32_e64 s3, s8, 1.0
	s_delay_alu instid0(VALU_DEP_1) | instskip(NEXT) | instid1(SALU_CYCLE_1)
	s_or_b32 s2, s2, s3
	s_and_not1_b32 vcc_lo, exec_lo, s2
	s_cbranch_vccnz .LBB76_42
; %bb.5:
	s_clause 0x1
	s_load_b128 s[4:7], s[0:1], 0x18
	s_load_b64 s[16:17], s[0:1], 0x28
	s_waitcnt lgkmcnt(0)
	s_cmp_eq_u64 s[4:5], 0
	s_cbranch_scc1 .LBB76_7
; %bb.6:
	s_ashr_i32 s11, s10, 31
	s_delay_alu instid0(SALU_CYCLE_1) | instskip(NEXT) | instid1(SALU_CYCLE_1)
	s_lshl_b64 s[2:3], s[10:11], 2
	s_add_u32 s2, s4, s2
	s_addc_u32 s3, s5, s3
	s_load_b32 s2, s[2:3], 0x0
	s_waitcnt lgkmcnt(0)
	s_sub_i32 s10, s2, s14
.LBB76_7:
	s_load_b32 s3, s[0:1], 0x4
	v_mul_u32_u24_e32 v1, 0x8d4, v0
	v_dual_mov_b32 v7, 0 :: v_dual_lshlrev_b32 v6, 2, v0
	s_delay_alu instid0(VALU_DEP_2) | instskip(NEXT) | instid1(VALU_DEP_1)
	v_lshrrev_b32_e32 v1, 16, v1
	v_mul_lo_u16 v2, v1, 29
	s_delay_alu instid0(VALU_DEP_1)
	v_sub_nc_u16 v8, v0, v2
	s_waitcnt lgkmcnt(0)
	s_cmp_eq_u32 s3, 1
	s_cselect_b32 s2, -1, 0
	s_cmp_lg_u32 s3, 1
	s_cselect_b32 s3, -1, 0
	s_ashr_i32 s11, s10, 31
	s_delay_alu instid0(SALU_CYCLE_1) | instskip(NEXT) | instid1(SALU_CYCLE_1)
	s_lshl_b64 s[4:5], s[10:11], 3
	s_add_u32 s6, s6, s4
	s_addc_u32 s7, s7, s5
	s_add_u32 s9, s6, 8
	s_addc_u32 s11, s7, 0
	;; [unrolled: 2-line block ×3, first 2 shown]
	s_cmp_eq_u64 s[16:17], 0
	s_cselect_b32 s5, s11, s5
	s_cselect_b32 s4, s9, s4
	s_load_b64 s[18:19], s[6:7], 0x0
	s_load_b64 s[6:7], s[4:5], 0x0
	;; [unrolled: 1-line block ×3, first 2 shown]
	s_waitcnt lgkmcnt(0)
	v_cmp_ge_i64_e64 s9, s[18:19], s[6:7]
	s_delay_alu instid0(VALU_DEP_1)
	s_and_b32 vcc_lo, exec_lo, s9
	s_cbranch_vccnz .LBB76_12
; %bb.8:
	v_and_b32_e32 v1, 0xffff, v1
	v_cmp_lt_u32_e32 vcc_lo, 0x348, v0
	s_clause 0x1
	s_load_b128 s[20:23], s[0:1], 0x30
	s_load_b64 s[0:1], s[0:1], 0x40
	s_sub_u32 s6, s6, s14
	s_subb_u32 s7, s7, 0
	v_subrev_nc_u32_e32 v3, 29, v1
	v_cndmask_b32_e64 v9, 0, 1, vcc_lo
	v_cmp_gt_u32_e32 vcc_lo, 0x349, v0
	v_and_b32_e32 v2, 0xffff, v8
	s_sub_u32 s16, s18, s14
	s_subb_u32 s17, s19, 0
	s_mul_hi_u32 s9, s16, 0xd24
	v_cndmask_b32_e32 v1, v3, v1, vcc_lo
	s_mul_i32 s11, s17, 0xd24
	v_lshlrev_b32_e32 v7, 2, v0
	s_add_i32 s9, s9, s11
	s_delay_alu instid0(VALU_DEP_2) | instskip(SKIP_1) | instid1(VALU_DEP_1)
	v_cndmask_b32_e64 v1, v2, v1, s2
	v_add_co_u32 v2, s2, s18, v9
	v_add_co_ci_u32_e64 v3, null, s19, 0, s2
	s_mul_i32 s2, s16, 0xd24
	s_delay_alu instid0(VALU_DEP_2) | instskip(NEXT) | instid1(VALU_DEP_2)
	v_sub_co_u32 v2, vcc_lo, v2, s14
	v_subrev_co_ci_u32_e32 v3, vcc_lo, 0, v3, vcc_lo
	s_waitcnt lgkmcnt(0)
	s_add_u32 s2, s22, s2
	s_addc_u32 s9, s23, s9
	s_delay_alu instid0(VALU_DEP_1) | instskip(SKIP_1) | instid1(VALU_DEP_1)
	v_lshlrev_b64 v[4:5], 2, v[2:3]
	v_add_co_u32 v2, s2, s2, v7
	v_add_co_ci_u32_e64 v3, null, s9, 0, s2
	v_mov_b32_e32 v7, 0
	s_delay_alu instid0(VALU_DEP_4)
	v_add_co_u32 v4, vcc_lo, s20, v4
	v_add_co_ci_u32_e32 v5, vcc_lo, s21, v5, vcc_lo
	s_set_inst_prefetch_distance 0x1
	s_branch .LBB76_10
	.p2align	6
.LBB76_9:                               ;   in Loop: Header=BB76_10 Depth=1
	s_or_b32 exec_lo, exec_lo, s2
	s_add_u32 s16, s16, 1
	s_addc_u32 s17, s17, 0
	v_add_co_u32 v4, vcc_lo, v4, 4
	v_cmp_lt_i64_e64 s2, s[16:17], s[6:7]
	v_add_co_ci_u32_e32 v5, vcc_lo, 0, v5, vcc_lo
	s_delay_alu instid0(VALU_DEP_2)
	s_and_b32 vcc_lo, exec_lo, s2
	s_cbranch_vccz .LBB76_12
.LBB76_10:                              ; =>This Inner Loop Header: Depth=1
	v_add_co_u32 v10, s2, v9, s16
	s_delay_alu instid0(VALU_DEP_1) | instskip(SKIP_1) | instid1(VALU_DEP_1)
	v_add_co_ci_u32_e64 v11, null, 0, s17, s2
	s_mov_b32 s2, exec_lo
	v_cmpx_gt_i64_e64 s[6:7], v[10:11]
	s_cbranch_execz .LBB76_9
; %bb.11:                               ;   in Loop: Header=BB76_10 Depth=1
	global_load_b32 v10, v[4:5], off
	s_waitcnt vmcnt(0)
	v_subrev_nc_u32_e32 v12, s14, v10
	s_delay_alu instid0(VALU_DEP_1) | instskip(NEXT) | instid1(VALU_DEP_1)
	v_mad_u64_u32 v[10:11], null, v12, 29, v[1:2]
	v_ashrrev_i32_e32 v11, 31, v10
	s_delay_alu instid0(VALU_DEP_1) | instskip(NEXT) | instid1(VALU_DEP_1)
	v_lshlrev_b64 v[10:11], 2, v[10:11]
	v_add_co_u32 v10, vcc_lo, s0, v10
	s_delay_alu instid0(VALU_DEP_2)
	v_add_co_ci_u32_e32 v11, vcc_lo, s1, v11, vcc_lo
	global_load_b32 v12, v[2:3], off
	global_load_b32 v10, v[10:11], off
	v_add_co_u32 v2, vcc_lo, 0xd24, v2
	v_add_co_ci_u32_e32 v3, vcc_lo, 0, v3, vcc_lo
	s_waitcnt vmcnt(0)
	v_fmac_f32_e32 v7, v12, v10
	s_branch .LBB76_9
.LBB76_12:
	s_set_inst_prefetch_distance 0x2
	s_and_b32 vcc_lo, exec_lo, s3
	ds_store_b32 v6, v7
	s_waitcnt lgkmcnt(0)
	s_barrier
	buffer_gl0_inv
	s_cbranch_vccz .LBB76_24
; %bb.13:
	s_mov_b32 s0, exec_lo
	v_cmpx_gt_u16_e32 13, v8
	s_cbranch_execz .LBB76_15
; %bb.14:
	ds_load_2addr_b32 v[1:2], v6 offset1:16
	s_waitcnt lgkmcnt(0)
	v_add_f32_e32 v1, v2, v1
	ds_store_b32 v6, v1
.LBB76_15:
	s_or_b32 exec_lo, exec_lo, s0
	s_delay_alu instid0(SALU_CYCLE_1)
	s_mov_b32 s0, exec_lo
	s_waitcnt lgkmcnt(0)
	s_barrier
	buffer_gl0_inv
	v_cmpx_gt_u16_e32 8, v8
	s_cbranch_execz .LBB76_17
; %bb.16:
	ds_load_2addr_b32 v[1:2], v6 offset1:8
	s_waitcnt lgkmcnt(0)
	v_add_f32_e32 v1, v2, v1
	ds_store_b32 v6, v1
.LBB76_17:
	s_or_b32 exec_lo, exec_lo, s0
	s_delay_alu instid0(SALU_CYCLE_1)
	s_mov_b32 s0, exec_lo
	s_waitcnt lgkmcnt(0)
	s_barrier
	buffer_gl0_inv
	;; [unrolled: 14-line block ×3, first 2 shown]
	v_cmpx_gt_u16_e32 2, v8
	s_cbranch_execz .LBB76_21
; %bb.20:
	ds_load_2addr_b32 v[1:2], v6 offset1:2
	s_waitcnt lgkmcnt(0)
	v_add_f32_e32 v1, v2, v1
	ds_store_b32 v6, v1
.LBB76_21:
	s_or_b32 exec_lo, exec_lo, s0
	s_mov_b32 s1, 0
	s_mov_b32 s0, 0
	s_mov_b32 s2, exec_lo
	s_waitcnt lgkmcnt(0)
	s_barrier
	buffer_gl0_inv
                                        ; implicit-def: $vgpr1
                                        ; implicit-def: $vgpr2
	v_cmpx_gt_u32_e32 29, v0
	s_xor_b32 s2, exec_lo, s2
; %bb.22:
	v_mad_u32_u24 v1, v0, 29, 1
	v_mad_u32_u24 v2, 0x70, v0, v6
	s_mov_b32 s0, exec_lo
; %bb.23:
	s_or_b32 exec_lo, exec_lo, s2
	s_delay_alu instid0(SALU_CYCLE_1)
	s_and_b32 vcc_lo, exec_lo, s1
	s_cbranch_vccnz .LBB76_25
	s_branch .LBB76_36
.LBB76_24:
	s_mov_b32 s0, 0
                                        ; implicit-def: $vgpr1
                                        ; implicit-def: $vgpr2
	s_cbranch_execz .LBB76_36
.LBB76_25:
	s_mov_b32 s1, exec_lo
	v_cmpx_gt_u32_e32 0x179, v0
	s_cbranch_execz .LBB76_27
; %bb.26:
	ds_load_b32 v1, v6 offset:1856
	ds_load_b32 v2, v6
	s_waitcnt lgkmcnt(0)
	v_add_f32_e32 v1, v1, v2
	ds_store_b32 v6, v1
.LBB76_27:
	s_or_b32 exec_lo, exec_lo, s1
	s_delay_alu instid0(SALU_CYCLE_1)
	s_mov_b32 s1, exec_lo
	s_waitcnt lgkmcnt(0)
	s_barrier
	buffer_gl0_inv
	v_cmpx_gt_u32_e32 0xe8, v0
	s_cbranch_execz .LBB76_29
; %bb.28:
	ds_load_2addr_b32 v[1:2], v6 offset1:232
	s_waitcnt lgkmcnt(0)
	v_add_f32_e32 v1, v2, v1
	ds_store_b32 v6, v1
.LBB76_29:
	s_or_b32 exec_lo, exec_lo, s1
	s_delay_alu instid0(SALU_CYCLE_1)
	s_mov_b32 s1, exec_lo
	s_waitcnt lgkmcnt(0)
	s_barrier
	buffer_gl0_inv
	v_cmpx_gt_u32_e32 0x74, v0
	s_cbranch_execz .LBB76_31
; %bb.30:
	ds_load_2addr_b32 v[1:2], v6 offset1:116
	s_waitcnt lgkmcnt(0)
	v_add_f32_e32 v1, v2, v1
	ds_store_b32 v6, v1
.LBB76_31:
	s_or_b32 exec_lo, exec_lo, s1
	s_delay_alu instid0(SALU_CYCLE_1)
	s_mov_b32 s1, exec_lo
	s_waitcnt lgkmcnt(0)
	s_barrier
	buffer_gl0_inv
	v_cmpx_gt_u32_e32 58, v0
	s_cbranch_execz .LBB76_33
; %bb.32:
	ds_load_2addr_b32 v[1:2], v6 offset1:58
	s_waitcnt lgkmcnt(0)
	v_add_f32_e32 v1, v2, v1
	ds_store_b32 v6, v1
.LBB76_33:
	s_or_b32 exec_lo, exec_lo, s1
	s_delay_alu instid0(SALU_CYCLE_1)
	s_mov_b32 s1, exec_lo
	s_waitcnt lgkmcnt(0)
	buffer_gl0_inv
                                        ; implicit-def: $vgpr1
	v_cmpx_gt_u32_e32 29, v0
; %bb.34:
	v_add_nc_u32_e32 v1, 29, v0
	s_or_b32 s0, s0, exec_lo
                                        ; implicit-def: $vgpr7
; %bb.35:
	s_or_b32 exec_lo, exec_lo, s1
	v_mov_b32_e32 v2, v6
.LBB76_36:
	s_and_saveexec_b32 s1, s0
	s_cbranch_execz .LBB76_38
; %bb.37:
	v_lshlrev_b32_e32 v1, 2, v1
	ds_load_b32 v2, v2
	ds_load_b32 v1, v1
	s_waitcnt lgkmcnt(0)
	v_add_f32_e32 v7, v2, v1
.LBB76_38:
	s_or_b32 exec_lo, exec_lo, s1
	s_delay_alu instid0(SALU_CYCLE_1)
	s_mov_b32 s0, exec_lo
	v_cmpx_gt_u32_e32 29, v0
	s_cbranch_execz .LBB76_42
; %bb.39:
	v_cmp_eq_f32_e64 s0, s8, 0
	v_mul_f32_e32 v1, s12, v7
	s_delay_alu instid0(VALU_DEP_2)
	s_and_b32 vcc_lo, exec_lo, s0
	s_mov_b32 s0, 0
	s_cbranch_vccz .LBB76_43
; %bb.40:
	s_delay_alu instid0(VALU_DEP_1) | instskip(SKIP_1) | instid1(VALU_DEP_1)
	v_mad_u64_u32 v[2:3], null, s10, 29, v[0:1]
	v_mov_b32_e32 v3, 0
	v_lshlrev_b64 v[2:3], 2, v[2:3]
	s_delay_alu instid0(VALU_DEP_1) | instskip(NEXT) | instid1(VALU_DEP_2)
	v_add_co_u32 v2, vcc_lo, s4, v2
	v_add_co_ci_u32_e32 v3, vcc_lo, s5, v3, vcc_lo
	global_store_b32 v[2:3], v1, off
	s_and_not1_b32 vcc_lo, exec_lo, s0
	s_cbranch_vccnz .LBB76_42
.LBB76_41:
	v_mad_u64_u32 v[2:3], null, s10, 29, v[0:1]
	v_mov_b32_e32 v3, 0
	s_delay_alu instid0(VALU_DEP_1) | instskip(NEXT) | instid1(VALU_DEP_1)
	v_lshlrev_b64 v[2:3], 2, v[2:3]
	v_add_co_u32 v2, vcc_lo, s4, v2
	s_delay_alu instid0(VALU_DEP_2)
	v_add_co_ci_u32_e32 v3, vcc_lo, s5, v3, vcc_lo
	global_load_b32 v0, v[2:3], off
	s_waitcnt vmcnt(0)
	v_fmac_f32_e32 v1, s8, v0
	global_store_b32 v[2:3], v1, off
.LBB76_42:
	s_nop 0
	s_sendmsg sendmsg(MSG_DEALLOC_VGPRS)
	s_endpgm
.LBB76_43:
	s_branch .LBB76_41
	.section	.rodata,"a",@progbits
	.p2align	6, 0x0
	.amdhsa_kernel _ZN9rocsparseL20bsrxmvn_17_32_kernelILj29EflifffEEvT2_20rocsparse_direction_NS_24const_host_device_scalarIT0_EES1_PKS1_PKT1_SA_S7_PKT3_PKT4_S5_PT5_21rocsparse_index_base_b
		.amdhsa_group_segment_fixed_size 3364
		.amdhsa_private_segment_fixed_size 0
		.amdhsa_kernarg_size 96
		.amdhsa_user_sgpr_count 15
		.amdhsa_user_sgpr_dispatch_ptr 0
		.amdhsa_user_sgpr_queue_ptr 0
		.amdhsa_user_sgpr_kernarg_segment_ptr 1
		.amdhsa_user_sgpr_dispatch_id 0
		.amdhsa_user_sgpr_private_segment_size 0
		.amdhsa_wavefront_size32 1
		.amdhsa_uses_dynamic_stack 0
		.amdhsa_enable_private_segment 0
		.amdhsa_system_sgpr_workgroup_id_x 1
		.amdhsa_system_sgpr_workgroup_id_y 0
		.amdhsa_system_sgpr_workgroup_id_z 0
		.amdhsa_system_sgpr_workgroup_info 0
		.amdhsa_system_vgpr_workitem_id 0
		.amdhsa_next_free_vgpr 13
		.amdhsa_next_free_sgpr 24
		.amdhsa_reserve_vcc 1
		.amdhsa_float_round_mode_32 0
		.amdhsa_float_round_mode_16_64 0
		.amdhsa_float_denorm_mode_32 3
		.amdhsa_float_denorm_mode_16_64 3
		.amdhsa_dx10_clamp 1
		.amdhsa_ieee_mode 1
		.amdhsa_fp16_overflow 0
		.amdhsa_workgroup_processor_mode 1
		.amdhsa_memory_ordered 1
		.amdhsa_forward_progress 0
		.amdhsa_shared_vgpr_count 0
		.amdhsa_exception_fp_ieee_invalid_op 0
		.amdhsa_exception_fp_denorm_src 0
		.amdhsa_exception_fp_ieee_div_zero 0
		.amdhsa_exception_fp_ieee_overflow 0
		.amdhsa_exception_fp_ieee_underflow 0
		.amdhsa_exception_fp_ieee_inexact 0
		.amdhsa_exception_int_div_zero 0
	.end_amdhsa_kernel
	.section	.text._ZN9rocsparseL20bsrxmvn_17_32_kernelILj29EflifffEEvT2_20rocsparse_direction_NS_24const_host_device_scalarIT0_EES1_PKS1_PKT1_SA_S7_PKT3_PKT4_S5_PT5_21rocsparse_index_base_b,"axG",@progbits,_ZN9rocsparseL20bsrxmvn_17_32_kernelILj29EflifffEEvT2_20rocsparse_direction_NS_24const_host_device_scalarIT0_EES1_PKS1_PKT1_SA_S7_PKT3_PKT4_S5_PT5_21rocsparse_index_base_b,comdat
.Lfunc_end76:
	.size	_ZN9rocsparseL20bsrxmvn_17_32_kernelILj29EflifffEEvT2_20rocsparse_direction_NS_24const_host_device_scalarIT0_EES1_PKS1_PKT1_SA_S7_PKT3_PKT4_S5_PT5_21rocsparse_index_base_b, .Lfunc_end76-_ZN9rocsparseL20bsrxmvn_17_32_kernelILj29EflifffEEvT2_20rocsparse_direction_NS_24const_host_device_scalarIT0_EES1_PKS1_PKT1_SA_S7_PKT3_PKT4_S5_PT5_21rocsparse_index_base_b
                                        ; -- End function
	.section	.AMDGPU.csdata,"",@progbits
; Kernel info:
; codeLenInByte = 1612
; NumSgprs: 26
; NumVgprs: 13
; ScratchSize: 0
; MemoryBound: 0
; FloatMode: 240
; IeeeMode: 1
; LDSByteSize: 3364 bytes/workgroup (compile time only)
; SGPRBlocks: 3
; VGPRBlocks: 1
; NumSGPRsForWavesPerEU: 26
; NumVGPRsForWavesPerEU: 13
; Occupancy: 14
; WaveLimiterHint : 1
; COMPUTE_PGM_RSRC2:SCRATCH_EN: 0
; COMPUTE_PGM_RSRC2:USER_SGPR: 15
; COMPUTE_PGM_RSRC2:TRAP_HANDLER: 0
; COMPUTE_PGM_RSRC2:TGID_X_EN: 1
; COMPUTE_PGM_RSRC2:TGID_Y_EN: 0
; COMPUTE_PGM_RSRC2:TGID_Z_EN: 0
; COMPUTE_PGM_RSRC2:TIDIG_COMP_CNT: 0
	.section	.text._ZN9rocsparseL20bsrxmvn_17_32_kernelILj30EflifffEEvT2_20rocsparse_direction_NS_24const_host_device_scalarIT0_EES1_PKS1_PKT1_SA_S7_PKT3_PKT4_S5_PT5_21rocsparse_index_base_b,"axG",@progbits,_ZN9rocsparseL20bsrxmvn_17_32_kernelILj30EflifffEEvT2_20rocsparse_direction_NS_24const_host_device_scalarIT0_EES1_PKS1_PKT1_SA_S7_PKT3_PKT4_S5_PT5_21rocsparse_index_base_b,comdat
	.globl	_ZN9rocsparseL20bsrxmvn_17_32_kernelILj30EflifffEEvT2_20rocsparse_direction_NS_24const_host_device_scalarIT0_EES1_PKS1_PKT1_SA_S7_PKT3_PKT4_S5_PT5_21rocsparse_index_base_b ; -- Begin function _ZN9rocsparseL20bsrxmvn_17_32_kernelILj30EflifffEEvT2_20rocsparse_direction_NS_24const_host_device_scalarIT0_EES1_PKS1_PKT1_SA_S7_PKT3_PKT4_S5_PT5_21rocsparse_index_base_b
	.p2align	8
	.type	_ZN9rocsparseL20bsrxmvn_17_32_kernelILj30EflifffEEvT2_20rocsparse_direction_NS_24const_host_device_scalarIT0_EES1_PKS1_PKT1_SA_S7_PKT3_PKT4_S5_PT5_21rocsparse_index_base_b,@function
_ZN9rocsparseL20bsrxmvn_17_32_kernelILj30EflifffEEvT2_20rocsparse_direction_NS_24const_host_device_scalarIT0_EES1_PKS1_PKT1_SA_S7_PKT3_PKT4_S5_PT5_21rocsparse_index_base_b: ; @_ZN9rocsparseL20bsrxmvn_17_32_kernelILj30EflifffEEvT2_20rocsparse_direction_NS_24const_host_device_scalarIT0_EES1_PKS1_PKT1_SA_S7_PKT3_PKT4_S5_PT5_21rocsparse_index_base_b
; %bb.0:
	s_mov_b32 s10, s15
	s_clause 0x2
	s_load_b64 s[14:15], s[0:1], 0x58
	s_load_b64 s[12:13], s[0:1], 0x8
	;; [unrolled: 1-line block ×3, first 2 shown]
	s_waitcnt lgkmcnt(0)
	s_bitcmp1_b32 s15, 0
	s_cselect_b32 s2, -1, 0
	s_delay_alu instid0(SALU_CYCLE_1)
	s_and_b32 vcc_lo, exec_lo, s2
	s_xor_b32 s2, s2, -1
	s_cbranch_vccnz .LBB77_2
; %bb.1:
	s_load_b32 s12, s[12:13], 0x0
.LBB77_2:
	s_and_not1_b32 vcc_lo, exec_lo, s2
	s_cbranch_vccnz .LBB77_4
; %bb.3:
	s_load_b32 s8, s[8:9], 0x0
.LBB77_4:
	s_waitcnt lgkmcnt(0)
	v_cmp_neq_f32_e64 s2, s12, 0
	v_cmp_neq_f32_e64 s3, s8, 1.0
	s_delay_alu instid0(VALU_DEP_1) | instskip(NEXT) | instid1(SALU_CYCLE_1)
	s_or_b32 s2, s2, s3
	s_and_not1_b32 vcc_lo, exec_lo, s2
	s_cbranch_vccnz .LBB77_42
; %bb.5:
	s_clause 0x1
	s_load_b128 s[4:7], s[0:1], 0x18
	s_load_b64 s[16:17], s[0:1], 0x28
	s_waitcnt lgkmcnt(0)
	s_cmp_eq_u64 s[4:5], 0
	s_cbranch_scc1 .LBB77_7
; %bb.6:
	s_ashr_i32 s11, s10, 31
	s_delay_alu instid0(SALU_CYCLE_1) | instskip(NEXT) | instid1(SALU_CYCLE_1)
	s_lshl_b64 s[2:3], s[10:11], 2
	s_add_u32 s2, s4, s2
	s_addc_u32 s3, s5, s3
	s_load_b32 s2, s[2:3], 0x0
	s_waitcnt lgkmcnt(0)
	s_sub_i32 s10, s2, s14
.LBB77_7:
	s_load_b32 s3, s[0:1], 0x4
	v_mul_u32_u24_e32 v1, 0x889, v0
	v_dual_mov_b32 v7, 0 :: v_dual_lshlrev_b32 v6, 2, v0
	s_delay_alu instid0(VALU_DEP_2) | instskip(NEXT) | instid1(VALU_DEP_1)
	v_lshrrev_b32_e32 v1, 16, v1
	v_mul_lo_u16 v2, v1, 30
	s_delay_alu instid0(VALU_DEP_1)
	v_sub_nc_u16 v8, v0, v2
	s_waitcnt lgkmcnt(0)
	s_cmp_eq_u32 s3, 1
	s_cselect_b32 s2, -1, 0
	s_cmp_lg_u32 s3, 1
	s_cselect_b32 s3, -1, 0
	s_ashr_i32 s11, s10, 31
	s_delay_alu instid0(SALU_CYCLE_1) | instskip(NEXT) | instid1(SALU_CYCLE_1)
	s_lshl_b64 s[4:5], s[10:11], 3
	s_add_u32 s6, s6, s4
	s_addc_u32 s7, s7, s5
	s_add_u32 s9, s6, 8
	s_addc_u32 s11, s7, 0
	;; [unrolled: 2-line block ×3, first 2 shown]
	s_cmp_eq_u64 s[16:17], 0
	s_cselect_b32 s5, s11, s5
	s_cselect_b32 s4, s9, s4
	s_load_b64 s[18:19], s[6:7], 0x0
	s_load_b64 s[6:7], s[4:5], 0x0
	;; [unrolled: 1-line block ×3, first 2 shown]
	s_waitcnt lgkmcnt(0)
	v_cmp_ge_i64_e64 s9, s[18:19], s[6:7]
	s_delay_alu instid0(VALU_DEP_1)
	s_and_b32 vcc_lo, exec_lo, s9
	s_cbranch_vccnz .LBB77_12
; %bb.8:
	v_and_b32_e32 v1, 0xffff, v1
	v_cmp_lt_u32_e32 vcc_lo, 0x383, v0
	s_clause 0x1
	s_load_b128 s[20:23], s[0:1], 0x30
	s_load_b64 s[0:1], s[0:1], 0x40
	s_sub_u32 s6, s6, s14
	s_subb_u32 s7, s7, 0
	v_subrev_nc_u32_e32 v3, 30, v1
	v_cndmask_b32_e64 v9, 0, 1, vcc_lo
	v_cmp_gt_u32_e32 vcc_lo, 0x384, v0
	v_and_b32_e32 v2, 0xffff, v8
	s_sub_u32 s16, s18, s14
	s_subb_u32 s17, s19, 0
	s_mul_hi_u32 s9, s16, 0xe10
	v_cndmask_b32_e32 v1, v3, v1, vcc_lo
	s_mul_i32 s11, s17, 0xe10
	v_lshlrev_b32_e32 v7, 2, v0
	s_add_i32 s9, s9, s11
	s_delay_alu instid0(VALU_DEP_2) | instskip(SKIP_1) | instid1(VALU_DEP_1)
	v_cndmask_b32_e64 v1, v2, v1, s2
	v_add_co_u32 v2, s2, s18, v9
	v_add_co_ci_u32_e64 v3, null, s19, 0, s2
	s_mul_i32 s2, s16, 0xe10
	s_delay_alu instid0(VALU_DEP_2) | instskip(NEXT) | instid1(VALU_DEP_2)
	v_sub_co_u32 v2, vcc_lo, v2, s14
	v_subrev_co_ci_u32_e32 v3, vcc_lo, 0, v3, vcc_lo
	s_waitcnt lgkmcnt(0)
	s_add_u32 s2, s22, s2
	s_addc_u32 s9, s23, s9
	s_delay_alu instid0(VALU_DEP_1) | instskip(SKIP_1) | instid1(VALU_DEP_1)
	v_lshlrev_b64 v[4:5], 2, v[2:3]
	v_add_co_u32 v2, s2, s2, v7
	v_add_co_ci_u32_e64 v3, null, s9, 0, s2
	v_mov_b32_e32 v7, 0
	s_delay_alu instid0(VALU_DEP_4)
	v_add_co_u32 v4, vcc_lo, s20, v4
	v_add_co_ci_u32_e32 v5, vcc_lo, s21, v5, vcc_lo
	s_set_inst_prefetch_distance 0x1
	s_branch .LBB77_10
	.p2align	6
.LBB77_9:                               ;   in Loop: Header=BB77_10 Depth=1
	s_or_b32 exec_lo, exec_lo, s2
	s_add_u32 s16, s16, 1
	s_addc_u32 s17, s17, 0
	v_add_co_u32 v4, vcc_lo, v4, 4
	v_cmp_lt_i64_e64 s2, s[16:17], s[6:7]
	v_add_co_ci_u32_e32 v5, vcc_lo, 0, v5, vcc_lo
	s_delay_alu instid0(VALU_DEP_2)
	s_and_b32 vcc_lo, exec_lo, s2
	s_cbranch_vccz .LBB77_12
.LBB77_10:                              ; =>This Inner Loop Header: Depth=1
	v_add_co_u32 v10, s2, v9, s16
	s_delay_alu instid0(VALU_DEP_1) | instskip(SKIP_1) | instid1(VALU_DEP_1)
	v_add_co_ci_u32_e64 v11, null, 0, s17, s2
	s_mov_b32 s2, exec_lo
	v_cmpx_gt_i64_e64 s[6:7], v[10:11]
	s_cbranch_execz .LBB77_9
; %bb.11:                               ;   in Loop: Header=BB77_10 Depth=1
	global_load_b32 v10, v[4:5], off
	s_waitcnt vmcnt(0)
	v_subrev_nc_u32_e32 v12, s14, v10
	s_delay_alu instid0(VALU_DEP_1) | instskip(NEXT) | instid1(VALU_DEP_1)
	v_mad_u64_u32 v[10:11], null, v12, 30, v[1:2]
	v_ashrrev_i32_e32 v11, 31, v10
	s_delay_alu instid0(VALU_DEP_1) | instskip(NEXT) | instid1(VALU_DEP_1)
	v_lshlrev_b64 v[10:11], 2, v[10:11]
	v_add_co_u32 v10, vcc_lo, s0, v10
	s_delay_alu instid0(VALU_DEP_2)
	v_add_co_ci_u32_e32 v11, vcc_lo, s1, v11, vcc_lo
	global_load_b32 v12, v[2:3], off
	global_load_b32 v10, v[10:11], off
	v_add_co_u32 v2, vcc_lo, 0xe10, v2
	v_add_co_ci_u32_e32 v3, vcc_lo, 0, v3, vcc_lo
	s_waitcnt vmcnt(0)
	v_fmac_f32_e32 v7, v12, v10
	s_branch .LBB77_9
.LBB77_12:
	s_set_inst_prefetch_distance 0x2
	s_and_b32 vcc_lo, exec_lo, s3
	ds_store_b32 v6, v7
	s_waitcnt lgkmcnt(0)
	s_barrier
	buffer_gl0_inv
	s_cbranch_vccz .LBB77_24
; %bb.13:
	s_mov_b32 s0, exec_lo
	v_cmpx_gt_u16_e32 14, v8
	s_cbranch_execz .LBB77_15
; %bb.14:
	ds_load_2addr_b32 v[1:2], v6 offset1:16
	s_waitcnt lgkmcnt(0)
	v_add_f32_e32 v1, v2, v1
	ds_store_b32 v6, v1
.LBB77_15:
	s_or_b32 exec_lo, exec_lo, s0
	s_delay_alu instid0(SALU_CYCLE_1)
	s_mov_b32 s0, exec_lo
	s_waitcnt lgkmcnt(0)
	s_barrier
	buffer_gl0_inv
	v_cmpx_gt_u16_e32 8, v8
	s_cbranch_execz .LBB77_17
; %bb.16:
	ds_load_2addr_b32 v[1:2], v6 offset1:8
	s_waitcnt lgkmcnt(0)
	v_add_f32_e32 v1, v2, v1
	ds_store_b32 v6, v1
.LBB77_17:
	s_or_b32 exec_lo, exec_lo, s0
	s_delay_alu instid0(SALU_CYCLE_1)
	s_mov_b32 s0, exec_lo
	s_waitcnt lgkmcnt(0)
	s_barrier
	buffer_gl0_inv
	;; [unrolled: 14-line block ×3, first 2 shown]
	v_cmpx_gt_u16_e32 2, v8
	s_cbranch_execz .LBB77_21
; %bb.20:
	ds_load_2addr_b32 v[1:2], v6 offset1:2
	s_waitcnt lgkmcnt(0)
	v_add_f32_e32 v1, v2, v1
	ds_store_b32 v6, v1
.LBB77_21:
	s_or_b32 exec_lo, exec_lo, s0
	s_mov_b32 s1, 0
	s_mov_b32 s0, 0
	s_mov_b32 s2, exec_lo
	s_waitcnt lgkmcnt(0)
	s_barrier
	buffer_gl0_inv
                                        ; implicit-def: $vgpr1
                                        ; implicit-def: $vgpr2
	v_cmpx_gt_u32_e32 30, v0
	s_xor_b32 s2, exec_lo, s2
; %bb.22:
	v_mul_u32_u24_e32 v1, 30, v0
	v_mad_u32_u24 v2, 0x74, v0, v6
	s_mov_b32 s0, exec_lo
	s_delay_alu instid0(VALU_DEP_2)
	v_or_b32_e32 v1, 1, v1
; %bb.23:
	s_or_b32 exec_lo, exec_lo, s2
	s_delay_alu instid0(SALU_CYCLE_1)
	s_and_b32 vcc_lo, exec_lo, s1
	s_cbranch_vccnz .LBB77_25
	s_branch .LBB77_36
.LBB77_24:
	s_mov_b32 s0, 0
                                        ; implicit-def: $vgpr1
                                        ; implicit-def: $vgpr2
	s_cbranch_execz .LBB77_36
.LBB77_25:
	s_mov_b32 s1, exec_lo
	v_cmpx_gt_u32_e32 0x1a4, v0
	s_cbranch_execz .LBB77_27
; %bb.26:
	ds_load_b32 v1, v6 offset:1920
	ds_load_b32 v2, v6
	s_waitcnt lgkmcnt(0)
	v_add_f32_e32 v1, v1, v2
	ds_store_b32 v6, v1
.LBB77_27:
	s_or_b32 exec_lo, exec_lo, s1
	s_delay_alu instid0(SALU_CYCLE_1)
	s_mov_b32 s1, exec_lo
	s_waitcnt lgkmcnt(0)
	s_barrier
	buffer_gl0_inv
	v_cmpx_gt_u32_e32 0xf0, v0
	s_cbranch_execz .LBB77_29
; %bb.28:
	ds_load_2addr_b32 v[1:2], v6 offset1:240
	s_waitcnt lgkmcnt(0)
	v_add_f32_e32 v1, v2, v1
	ds_store_b32 v6, v1
.LBB77_29:
	s_or_b32 exec_lo, exec_lo, s1
	s_delay_alu instid0(SALU_CYCLE_1)
	s_mov_b32 s1, exec_lo
	s_waitcnt lgkmcnt(0)
	s_barrier
	buffer_gl0_inv
	v_cmpx_gt_u32_e32 0x78, v0
	s_cbranch_execz .LBB77_31
; %bb.30:
	ds_load_2addr_b32 v[1:2], v6 offset1:120
	s_waitcnt lgkmcnt(0)
	v_add_f32_e32 v1, v2, v1
	ds_store_b32 v6, v1
.LBB77_31:
	;; [unrolled: 14-line block ×3, first 2 shown]
	s_or_b32 exec_lo, exec_lo, s1
	s_delay_alu instid0(SALU_CYCLE_1)
	s_mov_b32 s1, exec_lo
	s_waitcnt lgkmcnt(0)
	buffer_gl0_inv
                                        ; implicit-def: $vgpr1
	v_cmpx_gt_u32_e32 30, v0
; %bb.34:
	v_add_nc_u32_e32 v1, 30, v0
	s_or_b32 s0, s0, exec_lo
                                        ; implicit-def: $vgpr7
; %bb.35:
	s_or_b32 exec_lo, exec_lo, s1
	v_mov_b32_e32 v2, v6
.LBB77_36:
	s_and_saveexec_b32 s1, s0
	s_cbranch_execz .LBB77_38
; %bb.37:
	v_lshlrev_b32_e32 v1, 2, v1
	ds_load_b32 v2, v2
	ds_load_b32 v1, v1
	s_waitcnt lgkmcnt(0)
	v_add_f32_e32 v7, v2, v1
.LBB77_38:
	s_or_b32 exec_lo, exec_lo, s1
	s_delay_alu instid0(SALU_CYCLE_1)
	s_mov_b32 s0, exec_lo
	v_cmpx_gt_u32_e32 30, v0
	s_cbranch_execz .LBB77_42
; %bb.39:
	v_cmp_eq_f32_e64 s0, s8, 0
	v_mul_f32_e32 v1, s12, v7
	s_delay_alu instid0(VALU_DEP_2)
	s_and_b32 vcc_lo, exec_lo, s0
	s_mov_b32 s0, 0
	s_cbranch_vccz .LBB77_43
; %bb.40:
	s_delay_alu instid0(VALU_DEP_1) | instskip(SKIP_1) | instid1(VALU_DEP_1)
	v_mad_u64_u32 v[2:3], null, s10, 30, v[0:1]
	v_mov_b32_e32 v3, 0
	v_lshlrev_b64 v[2:3], 2, v[2:3]
	s_delay_alu instid0(VALU_DEP_1) | instskip(NEXT) | instid1(VALU_DEP_2)
	v_add_co_u32 v2, vcc_lo, s4, v2
	v_add_co_ci_u32_e32 v3, vcc_lo, s5, v3, vcc_lo
	global_store_b32 v[2:3], v1, off
	s_and_not1_b32 vcc_lo, exec_lo, s0
	s_cbranch_vccnz .LBB77_42
.LBB77_41:
	v_mad_u64_u32 v[2:3], null, s10, 30, v[0:1]
	v_mov_b32_e32 v3, 0
	s_delay_alu instid0(VALU_DEP_1) | instskip(NEXT) | instid1(VALU_DEP_1)
	v_lshlrev_b64 v[2:3], 2, v[2:3]
	v_add_co_u32 v2, vcc_lo, s4, v2
	s_delay_alu instid0(VALU_DEP_2)
	v_add_co_ci_u32_e32 v3, vcc_lo, s5, v3, vcc_lo
	global_load_b32 v0, v[2:3], off
	s_waitcnt vmcnt(0)
	v_fmac_f32_e32 v1, s8, v0
	global_store_b32 v[2:3], v1, off
.LBB77_42:
	s_nop 0
	s_sendmsg sendmsg(MSG_DEALLOC_VGPRS)
	s_endpgm
.LBB77_43:
	s_branch .LBB77_41
	.section	.rodata,"a",@progbits
	.p2align	6, 0x0
	.amdhsa_kernel _ZN9rocsparseL20bsrxmvn_17_32_kernelILj30EflifffEEvT2_20rocsparse_direction_NS_24const_host_device_scalarIT0_EES1_PKS1_PKT1_SA_S7_PKT3_PKT4_S5_PT5_21rocsparse_index_base_b
		.amdhsa_group_segment_fixed_size 3600
		.amdhsa_private_segment_fixed_size 0
		.amdhsa_kernarg_size 96
		.amdhsa_user_sgpr_count 15
		.amdhsa_user_sgpr_dispatch_ptr 0
		.amdhsa_user_sgpr_queue_ptr 0
		.amdhsa_user_sgpr_kernarg_segment_ptr 1
		.amdhsa_user_sgpr_dispatch_id 0
		.amdhsa_user_sgpr_private_segment_size 0
		.amdhsa_wavefront_size32 1
		.amdhsa_uses_dynamic_stack 0
		.amdhsa_enable_private_segment 0
		.amdhsa_system_sgpr_workgroup_id_x 1
		.amdhsa_system_sgpr_workgroup_id_y 0
		.amdhsa_system_sgpr_workgroup_id_z 0
		.amdhsa_system_sgpr_workgroup_info 0
		.amdhsa_system_vgpr_workitem_id 0
		.amdhsa_next_free_vgpr 13
		.amdhsa_next_free_sgpr 24
		.amdhsa_reserve_vcc 1
		.amdhsa_float_round_mode_32 0
		.amdhsa_float_round_mode_16_64 0
		.amdhsa_float_denorm_mode_32 3
		.amdhsa_float_denorm_mode_16_64 3
		.amdhsa_dx10_clamp 1
		.amdhsa_ieee_mode 1
		.amdhsa_fp16_overflow 0
		.amdhsa_workgroup_processor_mode 1
		.amdhsa_memory_ordered 1
		.amdhsa_forward_progress 0
		.amdhsa_shared_vgpr_count 0
		.amdhsa_exception_fp_ieee_invalid_op 0
		.amdhsa_exception_fp_denorm_src 0
		.amdhsa_exception_fp_ieee_div_zero 0
		.amdhsa_exception_fp_ieee_overflow 0
		.amdhsa_exception_fp_ieee_underflow 0
		.amdhsa_exception_fp_ieee_inexact 0
		.amdhsa_exception_int_div_zero 0
	.end_amdhsa_kernel
	.section	.text._ZN9rocsparseL20bsrxmvn_17_32_kernelILj30EflifffEEvT2_20rocsparse_direction_NS_24const_host_device_scalarIT0_EES1_PKS1_PKT1_SA_S7_PKT3_PKT4_S5_PT5_21rocsparse_index_base_b,"axG",@progbits,_ZN9rocsparseL20bsrxmvn_17_32_kernelILj30EflifffEEvT2_20rocsparse_direction_NS_24const_host_device_scalarIT0_EES1_PKS1_PKT1_SA_S7_PKT3_PKT4_S5_PT5_21rocsparse_index_base_b,comdat
.Lfunc_end77:
	.size	_ZN9rocsparseL20bsrxmvn_17_32_kernelILj30EflifffEEvT2_20rocsparse_direction_NS_24const_host_device_scalarIT0_EES1_PKS1_PKT1_SA_S7_PKT3_PKT4_S5_PT5_21rocsparse_index_base_b, .Lfunc_end77-_ZN9rocsparseL20bsrxmvn_17_32_kernelILj30EflifffEEvT2_20rocsparse_direction_NS_24const_host_device_scalarIT0_EES1_PKS1_PKT1_SA_S7_PKT3_PKT4_S5_PT5_21rocsparse_index_base_b
                                        ; -- End function
	.section	.AMDGPU.csdata,"",@progbits
; Kernel info:
; codeLenInByte = 1616
; NumSgprs: 26
; NumVgprs: 13
; ScratchSize: 0
; MemoryBound: 0
; FloatMode: 240
; IeeeMode: 1
; LDSByteSize: 3600 bytes/workgroup (compile time only)
; SGPRBlocks: 3
; VGPRBlocks: 1
; NumSGPRsForWavesPerEU: 26
; NumVGPRsForWavesPerEU: 13
; Occupancy: 15
; WaveLimiterHint : 1
; COMPUTE_PGM_RSRC2:SCRATCH_EN: 0
; COMPUTE_PGM_RSRC2:USER_SGPR: 15
; COMPUTE_PGM_RSRC2:TRAP_HANDLER: 0
; COMPUTE_PGM_RSRC2:TGID_X_EN: 1
; COMPUTE_PGM_RSRC2:TGID_Y_EN: 0
; COMPUTE_PGM_RSRC2:TGID_Z_EN: 0
; COMPUTE_PGM_RSRC2:TIDIG_COMP_CNT: 0
	.section	.text._ZN9rocsparseL20bsrxmvn_17_32_kernelILj31EflifffEEvT2_20rocsparse_direction_NS_24const_host_device_scalarIT0_EES1_PKS1_PKT1_SA_S7_PKT3_PKT4_S5_PT5_21rocsparse_index_base_b,"axG",@progbits,_ZN9rocsparseL20bsrxmvn_17_32_kernelILj31EflifffEEvT2_20rocsparse_direction_NS_24const_host_device_scalarIT0_EES1_PKS1_PKT1_SA_S7_PKT3_PKT4_S5_PT5_21rocsparse_index_base_b,comdat
	.globl	_ZN9rocsparseL20bsrxmvn_17_32_kernelILj31EflifffEEvT2_20rocsparse_direction_NS_24const_host_device_scalarIT0_EES1_PKS1_PKT1_SA_S7_PKT3_PKT4_S5_PT5_21rocsparse_index_base_b ; -- Begin function _ZN9rocsparseL20bsrxmvn_17_32_kernelILj31EflifffEEvT2_20rocsparse_direction_NS_24const_host_device_scalarIT0_EES1_PKS1_PKT1_SA_S7_PKT3_PKT4_S5_PT5_21rocsparse_index_base_b
	.p2align	8
	.type	_ZN9rocsparseL20bsrxmvn_17_32_kernelILj31EflifffEEvT2_20rocsparse_direction_NS_24const_host_device_scalarIT0_EES1_PKS1_PKT1_SA_S7_PKT3_PKT4_S5_PT5_21rocsparse_index_base_b,@function
_ZN9rocsparseL20bsrxmvn_17_32_kernelILj31EflifffEEvT2_20rocsparse_direction_NS_24const_host_device_scalarIT0_EES1_PKS1_PKT1_SA_S7_PKT3_PKT4_S5_PT5_21rocsparse_index_base_b: ; @_ZN9rocsparseL20bsrxmvn_17_32_kernelILj31EflifffEEvT2_20rocsparse_direction_NS_24const_host_device_scalarIT0_EES1_PKS1_PKT1_SA_S7_PKT3_PKT4_S5_PT5_21rocsparse_index_base_b
; %bb.0:
	s_mov_b32 s10, s15
	s_clause 0x2
	s_load_b64 s[14:15], s[0:1], 0x58
	s_load_b64 s[12:13], s[0:1], 0x8
	;; [unrolled: 1-line block ×3, first 2 shown]
	s_waitcnt lgkmcnt(0)
	s_bitcmp1_b32 s15, 0
	s_cselect_b32 s2, -1, 0
	s_delay_alu instid0(SALU_CYCLE_1)
	s_and_b32 vcc_lo, exec_lo, s2
	s_xor_b32 s2, s2, -1
	s_cbranch_vccnz .LBB78_2
; %bb.1:
	s_load_b32 s12, s[12:13], 0x0
.LBB78_2:
	s_and_not1_b32 vcc_lo, exec_lo, s2
	s_cbranch_vccnz .LBB78_4
; %bb.3:
	s_load_b32 s8, s[8:9], 0x0
.LBB78_4:
	s_waitcnt lgkmcnt(0)
	v_cmp_neq_f32_e64 s2, s12, 0
	v_cmp_neq_f32_e64 s3, s8, 1.0
	s_delay_alu instid0(VALU_DEP_1) | instskip(NEXT) | instid1(SALU_CYCLE_1)
	s_or_b32 s2, s2, s3
	s_and_not1_b32 vcc_lo, exec_lo, s2
	s_cbranch_vccnz .LBB78_42
; %bb.5:
	s_clause 0x1
	s_load_b128 s[4:7], s[0:1], 0x18
	s_load_b64 s[16:17], s[0:1], 0x28
	s_waitcnt lgkmcnt(0)
	s_cmp_eq_u64 s[4:5], 0
	s_cbranch_scc1 .LBB78_7
; %bb.6:
	s_ashr_i32 s11, s10, 31
	s_delay_alu instid0(SALU_CYCLE_1) | instskip(NEXT) | instid1(SALU_CYCLE_1)
	s_lshl_b64 s[2:3], s[10:11], 2
	s_add_u32 s2, s4, s2
	s_addc_u32 s3, s5, s3
	s_load_b32 s2, s[2:3], 0x0
	s_waitcnt lgkmcnt(0)
	s_sub_i32 s10, s2, s14
.LBB78_7:
	s_load_b32 s3, s[0:1], 0x4
	v_mul_u32_u24_e32 v1, 0x843, v0
	v_dual_mov_b32 v7, 0 :: v_dual_lshlrev_b32 v6, 2, v0
	s_delay_alu instid0(VALU_DEP_2) | instskip(NEXT) | instid1(VALU_DEP_1)
	v_lshrrev_b32_e32 v1, 16, v1
	v_mul_lo_u16 v2, v1, 31
	s_delay_alu instid0(VALU_DEP_1)
	v_sub_nc_u16 v8, v0, v2
	s_waitcnt lgkmcnt(0)
	s_cmp_eq_u32 s3, 1
	s_cselect_b32 s2, -1, 0
	s_cmp_lg_u32 s3, 1
	s_cselect_b32 s3, -1, 0
	s_ashr_i32 s11, s10, 31
	s_delay_alu instid0(SALU_CYCLE_1) | instskip(NEXT) | instid1(SALU_CYCLE_1)
	s_lshl_b64 s[4:5], s[10:11], 3
	s_add_u32 s6, s6, s4
	s_addc_u32 s7, s7, s5
	s_add_u32 s9, s6, 8
	s_addc_u32 s11, s7, 0
	s_add_u32 s4, s16, s4
	s_addc_u32 s5, s17, s5
	s_cmp_eq_u64 s[16:17], 0
	s_cselect_b32 s5, s11, s5
	s_cselect_b32 s4, s9, s4
	s_load_b64 s[18:19], s[6:7], 0x0
	s_load_b64 s[6:7], s[4:5], 0x0
	;; [unrolled: 1-line block ×3, first 2 shown]
	s_waitcnt lgkmcnt(0)
	v_cmp_ge_i64_e64 s9, s[18:19], s[6:7]
	s_delay_alu instid0(VALU_DEP_1)
	s_and_b32 vcc_lo, exec_lo, s9
	s_cbranch_vccnz .LBB78_12
; %bb.8:
	v_and_b32_e32 v1, 0xffff, v1
	v_cmp_lt_u32_e32 vcc_lo, 0x3c0, v0
	s_clause 0x1
	s_load_b128 s[20:23], s[0:1], 0x30
	s_load_b64 s[0:1], s[0:1], 0x40
	s_sub_u32 s6, s6, s14
	s_subb_u32 s7, s7, 0
	v_subrev_nc_u32_e32 v3, 31, v1
	v_cndmask_b32_e64 v9, 0, 1, vcc_lo
	v_cmp_gt_u32_e32 vcc_lo, 0x3c1, v0
	v_and_b32_e32 v2, 0xffff, v8
	s_sub_u32 s16, s18, s14
	s_subb_u32 s17, s19, 0
	s_mul_hi_u32 s9, s16, 0xf04
	v_cndmask_b32_e32 v1, v3, v1, vcc_lo
	s_mul_i32 s11, s17, 0xf04
	v_lshlrev_b32_e32 v7, 2, v0
	s_add_i32 s9, s9, s11
	s_delay_alu instid0(VALU_DEP_2) | instskip(SKIP_1) | instid1(VALU_DEP_1)
	v_cndmask_b32_e64 v1, v2, v1, s2
	v_add_co_u32 v2, s2, s18, v9
	v_add_co_ci_u32_e64 v3, null, s19, 0, s2
	s_mul_i32 s2, s16, 0xf04
	s_delay_alu instid0(VALU_DEP_2) | instskip(NEXT) | instid1(VALU_DEP_2)
	v_sub_co_u32 v2, vcc_lo, v2, s14
	v_subrev_co_ci_u32_e32 v3, vcc_lo, 0, v3, vcc_lo
	s_waitcnt lgkmcnt(0)
	s_add_u32 s2, s22, s2
	s_addc_u32 s9, s23, s9
	s_delay_alu instid0(VALU_DEP_1) | instskip(SKIP_1) | instid1(VALU_DEP_1)
	v_lshlrev_b64 v[4:5], 2, v[2:3]
	v_add_co_u32 v2, s2, s2, v7
	v_add_co_ci_u32_e64 v3, null, s9, 0, s2
	v_mov_b32_e32 v7, 0
	s_delay_alu instid0(VALU_DEP_4)
	v_add_co_u32 v4, vcc_lo, s20, v4
	v_add_co_ci_u32_e32 v5, vcc_lo, s21, v5, vcc_lo
	s_set_inst_prefetch_distance 0x1
	s_branch .LBB78_10
	.p2align	6
.LBB78_9:                               ;   in Loop: Header=BB78_10 Depth=1
	s_or_b32 exec_lo, exec_lo, s2
	s_add_u32 s16, s16, 1
	s_addc_u32 s17, s17, 0
	v_add_co_u32 v4, vcc_lo, v4, 4
	v_cmp_lt_i64_e64 s2, s[16:17], s[6:7]
	v_add_co_ci_u32_e32 v5, vcc_lo, 0, v5, vcc_lo
	s_delay_alu instid0(VALU_DEP_2)
	s_and_b32 vcc_lo, exec_lo, s2
	s_cbranch_vccz .LBB78_12
.LBB78_10:                              ; =>This Inner Loop Header: Depth=1
	v_add_co_u32 v10, s2, v9, s16
	s_delay_alu instid0(VALU_DEP_1) | instskip(SKIP_1) | instid1(VALU_DEP_1)
	v_add_co_ci_u32_e64 v11, null, 0, s17, s2
	s_mov_b32 s2, exec_lo
	v_cmpx_gt_i64_e64 s[6:7], v[10:11]
	s_cbranch_execz .LBB78_9
; %bb.11:                               ;   in Loop: Header=BB78_10 Depth=1
	global_load_b32 v10, v[4:5], off
	s_waitcnt vmcnt(0)
	v_subrev_nc_u32_e32 v12, s14, v10
	s_delay_alu instid0(VALU_DEP_1) | instskip(NEXT) | instid1(VALU_DEP_1)
	v_mad_u64_u32 v[10:11], null, v12, 31, v[1:2]
	v_ashrrev_i32_e32 v11, 31, v10
	s_delay_alu instid0(VALU_DEP_1) | instskip(NEXT) | instid1(VALU_DEP_1)
	v_lshlrev_b64 v[10:11], 2, v[10:11]
	v_add_co_u32 v10, vcc_lo, s0, v10
	s_delay_alu instid0(VALU_DEP_2)
	v_add_co_ci_u32_e32 v11, vcc_lo, s1, v11, vcc_lo
	global_load_b32 v12, v[2:3], off
	global_load_b32 v10, v[10:11], off
	v_add_co_u32 v2, vcc_lo, 0xf04, v2
	v_add_co_ci_u32_e32 v3, vcc_lo, 0, v3, vcc_lo
	s_waitcnt vmcnt(0)
	v_fmac_f32_e32 v7, v12, v10
	s_branch .LBB78_9
.LBB78_12:
	s_set_inst_prefetch_distance 0x2
	s_and_b32 vcc_lo, exec_lo, s3
	ds_store_b32 v6, v7
	s_waitcnt lgkmcnt(0)
	s_barrier
	buffer_gl0_inv
	s_cbranch_vccz .LBB78_24
; %bb.13:
	s_mov_b32 s0, exec_lo
	v_cmpx_gt_u16_e32 15, v8
	s_cbranch_execz .LBB78_15
; %bb.14:
	ds_load_2addr_b32 v[1:2], v6 offset1:16
	s_waitcnt lgkmcnt(0)
	v_add_f32_e32 v1, v2, v1
	ds_store_b32 v6, v1
.LBB78_15:
	s_or_b32 exec_lo, exec_lo, s0
	s_delay_alu instid0(SALU_CYCLE_1)
	s_mov_b32 s0, exec_lo
	s_waitcnt lgkmcnt(0)
	s_barrier
	buffer_gl0_inv
	v_cmpx_gt_u16_e32 8, v8
	s_cbranch_execz .LBB78_17
; %bb.16:
	ds_load_2addr_b32 v[1:2], v6 offset1:8
	s_waitcnt lgkmcnt(0)
	v_add_f32_e32 v1, v2, v1
	ds_store_b32 v6, v1
.LBB78_17:
	s_or_b32 exec_lo, exec_lo, s0
	s_delay_alu instid0(SALU_CYCLE_1)
	s_mov_b32 s0, exec_lo
	s_waitcnt lgkmcnt(0)
	s_barrier
	buffer_gl0_inv
	;; [unrolled: 14-line block ×3, first 2 shown]
	v_cmpx_gt_u16_e32 2, v8
	s_cbranch_execz .LBB78_21
; %bb.20:
	ds_load_2addr_b32 v[1:2], v6 offset1:2
	s_waitcnt lgkmcnt(0)
	v_add_f32_e32 v1, v2, v1
	ds_store_b32 v6, v1
.LBB78_21:
	s_or_b32 exec_lo, exec_lo, s0
	s_mov_b32 s1, 0
	s_mov_b32 s0, 0
	s_mov_b32 s2, exec_lo
	s_waitcnt lgkmcnt(0)
	s_barrier
	buffer_gl0_inv
                                        ; implicit-def: $vgpr1
                                        ; implicit-def: $vgpr2
	v_cmpx_gt_u32_e32 31, v0
	s_xor_b32 s2, exec_lo, s2
; %bb.22:
	v_mad_u32_u24 v1, v0, 31, 1
	v_mad_u32_u24 v2, 0x78, v0, v6
	s_mov_b32 s0, exec_lo
; %bb.23:
	s_or_b32 exec_lo, exec_lo, s2
	s_delay_alu instid0(SALU_CYCLE_1)
	s_and_b32 vcc_lo, exec_lo, s1
	s_cbranch_vccnz .LBB78_25
	s_branch .LBB78_36
.LBB78_24:
	s_mov_b32 s0, 0
                                        ; implicit-def: $vgpr1
                                        ; implicit-def: $vgpr2
	s_cbranch_execz .LBB78_36
.LBB78_25:
	s_mov_b32 s1, exec_lo
	v_cmpx_gt_u32_e32 0x1d1, v0
	s_cbranch_execz .LBB78_27
; %bb.26:
	ds_load_b32 v1, v6 offset:1984
	ds_load_b32 v2, v6
	s_waitcnt lgkmcnt(0)
	v_add_f32_e32 v1, v1, v2
	ds_store_b32 v6, v1
.LBB78_27:
	s_or_b32 exec_lo, exec_lo, s1
	s_delay_alu instid0(SALU_CYCLE_1)
	s_mov_b32 s1, exec_lo
	s_waitcnt lgkmcnt(0)
	s_barrier
	buffer_gl0_inv
	v_cmpx_gt_u32_e32 0xf8, v0
	s_cbranch_execz .LBB78_29
; %bb.28:
	ds_load_2addr_b32 v[1:2], v6 offset1:248
	s_waitcnt lgkmcnt(0)
	v_add_f32_e32 v1, v2, v1
	ds_store_b32 v6, v1
.LBB78_29:
	s_or_b32 exec_lo, exec_lo, s1
	s_delay_alu instid0(SALU_CYCLE_1)
	s_mov_b32 s1, exec_lo
	s_waitcnt lgkmcnt(0)
	s_barrier
	buffer_gl0_inv
	v_cmpx_gt_u32_e32 0x7c, v0
	s_cbranch_execz .LBB78_31
; %bb.30:
	ds_load_2addr_b32 v[1:2], v6 offset1:124
	s_waitcnt lgkmcnt(0)
	v_add_f32_e32 v1, v2, v1
	ds_store_b32 v6, v1
.LBB78_31:
	s_or_b32 exec_lo, exec_lo, s1
	s_delay_alu instid0(SALU_CYCLE_1)
	s_mov_b32 s1, exec_lo
	s_waitcnt lgkmcnt(0)
	s_barrier
	buffer_gl0_inv
	v_cmpx_gt_u32_e32 62, v0
	s_cbranch_execz .LBB78_33
; %bb.32:
	ds_load_2addr_b32 v[1:2], v6 offset1:62
	s_waitcnt lgkmcnt(0)
	v_add_f32_e32 v1, v2, v1
	ds_store_b32 v6, v1
.LBB78_33:
	s_or_b32 exec_lo, exec_lo, s1
	s_delay_alu instid0(SALU_CYCLE_1)
	s_mov_b32 s1, exec_lo
	s_waitcnt lgkmcnt(0)
	buffer_gl0_inv
                                        ; implicit-def: $vgpr1
	v_cmpx_gt_u32_e32 31, v0
; %bb.34:
	v_add_nc_u32_e32 v1, 31, v0
	s_or_b32 s0, s0, exec_lo
                                        ; implicit-def: $vgpr7
; %bb.35:
	s_or_b32 exec_lo, exec_lo, s1
	v_mov_b32_e32 v2, v6
.LBB78_36:
	s_and_saveexec_b32 s1, s0
	s_cbranch_execz .LBB78_38
; %bb.37:
	v_lshlrev_b32_e32 v1, 2, v1
	ds_load_b32 v2, v2
	ds_load_b32 v1, v1
	s_waitcnt lgkmcnt(0)
	v_add_f32_e32 v7, v2, v1
.LBB78_38:
	s_or_b32 exec_lo, exec_lo, s1
	s_delay_alu instid0(SALU_CYCLE_1)
	s_mov_b32 s0, exec_lo
	v_cmpx_gt_u32_e32 31, v0
	s_cbranch_execz .LBB78_42
; %bb.39:
	v_cmp_eq_f32_e64 s0, s8, 0
	v_mul_f32_e32 v1, s12, v7
	s_delay_alu instid0(VALU_DEP_2)
	s_and_b32 vcc_lo, exec_lo, s0
	s_mov_b32 s0, 0
	s_cbranch_vccz .LBB78_43
; %bb.40:
	s_delay_alu instid0(VALU_DEP_1) | instskip(SKIP_1) | instid1(VALU_DEP_1)
	v_mad_u64_u32 v[2:3], null, s10, 31, v[0:1]
	v_mov_b32_e32 v3, 0
	v_lshlrev_b64 v[2:3], 2, v[2:3]
	s_delay_alu instid0(VALU_DEP_1) | instskip(NEXT) | instid1(VALU_DEP_2)
	v_add_co_u32 v2, vcc_lo, s4, v2
	v_add_co_ci_u32_e32 v3, vcc_lo, s5, v3, vcc_lo
	global_store_b32 v[2:3], v1, off
	s_and_not1_b32 vcc_lo, exec_lo, s0
	s_cbranch_vccnz .LBB78_42
.LBB78_41:
	v_mad_u64_u32 v[2:3], null, s10, 31, v[0:1]
	v_mov_b32_e32 v3, 0
	s_delay_alu instid0(VALU_DEP_1) | instskip(NEXT) | instid1(VALU_DEP_1)
	v_lshlrev_b64 v[2:3], 2, v[2:3]
	v_add_co_u32 v2, vcc_lo, s4, v2
	s_delay_alu instid0(VALU_DEP_2)
	v_add_co_ci_u32_e32 v3, vcc_lo, s5, v3, vcc_lo
	global_load_b32 v0, v[2:3], off
	s_waitcnt vmcnt(0)
	v_fmac_f32_e32 v1, s8, v0
	global_store_b32 v[2:3], v1, off
.LBB78_42:
	s_nop 0
	s_sendmsg sendmsg(MSG_DEALLOC_VGPRS)
	s_endpgm
.LBB78_43:
	s_branch .LBB78_41
	.section	.rodata,"a",@progbits
	.p2align	6, 0x0
	.amdhsa_kernel _ZN9rocsparseL20bsrxmvn_17_32_kernelILj31EflifffEEvT2_20rocsparse_direction_NS_24const_host_device_scalarIT0_EES1_PKS1_PKT1_SA_S7_PKT3_PKT4_S5_PT5_21rocsparse_index_base_b
		.amdhsa_group_segment_fixed_size 3844
		.amdhsa_private_segment_fixed_size 0
		.amdhsa_kernarg_size 96
		.amdhsa_user_sgpr_count 15
		.amdhsa_user_sgpr_dispatch_ptr 0
		.amdhsa_user_sgpr_queue_ptr 0
		.amdhsa_user_sgpr_kernarg_segment_ptr 1
		.amdhsa_user_sgpr_dispatch_id 0
		.amdhsa_user_sgpr_private_segment_size 0
		.amdhsa_wavefront_size32 1
		.amdhsa_uses_dynamic_stack 0
		.amdhsa_enable_private_segment 0
		.amdhsa_system_sgpr_workgroup_id_x 1
		.amdhsa_system_sgpr_workgroup_id_y 0
		.amdhsa_system_sgpr_workgroup_id_z 0
		.amdhsa_system_sgpr_workgroup_info 0
		.amdhsa_system_vgpr_workitem_id 0
		.amdhsa_next_free_vgpr 13
		.amdhsa_next_free_sgpr 24
		.amdhsa_reserve_vcc 1
		.amdhsa_float_round_mode_32 0
		.amdhsa_float_round_mode_16_64 0
		.amdhsa_float_denorm_mode_32 3
		.amdhsa_float_denorm_mode_16_64 3
		.amdhsa_dx10_clamp 1
		.amdhsa_ieee_mode 1
		.amdhsa_fp16_overflow 0
		.amdhsa_workgroup_processor_mode 1
		.amdhsa_memory_ordered 1
		.amdhsa_forward_progress 0
		.amdhsa_shared_vgpr_count 0
		.amdhsa_exception_fp_ieee_invalid_op 0
		.amdhsa_exception_fp_denorm_src 0
		.amdhsa_exception_fp_ieee_div_zero 0
		.amdhsa_exception_fp_ieee_overflow 0
		.amdhsa_exception_fp_ieee_underflow 0
		.amdhsa_exception_fp_ieee_inexact 0
		.amdhsa_exception_int_div_zero 0
	.end_amdhsa_kernel
	.section	.text._ZN9rocsparseL20bsrxmvn_17_32_kernelILj31EflifffEEvT2_20rocsparse_direction_NS_24const_host_device_scalarIT0_EES1_PKS1_PKT1_SA_S7_PKT3_PKT4_S5_PT5_21rocsparse_index_base_b,"axG",@progbits,_ZN9rocsparseL20bsrxmvn_17_32_kernelILj31EflifffEEvT2_20rocsparse_direction_NS_24const_host_device_scalarIT0_EES1_PKS1_PKT1_SA_S7_PKT3_PKT4_S5_PT5_21rocsparse_index_base_b,comdat
.Lfunc_end78:
	.size	_ZN9rocsparseL20bsrxmvn_17_32_kernelILj31EflifffEEvT2_20rocsparse_direction_NS_24const_host_device_scalarIT0_EES1_PKS1_PKT1_SA_S7_PKT3_PKT4_S5_PT5_21rocsparse_index_base_b, .Lfunc_end78-_ZN9rocsparseL20bsrxmvn_17_32_kernelILj31EflifffEEvT2_20rocsparse_direction_NS_24const_host_device_scalarIT0_EES1_PKS1_PKT1_SA_S7_PKT3_PKT4_S5_PT5_21rocsparse_index_base_b
                                        ; -- End function
	.section	.AMDGPU.csdata,"",@progbits
; Kernel info:
; codeLenInByte = 1612
; NumSgprs: 26
; NumVgprs: 13
; ScratchSize: 0
; MemoryBound: 0
; FloatMode: 240
; IeeeMode: 1
; LDSByteSize: 3844 bytes/workgroup (compile time only)
; SGPRBlocks: 3
; VGPRBlocks: 1
; NumSGPRsForWavesPerEU: 26
; NumVGPRsForWavesPerEU: 13
; Occupancy: 16
; WaveLimiterHint : 1
; COMPUTE_PGM_RSRC2:SCRATCH_EN: 0
; COMPUTE_PGM_RSRC2:USER_SGPR: 15
; COMPUTE_PGM_RSRC2:TRAP_HANDLER: 0
; COMPUTE_PGM_RSRC2:TGID_X_EN: 1
; COMPUTE_PGM_RSRC2:TGID_Y_EN: 0
; COMPUTE_PGM_RSRC2:TGID_Z_EN: 0
; COMPUTE_PGM_RSRC2:TIDIG_COMP_CNT: 0
	.section	.text._ZN9rocsparseL20bsrxmvn_17_32_kernelILj32EflifffEEvT2_20rocsparse_direction_NS_24const_host_device_scalarIT0_EES1_PKS1_PKT1_SA_S7_PKT3_PKT4_S5_PT5_21rocsparse_index_base_b,"axG",@progbits,_ZN9rocsparseL20bsrxmvn_17_32_kernelILj32EflifffEEvT2_20rocsparse_direction_NS_24const_host_device_scalarIT0_EES1_PKS1_PKT1_SA_S7_PKT3_PKT4_S5_PT5_21rocsparse_index_base_b,comdat
	.globl	_ZN9rocsparseL20bsrxmvn_17_32_kernelILj32EflifffEEvT2_20rocsparse_direction_NS_24const_host_device_scalarIT0_EES1_PKS1_PKT1_SA_S7_PKT3_PKT4_S5_PT5_21rocsparse_index_base_b ; -- Begin function _ZN9rocsparseL20bsrxmvn_17_32_kernelILj32EflifffEEvT2_20rocsparse_direction_NS_24const_host_device_scalarIT0_EES1_PKS1_PKT1_SA_S7_PKT3_PKT4_S5_PT5_21rocsparse_index_base_b
	.p2align	8
	.type	_ZN9rocsparseL20bsrxmvn_17_32_kernelILj32EflifffEEvT2_20rocsparse_direction_NS_24const_host_device_scalarIT0_EES1_PKS1_PKT1_SA_S7_PKT3_PKT4_S5_PT5_21rocsparse_index_base_b,@function
_ZN9rocsparseL20bsrxmvn_17_32_kernelILj32EflifffEEvT2_20rocsparse_direction_NS_24const_host_device_scalarIT0_EES1_PKS1_PKT1_SA_S7_PKT3_PKT4_S5_PT5_21rocsparse_index_base_b: ; @_ZN9rocsparseL20bsrxmvn_17_32_kernelILj32EflifffEEvT2_20rocsparse_direction_NS_24const_host_device_scalarIT0_EES1_PKS1_PKT1_SA_S7_PKT3_PKT4_S5_PT5_21rocsparse_index_base_b
; %bb.0:
	s_mov_b32 s10, s15
	s_clause 0x2
	s_load_b64 s[14:15], s[0:1], 0x58
	s_load_b64 s[12:13], s[0:1], 0x8
	;; [unrolled: 1-line block ×3, first 2 shown]
	s_waitcnt lgkmcnt(0)
	s_bitcmp1_b32 s15, 0
	s_cselect_b32 s2, -1, 0
	s_delay_alu instid0(SALU_CYCLE_1)
	s_and_b32 vcc_lo, exec_lo, s2
	s_xor_b32 s2, s2, -1
	s_cbranch_vccnz .LBB79_2
; %bb.1:
	s_load_b32 s12, s[12:13], 0x0
.LBB79_2:
	s_and_not1_b32 vcc_lo, exec_lo, s2
	s_cbranch_vccnz .LBB79_4
; %bb.3:
	s_load_b32 s8, s[8:9], 0x0
.LBB79_4:
	s_waitcnt lgkmcnt(0)
	v_cmp_neq_f32_e64 s2, s12, 0
	v_cmp_neq_f32_e64 s3, s8, 1.0
	s_delay_alu instid0(VALU_DEP_1) | instskip(NEXT) | instid1(SALU_CYCLE_1)
	s_or_b32 s2, s2, s3
	s_and_not1_b32 vcc_lo, exec_lo, s2
	s_cbranch_vccnz .LBB79_40
; %bb.5:
	s_clause 0x1
	s_load_b128 s[4:7], s[0:1], 0x18
	s_load_b64 s[16:17], s[0:1], 0x28
	s_waitcnt lgkmcnt(0)
	s_cmp_eq_u64 s[4:5], 0
	s_cbranch_scc1 .LBB79_7
; %bb.6:
	s_ashr_i32 s11, s10, 31
	s_delay_alu instid0(SALU_CYCLE_1) | instskip(NEXT) | instid1(SALU_CYCLE_1)
	s_lshl_b64 s[2:3], s[10:11], 2
	s_add_u32 s2, s4, s2
	s_addc_u32 s3, s5, s3
	s_load_b32 s2, s[2:3], 0x0
	s_waitcnt lgkmcnt(0)
	s_sub_i32 s10, s2, s14
.LBB79_7:
	s_load_b32 s3, s[0:1], 0x4
	v_dual_mov_b32 v3, 0 :: v_dual_and_b32 v4, 31, v0
	s_waitcnt lgkmcnt(0)
	s_cmp_eq_u32 s3, 1
	s_cselect_b32 s2, -1, 0
	s_cmp_lg_u32 s3, 1
	s_cselect_b32 s9, -1, 0
	s_ashr_i32 s11, s10, 31
	s_delay_alu instid0(SALU_CYCLE_1) | instskip(NEXT) | instid1(SALU_CYCLE_1)
	s_lshl_b64 s[4:5], s[10:11], 3
	s_add_u32 s6, s6, s4
	s_addc_u32 s7, s7, s5
	s_add_u32 s3, s6, 8
	s_addc_u32 s11, s7, 0
	;; [unrolled: 2-line block ×3, first 2 shown]
	s_cmp_eq_u64 s[16:17], 0
	s_cselect_b32 s5, s11, s5
	s_cselect_b32 s4, s3, s4
	s_load_b64 s[18:19], s[6:7], 0x0
	s_load_b64 s[6:7], s[4:5], 0x0
	;; [unrolled: 1-line block ×3, first 2 shown]
	s_waitcnt lgkmcnt(0)
	v_cmp_ge_i64_e64 s3, s[18:19], s[6:7]
	s_delay_alu instid0(VALU_DEP_1)
	s_and_b32 vcc_lo, exec_lo, s3
	s_cbranch_vccnz .LBB79_10
; %bb.8:
	s_clause 0x1
	s_load_b128 s[20:23], s[0:1], 0x30
	s_load_b64 s[0:1], s[0:1], 0x40
	s_sub_u32 s6, s6, s14
	s_subb_u32 s7, s7, 0
	s_sub_u32 s16, s18, s14
	s_subb_u32 s17, s19, 0
	v_lshrrev_b32_e32 v1, 5, v0
	s_lshl_b64 s[24:25], s[16:17], 12
	s_mov_b32 s15, 0
	v_lshl_or_b32 v2, v0, 2, s24
	v_mov_b32_e32 v3, s25
	s_lshl_b64 s[18:19], s[18:19], 2
	s_lshl_b64 s[26:27], s[14:15], 2
	v_cndmask_b32_e64 v5, v4, v1, s2
	s_sub_u32 s2, s18, s26
	s_subb_u32 s3, s19, s27
	s_waitcnt lgkmcnt(0)
	v_add_co_u32 v1, vcc_lo, s22, v2
	v_add_co_ci_u32_e32 v2, vcc_lo, s23, v3, vcc_lo
	v_mov_b32_e32 v3, 0
	s_add_u32 s2, s20, s2
	s_addc_u32 s3, s21, s3
	.p2align	6
.LBB79_9:                               ; =>This Inner Loop Header: Depth=1
	s_load_b32 s11, s[2:3], 0x0
	s_waitcnt lgkmcnt(0)
	s_sub_i32 s11, s11, s14
	s_add_u32 s16, s16, 1
	v_lshl_or_b32 v6, s11, 5, v5
	s_addc_u32 s17, s17, 0
	s_add_u32 s2, s2, 4
	v_cmp_lt_i64_e64 s11, s[16:17], s[6:7]
	s_addc_u32 s3, s3, 0
	v_ashrrev_i32_e32 v7, 31, v6
	s_delay_alu instid0(VALU_DEP_1) | instskip(NEXT) | instid1(VALU_DEP_1)
	v_lshlrev_b64 v[6:7], 2, v[6:7]
	v_add_co_u32 v6, vcc_lo, s0, v6
	s_delay_alu instid0(VALU_DEP_2)
	v_add_co_ci_u32_e32 v7, vcc_lo, s1, v7, vcc_lo
	global_load_b32 v8, v[1:2], off
	global_load_b32 v6, v[6:7], off
	v_add_co_u32 v1, vcc_lo, 0x1000, v1
	v_add_co_ci_u32_e32 v2, vcc_lo, 0, v2, vcc_lo
	s_and_b32 vcc_lo, exec_lo, s11
	s_waitcnt vmcnt(0)
	v_fmac_f32_e32 v3, v8, v6
	s_cbranch_vccnz .LBB79_9
.LBB79_10:
	v_lshlrev_b32_e32 v1, 2, v0
	s_and_b32 vcc_lo, exec_lo, s9
	ds_store_b32 v1, v3
	s_waitcnt lgkmcnt(0)
	s_barrier
	buffer_gl0_inv
	s_cbranch_vccz .LBB79_22
; %bb.11:
	s_mov_b32 s0, exec_lo
	v_cmpx_gt_u32_e32 16, v4
	s_cbranch_execz .LBB79_13
; %bb.12:
	ds_load_2addr_b32 v[5:6], v1 offset1:16
	s_waitcnt lgkmcnt(0)
	v_add_f32_e32 v2, v6, v5
	ds_store_b32 v1, v2
.LBB79_13:
	s_or_b32 exec_lo, exec_lo, s0
	s_delay_alu instid0(SALU_CYCLE_1)
	s_mov_b32 s0, exec_lo
	s_waitcnt lgkmcnt(0)
	s_barrier
	buffer_gl0_inv
	v_cmpx_gt_u32_e32 8, v4
	s_cbranch_execz .LBB79_15
; %bb.14:
	ds_load_2addr_b32 v[5:6], v1 offset1:8
	s_waitcnt lgkmcnt(0)
	v_add_f32_e32 v2, v6, v5
	ds_store_b32 v1, v2
.LBB79_15:
	s_or_b32 exec_lo, exec_lo, s0
	s_delay_alu instid0(SALU_CYCLE_1)
	s_mov_b32 s0, exec_lo
	s_waitcnt lgkmcnt(0)
	s_barrier
	buffer_gl0_inv
	;; [unrolled: 14-line block ×3, first 2 shown]
	v_cmpx_gt_u32_e32 2, v4
	s_cbranch_execz .LBB79_19
; %bb.18:
	ds_load_2addr_b32 v[4:5], v1 offset1:2
	s_waitcnt lgkmcnt(0)
	v_add_f32_e32 v2, v5, v4
	ds_store_b32 v1, v2
.LBB79_19:
	s_or_b32 exec_lo, exec_lo, s0
	s_mov_b32 s1, 0
	s_mov_b32 s0, 0
	s_mov_b32 s2, exec_lo
	s_waitcnt lgkmcnt(0)
	s_barrier
	buffer_gl0_inv
                                        ; implicit-def: $vgpr2
                                        ; implicit-def: $vgpr4
	v_cmpx_gt_u32_e32 32, v0
	s_xor_b32 s2, exec_lo, s2
; %bb.20:
	v_lshl_or_b32 v2, v0, 5, 1
	v_mad_u32_u24 v4, 0x7c, v0, v1
	s_mov_b32 s0, exec_lo
; %bb.21:
	s_or_b32 exec_lo, exec_lo, s2
	s_delay_alu instid0(SALU_CYCLE_1)
	s_and_b32 vcc_lo, exec_lo, s1
	s_cbranch_vccnz .LBB79_23
	s_branch .LBB79_34
.LBB79_22:
	s_mov_b32 s0, 0
                                        ; implicit-def: $vgpr2
                                        ; implicit-def: $vgpr4
	s_cbranch_execz .LBB79_34
.LBB79_23:
	s_mov_b32 s1, exec_lo
	v_cmpx_gt_u32_e32 0x200, v0
	s_cbranch_execz .LBB79_25
; %bb.24:
	ds_load_2addr_stride64_b32 v[4:5], v1 offset1:8
	s_waitcnt lgkmcnt(0)
	v_add_f32_e32 v2, v5, v4
	ds_store_b32 v1, v2
.LBB79_25:
	s_or_b32 exec_lo, exec_lo, s1
	s_delay_alu instid0(SALU_CYCLE_1)
	s_mov_b32 s1, exec_lo
	s_waitcnt lgkmcnt(0)
	s_barrier
	buffer_gl0_inv
	v_cmpx_gt_u32_e32 0x100, v0
	s_cbranch_execz .LBB79_27
; %bb.26:
	ds_load_2addr_stride64_b32 v[4:5], v1 offset1:4
	s_waitcnt lgkmcnt(0)
	v_add_f32_e32 v2, v5, v4
	ds_store_b32 v1, v2
.LBB79_27:
	s_or_b32 exec_lo, exec_lo, s1
	s_delay_alu instid0(SALU_CYCLE_1)
	s_mov_b32 s1, exec_lo
	s_waitcnt lgkmcnt(0)
	s_barrier
	buffer_gl0_inv
	;; [unrolled: 14-line block ×3, first 2 shown]
	v_cmpx_gt_u32_e32 64, v0
	s_cbranch_execz .LBB79_31
; %bb.30:
	ds_load_2addr_stride64_b32 v[4:5], v1 offset1:1
	s_waitcnt lgkmcnt(0)
	v_add_f32_e32 v2, v5, v4
	ds_store_b32 v1, v2
.LBB79_31:
	s_or_b32 exec_lo, exec_lo, s1
	s_delay_alu instid0(SALU_CYCLE_1)
	s_mov_b32 s1, exec_lo
	s_waitcnt lgkmcnt(0)
	buffer_gl0_inv
                                        ; implicit-def: $vgpr2
	v_cmpx_gt_u32_e32 32, v0
; %bb.32:
	v_or_b32_e32 v2, 32, v0
	s_or_b32 s0, s0, exec_lo
                                        ; implicit-def: $vgpr3
; %bb.33:
	s_or_b32 exec_lo, exec_lo, s1
	v_mov_b32_e32 v4, v1
.LBB79_34:
	s_and_saveexec_b32 s1, s0
	s_cbranch_execz .LBB79_36
; %bb.35:
	v_lshlrev_b32_e32 v1, 2, v2
	ds_load_b32 v2, v4
	ds_load_b32 v1, v1
	s_waitcnt lgkmcnt(0)
	v_add_f32_e32 v3, v2, v1
.LBB79_36:
	s_or_b32 exec_lo, exec_lo, s1
	s_delay_alu instid0(SALU_CYCLE_1)
	s_mov_b32 s0, exec_lo
	v_cmpx_gt_u32_e32 32, v0
	s_cbranch_execz .LBB79_40
; %bb.37:
	v_cmp_eq_f32_e64 s0, s8, 0
	v_mul_f32_e32 v2, s12, v3
	v_lshl_or_b32 v0, s10, 5, v0
	s_delay_alu instid0(VALU_DEP_3)
	s_and_b32 vcc_lo, exec_lo, s0
	s_mov_b32 s0, 0
	s_cbranch_vccz .LBB79_41
; %bb.38:
	v_mov_b32_e32 v1, 0
	s_delay_alu instid0(VALU_DEP_1) | instskip(NEXT) | instid1(VALU_DEP_1)
	v_lshlrev_b64 v[3:4], 2, v[0:1]
	v_add_co_u32 v3, vcc_lo, s4, v3
	s_delay_alu instid0(VALU_DEP_2)
	v_add_co_ci_u32_e32 v4, vcc_lo, s5, v4, vcc_lo
	global_store_b32 v[3:4], v2, off
	s_and_not1_b32 vcc_lo, exec_lo, s0
	s_cbranch_vccnz .LBB79_40
.LBB79_39:
	v_mov_b32_e32 v1, 0
	s_delay_alu instid0(VALU_DEP_1) | instskip(NEXT) | instid1(VALU_DEP_1)
	v_lshlrev_b64 v[0:1], 2, v[0:1]
	v_add_co_u32 v0, vcc_lo, s4, v0
	s_delay_alu instid0(VALU_DEP_2)
	v_add_co_ci_u32_e32 v1, vcc_lo, s5, v1, vcc_lo
	global_load_b32 v3, v[0:1], off
	s_waitcnt vmcnt(0)
	v_fmac_f32_e32 v2, s8, v3
	global_store_b32 v[0:1], v2, off
.LBB79_40:
	s_nop 0
	s_sendmsg sendmsg(MSG_DEALLOC_VGPRS)
	s_endpgm
.LBB79_41:
	s_branch .LBB79_39
	.section	.rodata,"a",@progbits
	.p2align	6, 0x0
	.amdhsa_kernel _ZN9rocsparseL20bsrxmvn_17_32_kernelILj32EflifffEEvT2_20rocsparse_direction_NS_24const_host_device_scalarIT0_EES1_PKS1_PKT1_SA_S7_PKT3_PKT4_S5_PT5_21rocsparse_index_base_b
		.amdhsa_group_segment_fixed_size 4096
		.amdhsa_private_segment_fixed_size 0
		.amdhsa_kernarg_size 96
		.amdhsa_user_sgpr_count 15
		.amdhsa_user_sgpr_dispatch_ptr 0
		.amdhsa_user_sgpr_queue_ptr 0
		.amdhsa_user_sgpr_kernarg_segment_ptr 1
		.amdhsa_user_sgpr_dispatch_id 0
		.amdhsa_user_sgpr_private_segment_size 0
		.amdhsa_wavefront_size32 1
		.amdhsa_uses_dynamic_stack 0
		.amdhsa_enable_private_segment 0
		.amdhsa_system_sgpr_workgroup_id_x 1
		.amdhsa_system_sgpr_workgroup_id_y 0
		.amdhsa_system_sgpr_workgroup_id_z 0
		.amdhsa_system_sgpr_workgroup_info 0
		.amdhsa_system_vgpr_workitem_id 0
		.amdhsa_next_free_vgpr 9
		.amdhsa_next_free_sgpr 28
		.amdhsa_reserve_vcc 1
		.amdhsa_float_round_mode_32 0
		.amdhsa_float_round_mode_16_64 0
		.amdhsa_float_denorm_mode_32 3
		.amdhsa_float_denorm_mode_16_64 3
		.amdhsa_dx10_clamp 1
		.amdhsa_ieee_mode 1
		.amdhsa_fp16_overflow 0
		.amdhsa_workgroup_processor_mode 1
		.amdhsa_memory_ordered 1
		.amdhsa_forward_progress 0
		.amdhsa_shared_vgpr_count 0
		.amdhsa_exception_fp_ieee_invalid_op 0
		.amdhsa_exception_fp_denorm_src 0
		.amdhsa_exception_fp_ieee_div_zero 0
		.amdhsa_exception_fp_ieee_overflow 0
		.amdhsa_exception_fp_ieee_underflow 0
		.amdhsa_exception_fp_ieee_inexact 0
		.amdhsa_exception_int_div_zero 0
	.end_amdhsa_kernel
	.section	.text._ZN9rocsparseL20bsrxmvn_17_32_kernelILj32EflifffEEvT2_20rocsparse_direction_NS_24const_host_device_scalarIT0_EES1_PKS1_PKT1_SA_S7_PKT3_PKT4_S5_PT5_21rocsparse_index_base_b,"axG",@progbits,_ZN9rocsparseL20bsrxmvn_17_32_kernelILj32EflifffEEvT2_20rocsparse_direction_NS_24const_host_device_scalarIT0_EES1_PKS1_PKT1_SA_S7_PKT3_PKT4_S5_PT5_21rocsparse_index_base_b,comdat
.Lfunc_end79:
	.size	_ZN9rocsparseL20bsrxmvn_17_32_kernelILj32EflifffEEvT2_20rocsparse_direction_NS_24const_host_device_scalarIT0_EES1_PKS1_PKT1_SA_S7_PKT3_PKT4_S5_PT5_21rocsparse_index_base_b, .Lfunc_end79-_ZN9rocsparseL20bsrxmvn_17_32_kernelILj32EflifffEEvT2_20rocsparse_direction_NS_24const_host_device_scalarIT0_EES1_PKS1_PKT1_SA_S7_PKT3_PKT4_S5_PT5_21rocsparse_index_base_b
                                        ; -- End function
	.section	.AMDGPU.csdata,"",@progbits
; Kernel info:
; codeLenInByte = 1388
; NumSgprs: 30
; NumVgprs: 9
; ScratchSize: 0
; MemoryBound: 0
; FloatMode: 240
; IeeeMode: 1
; LDSByteSize: 4096 bytes/workgroup (compile time only)
; SGPRBlocks: 3
; VGPRBlocks: 1
; NumSGPRsForWavesPerEU: 30
; NumVGPRsForWavesPerEU: 9
; Occupancy: 16
; WaveLimiterHint : 1
; COMPUTE_PGM_RSRC2:SCRATCH_EN: 0
; COMPUTE_PGM_RSRC2:USER_SGPR: 15
; COMPUTE_PGM_RSRC2:TRAP_HANDLER: 0
; COMPUTE_PGM_RSRC2:TGID_X_EN: 1
; COMPUTE_PGM_RSRC2:TGID_Y_EN: 0
; COMPUTE_PGM_RSRC2:TGID_Z_EN: 0
; COMPUTE_PGM_RSRC2:TIDIG_COMP_CNT: 0
	.section	.text._ZN9rocsparseL20bsrxmvn_17_32_kernelILj17EdlidddEEvT2_20rocsparse_direction_NS_24const_host_device_scalarIT0_EES1_PKS1_PKT1_SA_S7_PKT3_PKT4_S5_PT5_21rocsparse_index_base_b,"axG",@progbits,_ZN9rocsparseL20bsrxmvn_17_32_kernelILj17EdlidddEEvT2_20rocsparse_direction_NS_24const_host_device_scalarIT0_EES1_PKS1_PKT1_SA_S7_PKT3_PKT4_S5_PT5_21rocsparse_index_base_b,comdat
	.globl	_ZN9rocsparseL20bsrxmvn_17_32_kernelILj17EdlidddEEvT2_20rocsparse_direction_NS_24const_host_device_scalarIT0_EES1_PKS1_PKT1_SA_S7_PKT3_PKT4_S5_PT5_21rocsparse_index_base_b ; -- Begin function _ZN9rocsparseL20bsrxmvn_17_32_kernelILj17EdlidddEEvT2_20rocsparse_direction_NS_24const_host_device_scalarIT0_EES1_PKS1_PKT1_SA_S7_PKT3_PKT4_S5_PT5_21rocsparse_index_base_b
	.p2align	8
	.type	_ZN9rocsparseL20bsrxmvn_17_32_kernelILj17EdlidddEEvT2_20rocsparse_direction_NS_24const_host_device_scalarIT0_EES1_PKS1_PKT1_SA_S7_PKT3_PKT4_S5_PT5_21rocsparse_index_base_b,@function
_ZN9rocsparseL20bsrxmvn_17_32_kernelILj17EdlidddEEvT2_20rocsparse_direction_NS_24const_host_device_scalarIT0_EES1_PKS1_PKT1_SA_S7_PKT3_PKT4_S5_PT5_21rocsparse_index_base_b: ; @_ZN9rocsparseL20bsrxmvn_17_32_kernelILj17EdlidddEEvT2_20rocsparse_direction_NS_24const_host_device_scalarIT0_EES1_PKS1_PKT1_SA_S7_PKT3_PKT4_S5_PT5_21rocsparse_index_base_b
; %bb.0:
	s_clause 0x2
	s_load_b64 s[12:13], s[0:1], 0x58
	s_load_b64 s[4:5], s[0:1], 0x8
	;; [unrolled: 1-line block ×3, first 2 shown]
	s_mov_b32 s8, s15
	s_waitcnt lgkmcnt(0)
	s_bitcmp1_b32 s13, 0
	v_dual_mov_b32 v3, s4 :: v_dual_mov_b32 v4, s5
	s_cselect_b32 s6, -1, 0
	s_delay_alu instid0(SALU_CYCLE_1)
	s_and_b32 vcc_lo, exec_lo, s6
	s_xor_b32 s6, s6, -1
	s_cbranch_vccnz .LBB80_2
; %bb.1:
	v_dual_mov_b32 v1, s4 :: v_dual_mov_b32 v2, s5
	flat_load_b64 v[3:4], v[1:2]
.LBB80_2:
	v_dual_mov_b32 v1, s2 :: v_dual_mov_b32 v2, s3
	s_and_not1_b32 vcc_lo, exec_lo, s6
	s_cbranch_vccnz .LBB80_4
; %bb.3:
	v_dual_mov_b32 v1, s2 :: v_dual_mov_b32 v2, s3
	flat_load_b64 v[1:2], v[1:2]
.LBB80_4:
	s_waitcnt vmcnt(0) lgkmcnt(0)
	v_cmp_neq_f64_e32 vcc_lo, 0, v[3:4]
	v_cmp_neq_f64_e64 s2, 1.0, v[1:2]
	s_delay_alu instid0(VALU_DEP_1) | instskip(NEXT) | instid1(SALU_CYCLE_1)
	s_or_b32 s2, vcc_lo, s2
	s_and_saveexec_b32 s3, s2
	s_cbranch_execz .LBB80_38
; %bb.5:
	s_clause 0x1
	s_load_b128 s[4:7], s[0:1], 0x18
	s_load_b64 s[10:11], s[0:1], 0x28
	s_waitcnt lgkmcnt(0)
	s_cmp_eq_u64 s[4:5], 0
	s_cbranch_scc1 .LBB80_7
; %bb.6:
	s_ashr_i32 s9, s8, 31
	s_delay_alu instid0(SALU_CYCLE_1) | instskip(NEXT) | instid1(SALU_CYCLE_1)
	s_lshl_b64 s[2:3], s[8:9], 2
	s_add_u32 s2, s4, s2
	s_addc_u32 s3, s5, s3
	s_load_b32 s2, s[2:3], 0x0
	s_waitcnt lgkmcnt(0)
	s_sub_i32 s8, s2, s12
.LBB80_7:
	s_load_b32 s3, s[0:1], 0x4
	v_mul_u32_u24_e32 v5, 0xf10, v0
	v_lshlrev_b32_e32 v12, 3, v0
	s_delay_alu instid0(VALU_DEP_2) | instskip(SKIP_2) | instid1(VALU_DEP_3)
	v_lshrrev_b32_e32 v7, 16, v5
	v_mov_b32_e32 v5, 0
	v_mov_b32_e32 v6, 0
	v_mul_lo_u16 v8, v7, 17
	s_delay_alu instid0(VALU_DEP_1)
	v_sub_nc_u16 v13, v0, v8
	s_waitcnt lgkmcnt(0)
	s_cmp_eq_u32 s3, 1
	s_cselect_b32 s2, -1, 0
	s_cmp_lg_u32 s3, 1
	s_cselect_b32 s3, -1, 0
	s_ashr_i32 s9, s8, 31
	s_delay_alu instid0(SALU_CYCLE_1) | instskip(NEXT) | instid1(SALU_CYCLE_1)
	s_lshl_b64 s[4:5], s[8:9], 3
	s_add_u32 s6, s6, s4
	s_addc_u32 s7, s7, s5
	s_add_u32 s9, s6, 8
	s_addc_u32 s13, s7, 0
	;; [unrolled: 2-line block ×3, first 2 shown]
	s_cmp_eq_u64 s[10:11], 0
	s_load_b64 s[10:11], s[0:1], 0x50
	s_cselect_b32 s5, s13, s5
	s_cselect_b32 s4, s9, s4
	s_load_b64 s[18:19], s[6:7], 0x0
	s_load_b64 s[14:15], s[4:5], 0x0
	s_waitcnt lgkmcnt(0)
	v_cmp_ge_i64_e64 s4, s[18:19], s[14:15]
	s_delay_alu instid0(VALU_DEP_1)
	s_and_b32 vcc_lo, exec_lo, s4
	s_cbranch_vccnz .LBB80_12
; %bb.8:
	v_mul_lo_u16 v5, v7, 31
	v_and_b32_e32 v6, 0xffff, v0
	s_sub_u32 s14, s14, s12
	s_subb_u32 s15, s15, 0
	s_sub_u32 s16, s18, s12
	v_lshrrev_b16 v5, 9, v5
	v_mul_u32_u24_e32 v6, 0xe3, v6
	s_subb_u32 s17, s19, 0
	s_clause 0x1
	s_load_b128 s[4:7], s[0:1], 0x30
	s_load_b64 s[0:1], s[0:1], 0x40
	s_mul_hi_u32 s9, s16, 0x908
	v_mul_lo_u16 v5, v5, 17
	v_lshrrev_b32_e32 v14, 16, v6
	s_mul_i32 s13, s17, 0x908
	v_and_b32_e32 v6, 0xffff, v13
	s_add_i32 s9, s9, s13
	v_sub_nc_u16 v5, v7, v5
	v_add_co_u32 v8, s13, s18, v14
	s_delay_alu instid0(VALU_DEP_1) | instskip(NEXT) | instid1(VALU_DEP_3)
	v_add_co_ci_u32_e64 v9, null, s19, 0, s13
	v_and_b32_e32 v5, 0xff, v5
	s_delay_alu instid0(VALU_DEP_1) | instskip(NEXT) | instid1(VALU_DEP_4)
	v_cndmask_b32_e64 v7, v6, v5, s2
	v_sub_co_u32 v5, vcc_lo, v8, s12
	s_delay_alu instid0(VALU_DEP_4) | instskip(SKIP_2) | instid1(VALU_DEP_2)
	v_subrev_co_ci_u32_e32 v6, vcc_lo, 0, v9, vcc_lo
	v_lshlrev_b32_e32 v8, 3, v0
	s_mul_i32 s2, s16, 0x908
	v_lshlrev_b64 v[10:11], 2, v[5:6]
	v_mov_b32_e32 v5, 0
	s_waitcnt lgkmcnt(0)
	s_add_u32 s2, s6, s2
	s_addc_u32 s6, s7, s9
	v_add_co_u32 v8, s2, s2, v8
	v_add_co_u32 v10, vcc_lo, s4, v10
	v_add_co_ci_u32_e64 v9, null, s6, 0, s2
	v_mov_b32_e32 v6, 0
	v_add_co_ci_u32_e32 v11, vcc_lo, s5, v11, vcc_lo
	s_set_inst_prefetch_distance 0x1
	s_branch .LBB80_10
	.p2align	6
.LBB80_9:                               ;   in Loop: Header=BB80_10 Depth=1
	s_or_b32 exec_lo, exec_lo, s2
	s_add_u32 s16, s16, 1
	s_addc_u32 s17, s17, 0
	v_add_co_u32 v10, vcc_lo, v10, 4
	v_cmp_lt_i64_e64 s2, s[16:17], s[14:15]
	v_add_co_ci_u32_e32 v11, vcc_lo, 0, v11, vcc_lo
	s_delay_alu instid0(VALU_DEP_2)
	s_and_b32 vcc_lo, exec_lo, s2
	s_cbranch_vccz .LBB80_12
.LBB80_10:                              ; =>This Inner Loop Header: Depth=1
	v_add_co_u32 v15, s2, v14, s16
	s_delay_alu instid0(VALU_DEP_1) | instskip(SKIP_1) | instid1(VALU_DEP_1)
	v_add_co_ci_u32_e64 v16, null, 0, s17, s2
	s_mov_b32 s2, exec_lo
	v_cmpx_gt_i64_e64 s[14:15], v[15:16]
	s_cbranch_execz .LBB80_9
; %bb.11:                               ;   in Loop: Header=BB80_10 Depth=1
	global_load_b32 v15, v[10:11], off
	s_waitcnt vmcnt(0)
	v_subrev_nc_u32_e32 v17, s12, v15
	s_delay_alu instid0(VALU_DEP_1) | instskip(NEXT) | instid1(VALU_DEP_1)
	v_mad_u64_u32 v[15:16], null, v17, 17, v[7:8]
	v_ashrrev_i32_e32 v16, 31, v15
	s_delay_alu instid0(VALU_DEP_1) | instskip(NEXT) | instid1(VALU_DEP_1)
	v_lshlrev_b64 v[15:16], 3, v[15:16]
	v_add_co_u32 v15, vcc_lo, s0, v15
	s_delay_alu instid0(VALU_DEP_2)
	v_add_co_ci_u32_e32 v16, vcc_lo, s1, v16, vcc_lo
	global_load_b64 v[17:18], v[8:9], off
	global_load_b64 v[15:16], v[15:16], off
	v_add_co_u32 v8, vcc_lo, 0x908, v8
	v_add_co_ci_u32_e32 v9, vcc_lo, 0, v9, vcc_lo
	s_waitcnt vmcnt(0)
	v_fma_f64 v[5:6], v[17:18], v[15:16], v[5:6]
	s_branch .LBB80_9
.LBB80_12:
	s_set_inst_prefetch_distance 0x2
	s_and_b32 vcc_lo, exec_lo, s3
	ds_store_b64 v12, v[5:6]
	s_waitcnt lgkmcnt(0)
	s_barrier
	buffer_gl0_inv
	s_cbranch_vccz .LBB80_24
; %bb.13:
	s_mov_b32 s0, exec_lo
	v_cmpx_eq_u16_e32 0, v13
	s_cbranch_execz .LBB80_15
; %bb.14:
	ds_load_2addr_b64 v[7:10], v12 offset1:16
	s_waitcnt lgkmcnt(0)
	v_add_f64 v[7:8], v[9:10], v[7:8]
	ds_store_b64 v12, v[7:8]
.LBB80_15:
	s_or_b32 exec_lo, exec_lo, s0
	s_delay_alu instid0(SALU_CYCLE_1)
	s_mov_b32 s0, exec_lo
	s_waitcnt lgkmcnt(0)
	s_barrier
	buffer_gl0_inv
	v_cmpx_gt_u16_e32 8, v13
	s_cbranch_execz .LBB80_17
; %bb.16:
	ds_load_2addr_b64 v[7:10], v12 offset1:8
	s_waitcnt lgkmcnt(0)
	v_add_f64 v[7:8], v[9:10], v[7:8]
	ds_store_b64 v12, v[7:8]
.LBB80_17:
	s_or_b32 exec_lo, exec_lo, s0
	s_delay_alu instid0(SALU_CYCLE_1)
	s_mov_b32 s0, exec_lo
	s_waitcnt lgkmcnt(0)
	s_barrier
	buffer_gl0_inv
	v_cmpx_gt_u16_e32 4, v13
	;; [unrolled: 14-line block ×3, first 2 shown]
	s_cbranch_execz .LBB80_21
; %bb.20:
	ds_load_2addr_b64 v[7:10], v12 offset1:2
	s_waitcnt lgkmcnt(0)
	v_add_f64 v[7:8], v[9:10], v[7:8]
	ds_store_b64 v12, v[7:8]
.LBB80_21:
	s_or_b32 exec_lo, exec_lo, s0
	s_mov_b32 s0, 0
	s_mov_b32 s1, 0
	s_mov_b32 s2, exec_lo
	s_waitcnt lgkmcnt(0)
	s_barrier
	buffer_gl0_inv
                                        ; implicit-def: $vgpr7
                                        ; implicit-def: $vgpr8
	v_cmpx_gt_u32_e32 17, v0
	s_xor_b32 s2, exec_lo, s2
; %bb.22:
	v_mad_u32_u24 v7, v0, 17, 1
	v_lshl_add_u32 v8, v0, 7, v12
	s_mov_b32 s1, exec_lo
; %bb.23:
	s_or_b32 exec_lo, exec_lo, s2
	s_delay_alu instid0(SALU_CYCLE_1)
	s_and_b32 vcc_lo, exec_lo, s0
	v_cmp_gt_u32_e64 s0, 17, v0
	s_cbranch_vccnz .LBB80_25
	s_branch .LBB80_36
.LBB80_24:
	s_mov_b32 s1, 0
                                        ; implicit-def: $vgpr7
                                        ; implicit-def: $vgpr8
	v_cmp_gt_u32_e64 s0, 17, v0
	s_cbranch_execz .LBB80_36
.LBB80_25:
	s_delay_alu instid0(VALU_DEP_1)
	s_and_saveexec_b32 s2, s0
	s_cbranch_execz .LBB80_27
; %bb.26:
	ds_load_b64 v[7:8], v12 offset:2176
	ds_load_b64 v[9:10], v12
	s_waitcnt lgkmcnt(0)
	v_add_f64 v[7:8], v[7:8], v[9:10]
	ds_store_b64 v12, v[7:8]
.LBB80_27:
	s_or_b32 exec_lo, exec_lo, s2
	s_delay_alu instid0(SALU_CYCLE_1)
	s_mov_b32 s2, exec_lo
	s_waitcnt lgkmcnt(0)
	s_barrier
	buffer_gl0_inv
	v_cmpx_gt_u32_e32 0x88, v0
	s_cbranch_execz .LBB80_29
; %bb.28:
	ds_load_2addr_b64 v[7:10], v12 offset1:136
	s_waitcnt lgkmcnt(0)
	v_add_f64 v[7:8], v[9:10], v[7:8]
	ds_store_b64 v12, v[7:8]
.LBB80_29:
	s_or_b32 exec_lo, exec_lo, s2
	s_delay_alu instid0(SALU_CYCLE_1)
	s_mov_b32 s2, exec_lo
	s_waitcnt lgkmcnt(0)
	s_barrier
	buffer_gl0_inv
	v_cmpx_gt_u32_e32 0x44, v0
	s_cbranch_execz .LBB80_31
; %bb.30:
	ds_load_2addr_b64 v[7:10], v12 offset1:68
	s_waitcnt lgkmcnt(0)
	v_add_f64 v[7:8], v[9:10], v[7:8]
	ds_store_b64 v12, v[7:8]
.LBB80_31:
	;; [unrolled: 14-line block ×3, first 2 shown]
	s_or_b32 exec_lo, exec_lo, s2
	s_waitcnt lgkmcnt(0)
	buffer_gl0_inv
                                        ; implicit-def: $vgpr7
	s_and_saveexec_b32 s2, s0
; %bb.34:
	v_add_nc_u32_e32 v7, 17, v0
	s_or_b32 s1, s1, exec_lo
                                        ; implicit-def: $vgpr5_vgpr6
; %bb.35:
	s_or_b32 exec_lo, exec_lo, s2
	v_mov_b32_e32 v8, v12
.LBB80_36:
	s_and_saveexec_b32 s0, s1
	s_cbranch_execnz .LBB80_39
; %bb.37:
	s_or_b32 exec_lo, exec_lo, s0
	v_cmp_gt_u32_e32 vcc_lo, 17, v0
	s_and_b32 exec_lo, exec_lo, vcc_lo
	s_cbranch_execnz .LBB80_40
.LBB80_38:
	s_nop 0
	s_sendmsg sendmsg(MSG_DEALLOC_VGPRS)
	s_endpgm
.LBB80_39:
	v_lshlrev_b32_e32 v7, 3, v7
	ds_load_b64 v[5:6], v8
	ds_load_b64 v[7:8], v7
	s_waitcnt lgkmcnt(0)
	v_add_f64 v[5:6], v[5:6], v[7:8]
	s_or_b32 exec_lo, exec_lo, s0
	v_cmp_gt_u32_e32 vcc_lo, 17, v0
	s_and_b32 exec_lo, exec_lo, vcc_lo
	s_cbranch_execz .LBB80_38
.LBB80_40:
	s_delay_alu instid0(VALU_DEP_2)
	v_mul_f64 v[3:4], v[3:4], v[5:6]
	s_mov_b32 s0, exec_lo
	v_cmpx_eq_f64_e32 0, v[1:2]
	s_xor_b32 s0, exec_lo, s0
	s_cbranch_execz .LBB80_42
; %bb.41:
	v_mad_u64_u32 v[1:2], null, s8, 17, v[0:1]
	v_mov_b32_e32 v2, 0
	s_delay_alu instid0(VALU_DEP_1) | instskip(NEXT) | instid1(VALU_DEP_1)
	v_lshlrev_b64 v[0:1], 3, v[1:2]
	v_add_co_u32 v0, vcc_lo, s10, v0
	s_delay_alu instid0(VALU_DEP_2)
	v_add_co_ci_u32_e32 v1, vcc_lo, s11, v1, vcc_lo
	global_store_b64 v[0:1], v[3:4], off
                                        ; implicit-def: $vgpr0
                                        ; implicit-def: $vgpr1_vgpr2
                                        ; implicit-def: $vgpr3_vgpr4
.LBB80_42:
	s_and_not1_saveexec_b32 s0, s0
	s_cbranch_execz .LBB80_38
; %bb.43:
	v_mad_u64_u32 v[5:6], null, s8, 17, v[0:1]
	v_mov_b32_e32 v6, 0
	s_delay_alu instid0(VALU_DEP_1) | instskip(NEXT) | instid1(VALU_DEP_1)
	v_lshlrev_b64 v[5:6], 3, v[5:6]
	v_add_co_u32 v5, vcc_lo, s10, v5
	s_delay_alu instid0(VALU_DEP_2)
	v_add_co_ci_u32_e32 v6, vcc_lo, s11, v6, vcc_lo
	global_load_b64 v[7:8], v[5:6], off
	s_waitcnt vmcnt(0)
	v_fma_f64 v[0:1], v[1:2], v[7:8], v[3:4]
	global_store_b64 v[5:6], v[0:1], off
	s_nop 0
	s_sendmsg sendmsg(MSG_DEALLOC_VGPRS)
	s_endpgm
	.section	.rodata,"a",@progbits
	.p2align	6, 0x0
	.amdhsa_kernel _ZN9rocsparseL20bsrxmvn_17_32_kernelILj17EdlidddEEvT2_20rocsparse_direction_NS_24const_host_device_scalarIT0_EES1_PKS1_PKT1_SA_S7_PKT3_PKT4_S5_PT5_21rocsparse_index_base_b
		.amdhsa_group_segment_fixed_size 2312
		.amdhsa_private_segment_fixed_size 0
		.amdhsa_kernarg_size 96
		.amdhsa_user_sgpr_count 15
		.amdhsa_user_sgpr_dispatch_ptr 0
		.amdhsa_user_sgpr_queue_ptr 0
		.amdhsa_user_sgpr_kernarg_segment_ptr 1
		.amdhsa_user_sgpr_dispatch_id 0
		.amdhsa_user_sgpr_private_segment_size 0
		.amdhsa_wavefront_size32 1
		.amdhsa_uses_dynamic_stack 0
		.amdhsa_enable_private_segment 0
		.amdhsa_system_sgpr_workgroup_id_x 1
		.amdhsa_system_sgpr_workgroup_id_y 0
		.amdhsa_system_sgpr_workgroup_id_z 0
		.amdhsa_system_sgpr_workgroup_info 0
		.amdhsa_system_vgpr_workitem_id 0
		.amdhsa_next_free_vgpr 19
		.amdhsa_next_free_sgpr 20
		.amdhsa_reserve_vcc 1
		.amdhsa_float_round_mode_32 0
		.amdhsa_float_round_mode_16_64 0
		.amdhsa_float_denorm_mode_32 3
		.amdhsa_float_denorm_mode_16_64 3
		.amdhsa_dx10_clamp 1
		.amdhsa_ieee_mode 1
		.amdhsa_fp16_overflow 0
		.amdhsa_workgroup_processor_mode 1
		.amdhsa_memory_ordered 1
		.amdhsa_forward_progress 0
		.amdhsa_shared_vgpr_count 0
		.amdhsa_exception_fp_ieee_invalid_op 0
		.amdhsa_exception_fp_denorm_src 0
		.amdhsa_exception_fp_ieee_div_zero 0
		.amdhsa_exception_fp_ieee_overflow 0
		.amdhsa_exception_fp_ieee_underflow 0
		.amdhsa_exception_fp_ieee_inexact 0
		.amdhsa_exception_int_div_zero 0
	.end_amdhsa_kernel
	.section	.text._ZN9rocsparseL20bsrxmvn_17_32_kernelILj17EdlidddEEvT2_20rocsparse_direction_NS_24const_host_device_scalarIT0_EES1_PKS1_PKT1_SA_S7_PKT3_PKT4_S5_PT5_21rocsparse_index_base_b,"axG",@progbits,_ZN9rocsparseL20bsrxmvn_17_32_kernelILj17EdlidddEEvT2_20rocsparse_direction_NS_24const_host_device_scalarIT0_EES1_PKS1_PKT1_SA_S7_PKT3_PKT4_S5_PT5_21rocsparse_index_base_b,comdat
.Lfunc_end80:
	.size	_ZN9rocsparseL20bsrxmvn_17_32_kernelILj17EdlidddEEvT2_20rocsparse_direction_NS_24const_host_device_scalarIT0_EES1_PKS1_PKT1_SA_S7_PKT3_PKT4_S5_PT5_21rocsparse_index_base_b, .Lfunc_end80-_ZN9rocsparseL20bsrxmvn_17_32_kernelILj17EdlidddEEvT2_20rocsparse_direction_NS_24const_host_device_scalarIT0_EES1_PKS1_PKT1_SA_S7_PKT3_PKT4_S5_PT5_21rocsparse_index_base_b
                                        ; -- End function
	.section	.AMDGPU.csdata,"",@progbits
; Kernel info:
; codeLenInByte = 1728
; NumSgprs: 22
; NumVgprs: 19
; ScratchSize: 0
; MemoryBound: 0
; FloatMode: 240
; IeeeMode: 1
; LDSByteSize: 2312 bytes/workgroup (compile time only)
; SGPRBlocks: 2
; VGPRBlocks: 2
; NumSGPRsForWavesPerEU: 22
; NumVGPRsForWavesPerEU: 19
; Occupancy: 15
; WaveLimiterHint : 1
; COMPUTE_PGM_RSRC2:SCRATCH_EN: 0
; COMPUTE_PGM_RSRC2:USER_SGPR: 15
; COMPUTE_PGM_RSRC2:TRAP_HANDLER: 0
; COMPUTE_PGM_RSRC2:TGID_X_EN: 1
; COMPUTE_PGM_RSRC2:TGID_Y_EN: 0
; COMPUTE_PGM_RSRC2:TGID_Z_EN: 0
; COMPUTE_PGM_RSRC2:TIDIG_COMP_CNT: 0
	.section	.text._ZN9rocsparseL20bsrxmvn_17_32_kernelILj18EdlidddEEvT2_20rocsparse_direction_NS_24const_host_device_scalarIT0_EES1_PKS1_PKT1_SA_S7_PKT3_PKT4_S5_PT5_21rocsparse_index_base_b,"axG",@progbits,_ZN9rocsparseL20bsrxmvn_17_32_kernelILj18EdlidddEEvT2_20rocsparse_direction_NS_24const_host_device_scalarIT0_EES1_PKS1_PKT1_SA_S7_PKT3_PKT4_S5_PT5_21rocsparse_index_base_b,comdat
	.globl	_ZN9rocsparseL20bsrxmvn_17_32_kernelILj18EdlidddEEvT2_20rocsparse_direction_NS_24const_host_device_scalarIT0_EES1_PKS1_PKT1_SA_S7_PKT3_PKT4_S5_PT5_21rocsparse_index_base_b ; -- Begin function _ZN9rocsparseL20bsrxmvn_17_32_kernelILj18EdlidddEEvT2_20rocsparse_direction_NS_24const_host_device_scalarIT0_EES1_PKS1_PKT1_SA_S7_PKT3_PKT4_S5_PT5_21rocsparse_index_base_b
	.p2align	8
	.type	_ZN9rocsparseL20bsrxmvn_17_32_kernelILj18EdlidddEEvT2_20rocsparse_direction_NS_24const_host_device_scalarIT0_EES1_PKS1_PKT1_SA_S7_PKT3_PKT4_S5_PT5_21rocsparse_index_base_b,@function
_ZN9rocsparseL20bsrxmvn_17_32_kernelILj18EdlidddEEvT2_20rocsparse_direction_NS_24const_host_device_scalarIT0_EES1_PKS1_PKT1_SA_S7_PKT3_PKT4_S5_PT5_21rocsparse_index_base_b: ; @_ZN9rocsparseL20bsrxmvn_17_32_kernelILj18EdlidddEEvT2_20rocsparse_direction_NS_24const_host_device_scalarIT0_EES1_PKS1_PKT1_SA_S7_PKT3_PKT4_S5_PT5_21rocsparse_index_base_b
; %bb.0:
	s_clause 0x2
	s_load_b64 s[12:13], s[0:1], 0x58
	s_load_b64 s[4:5], s[0:1], 0x8
	;; [unrolled: 1-line block ×3, first 2 shown]
	s_mov_b32 s8, s15
	s_waitcnt lgkmcnt(0)
	s_bitcmp1_b32 s13, 0
	v_dual_mov_b32 v3, s4 :: v_dual_mov_b32 v4, s5
	s_cselect_b32 s6, -1, 0
	s_delay_alu instid0(SALU_CYCLE_1)
	s_and_b32 vcc_lo, exec_lo, s6
	s_xor_b32 s6, s6, -1
	s_cbranch_vccnz .LBB81_2
; %bb.1:
	v_dual_mov_b32 v1, s4 :: v_dual_mov_b32 v2, s5
	flat_load_b64 v[3:4], v[1:2]
.LBB81_2:
	v_dual_mov_b32 v1, s2 :: v_dual_mov_b32 v2, s3
	s_and_not1_b32 vcc_lo, exec_lo, s6
	s_cbranch_vccnz .LBB81_4
; %bb.3:
	v_dual_mov_b32 v1, s2 :: v_dual_mov_b32 v2, s3
	flat_load_b64 v[1:2], v[1:2]
.LBB81_4:
	s_waitcnt vmcnt(0) lgkmcnt(0)
	v_cmp_neq_f64_e32 vcc_lo, 0, v[3:4]
	v_cmp_neq_f64_e64 s2, 1.0, v[1:2]
	s_delay_alu instid0(VALU_DEP_1) | instskip(NEXT) | instid1(SALU_CYCLE_1)
	s_or_b32 s2, vcc_lo, s2
	s_and_saveexec_b32 s3, s2
	s_cbranch_execz .LBB81_38
; %bb.5:
	s_clause 0x1
	s_load_b128 s[4:7], s[0:1], 0x18
	s_load_b64 s[10:11], s[0:1], 0x28
	s_waitcnt lgkmcnt(0)
	s_cmp_eq_u64 s[4:5], 0
	s_cbranch_scc1 .LBB81_7
; %bb.6:
	s_ashr_i32 s9, s8, 31
	s_delay_alu instid0(SALU_CYCLE_1) | instskip(NEXT) | instid1(SALU_CYCLE_1)
	s_lshl_b64 s[2:3], s[8:9], 2
	s_add_u32 s2, s4, s2
	s_addc_u32 s3, s5, s3
	s_load_b32 s2, s[2:3], 0x0
	s_waitcnt lgkmcnt(0)
	s_sub_i32 s8, s2, s12
.LBB81_7:
	s_load_b32 s3, s[0:1], 0x4
	v_mul_u32_u24_e32 v5, 0xe39, v0
	v_lshlrev_b32_e32 v12, 3, v0
	s_delay_alu instid0(VALU_DEP_2) | instskip(SKIP_2) | instid1(VALU_DEP_3)
	v_lshrrev_b32_e32 v7, 16, v5
	v_mov_b32_e32 v5, 0
	v_mov_b32_e32 v6, 0
	v_mul_lo_u16 v8, v7, 18
	s_delay_alu instid0(VALU_DEP_1)
	v_sub_nc_u16 v13, v0, v8
	s_waitcnt lgkmcnt(0)
	s_cmp_eq_u32 s3, 1
	s_cselect_b32 s2, -1, 0
	s_cmp_lg_u32 s3, 1
	s_cselect_b32 s3, -1, 0
	s_ashr_i32 s9, s8, 31
	s_delay_alu instid0(SALU_CYCLE_1) | instskip(NEXT) | instid1(SALU_CYCLE_1)
	s_lshl_b64 s[4:5], s[8:9], 3
	s_add_u32 s6, s6, s4
	s_addc_u32 s7, s7, s5
	s_add_u32 s9, s6, 8
	s_addc_u32 s13, s7, 0
	;; [unrolled: 2-line block ×3, first 2 shown]
	s_cmp_eq_u64 s[10:11], 0
	s_load_b64 s[10:11], s[0:1], 0x50
	s_cselect_b32 s5, s13, s5
	s_cselect_b32 s4, s9, s4
	s_load_b64 s[18:19], s[6:7], 0x0
	s_load_b64 s[14:15], s[4:5], 0x0
	s_waitcnt lgkmcnt(0)
	v_cmp_ge_i64_e64 s4, s[18:19], s[14:15]
	s_delay_alu instid0(VALU_DEP_1)
	s_and_b32 vcc_lo, exec_lo, s4
	s_cbranch_vccnz .LBB81_12
; %bb.8:
	v_mul_lo_u16 v5, v7, 15
	v_and_b32_e32 v6, 0xffff, v0
	s_sub_u32 s14, s14, s12
	s_subb_u32 s15, s15, 0
	s_sub_u32 s16, s18, s12
	v_lshrrev_b16 v5, 8, v5
	v_mul_u32_u24_e32 v6, 0x195, v6
	s_subb_u32 s17, s19, 0
	s_clause 0x1
	s_load_b128 s[4:7], s[0:1], 0x30
	s_load_b64 s[0:1], s[0:1], 0x40
	s_mul_hi_u32 s9, s16, 0xa20
	v_mul_lo_u16 v5, v5, 18
	v_lshrrev_b32_e32 v14, 17, v6
	s_mul_i32 s13, s17, 0xa20
	v_and_b32_e32 v6, 0xffff, v13
	s_add_i32 s9, s9, s13
	v_sub_nc_u16 v5, v7, v5
	v_add_co_u32 v8, s13, s18, v14
	s_delay_alu instid0(VALU_DEP_1) | instskip(NEXT) | instid1(VALU_DEP_3)
	v_add_co_ci_u32_e64 v9, null, s19, 0, s13
	v_and_b32_e32 v5, 0xff, v5
	s_delay_alu instid0(VALU_DEP_1) | instskip(NEXT) | instid1(VALU_DEP_4)
	v_cndmask_b32_e64 v7, v6, v5, s2
	v_sub_co_u32 v5, vcc_lo, v8, s12
	s_delay_alu instid0(VALU_DEP_4) | instskip(SKIP_2) | instid1(VALU_DEP_2)
	v_subrev_co_ci_u32_e32 v6, vcc_lo, 0, v9, vcc_lo
	v_lshlrev_b32_e32 v8, 3, v0
	s_mul_i32 s2, s16, 0xa20
	v_lshlrev_b64 v[10:11], 2, v[5:6]
	v_mov_b32_e32 v5, 0
	s_waitcnt lgkmcnt(0)
	s_add_u32 s2, s6, s2
	s_addc_u32 s6, s7, s9
	v_add_co_u32 v8, s2, s2, v8
	v_add_co_u32 v10, vcc_lo, s4, v10
	v_add_co_ci_u32_e64 v9, null, s6, 0, s2
	v_mov_b32_e32 v6, 0
	v_add_co_ci_u32_e32 v11, vcc_lo, s5, v11, vcc_lo
	s_set_inst_prefetch_distance 0x1
	s_branch .LBB81_10
	.p2align	6
.LBB81_9:                               ;   in Loop: Header=BB81_10 Depth=1
	s_or_b32 exec_lo, exec_lo, s2
	s_add_u32 s16, s16, 1
	s_addc_u32 s17, s17, 0
	v_add_co_u32 v10, vcc_lo, v10, 4
	v_cmp_lt_i64_e64 s2, s[16:17], s[14:15]
	v_add_co_ci_u32_e32 v11, vcc_lo, 0, v11, vcc_lo
	s_delay_alu instid0(VALU_DEP_2)
	s_and_b32 vcc_lo, exec_lo, s2
	s_cbranch_vccz .LBB81_12
.LBB81_10:                              ; =>This Inner Loop Header: Depth=1
	v_add_co_u32 v15, s2, v14, s16
	s_delay_alu instid0(VALU_DEP_1) | instskip(SKIP_1) | instid1(VALU_DEP_1)
	v_add_co_ci_u32_e64 v16, null, 0, s17, s2
	s_mov_b32 s2, exec_lo
	v_cmpx_gt_i64_e64 s[14:15], v[15:16]
	s_cbranch_execz .LBB81_9
; %bb.11:                               ;   in Loop: Header=BB81_10 Depth=1
	global_load_b32 v15, v[10:11], off
	s_waitcnt vmcnt(0)
	v_subrev_nc_u32_e32 v17, s12, v15
	s_delay_alu instid0(VALU_DEP_1) | instskip(NEXT) | instid1(VALU_DEP_1)
	v_mad_u64_u32 v[15:16], null, v17, 18, v[7:8]
	v_ashrrev_i32_e32 v16, 31, v15
	s_delay_alu instid0(VALU_DEP_1) | instskip(NEXT) | instid1(VALU_DEP_1)
	v_lshlrev_b64 v[15:16], 3, v[15:16]
	v_add_co_u32 v15, vcc_lo, s0, v15
	s_delay_alu instid0(VALU_DEP_2)
	v_add_co_ci_u32_e32 v16, vcc_lo, s1, v16, vcc_lo
	global_load_b64 v[17:18], v[8:9], off
	global_load_b64 v[15:16], v[15:16], off
	v_add_co_u32 v8, vcc_lo, 0xa20, v8
	v_add_co_ci_u32_e32 v9, vcc_lo, 0, v9, vcc_lo
	s_waitcnt vmcnt(0)
	v_fma_f64 v[5:6], v[17:18], v[15:16], v[5:6]
	s_branch .LBB81_9
.LBB81_12:
	s_set_inst_prefetch_distance 0x2
	s_and_b32 vcc_lo, exec_lo, s3
	ds_store_b64 v12, v[5:6]
	s_waitcnt lgkmcnt(0)
	s_barrier
	buffer_gl0_inv
	s_cbranch_vccz .LBB81_24
; %bb.13:
	v_cmp_gt_u16_e32 vcc_lo, 2, v13
	s_and_saveexec_b32 s0, vcc_lo
	s_cbranch_execz .LBB81_15
; %bb.14:
	ds_load_2addr_b64 v[7:10], v12 offset1:16
	s_waitcnt lgkmcnt(0)
	v_add_f64 v[7:8], v[9:10], v[7:8]
	ds_store_b64 v12, v[7:8]
.LBB81_15:
	s_or_b32 exec_lo, exec_lo, s0
	s_delay_alu instid0(SALU_CYCLE_1)
	s_mov_b32 s1, exec_lo
	s_waitcnt lgkmcnt(0)
	s_barrier
	buffer_gl0_inv
	v_cmpx_gt_u16_e32 8, v13
	s_cbranch_execz .LBB81_17
; %bb.16:
	ds_load_2addr_b64 v[7:10], v12 offset1:8
	s_waitcnt lgkmcnt(0)
	v_add_f64 v[7:8], v[9:10], v[7:8]
	ds_store_b64 v12, v[7:8]
.LBB81_17:
	s_or_b32 exec_lo, exec_lo, s1
	s_delay_alu instid0(SALU_CYCLE_1)
	s_mov_b32 s1, exec_lo
	s_waitcnt lgkmcnt(0)
	s_barrier
	buffer_gl0_inv
	v_cmpx_gt_u16_e32 4, v13
	s_cbranch_execz .LBB81_19
; %bb.18:
	ds_load_2addr_b64 v[7:10], v12 offset1:4
	s_waitcnt lgkmcnt(0)
	v_add_f64 v[7:8], v[9:10], v[7:8]
	ds_store_b64 v12, v[7:8]
.LBB81_19:
	s_or_b32 exec_lo, exec_lo, s1
	s_waitcnt lgkmcnt(0)
	s_barrier
	buffer_gl0_inv
	s_and_saveexec_b32 s0, vcc_lo
	s_cbranch_execz .LBB81_21
; %bb.20:
	ds_load_2addr_b64 v[7:10], v12 offset1:2
	s_waitcnt lgkmcnt(0)
	v_add_f64 v[7:8], v[9:10], v[7:8]
	ds_store_b64 v12, v[7:8]
.LBB81_21:
	s_or_b32 exec_lo, exec_lo, s0
	s_mov_b32 s0, 0
	s_mov_b32 s1, 0
	s_mov_b32 s2, exec_lo
	s_waitcnt lgkmcnt(0)
	s_barrier
	buffer_gl0_inv
                                        ; implicit-def: $vgpr7
                                        ; implicit-def: $vgpr8
	v_cmpx_gt_u32_e32 18, v0
	s_xor_b32 s2, exec_lo, s2
; %bb.22:
	v_mul_u32_u24_e32 v7, 18, v0
	v_mad_u32_u24 v8, 0x88, v0, v12
	s_mov_b32 s1, exec_lo
	s_delay_alu instid0(VALU_DEP_2)
	v_or_b32_e32 v7, 1, v7
; %bb.23:
	s_or_b32 exec_lo, exec_lo, s2
	s_delay_alu instid0(SALU_CYCLE_1)
	s_and_b32 vcc_lo, exec_lo, s0
	s_cbranch_vccnz .LBB81_25
	s_branch .LBB81_36
.LBB81_24:
	s_mov_b32 s1, 0
                                        ; implicit-def: $vgpr7
                                        ; implicit-def: $vgpr8
	s_cbranch_execz .LBB81_36
.LBB81_25:
	v_cmp_gt_u32_e32 vcc_lo, 36, v0
	s_and_saveexec_b32 s0, vcc_lo
	s_cbranch_execz .LBB81_27
; %bb.26:
	ds_load_b64 v[7:8], v12 offset:2304
	ds_load_b64 v[9:10], v12
	s_waitcnt lgkmcnt(0)
	v_add_f64 v[7:8], v[7:8], v[9:10]
	ds_store_b64 v12, v[7:8]
.LBB81_27:
	s_or_b32 exec_lo, exec_lo, s0
	s_delay_alu instid0(SALU_CYCLE_1)
	s_mov_b32 s2, exec_lo
	s_waitcnt lgkmcnt(0)
	s_barrier
	buffer_gl0_inv
	v_cmpx_gt_u32_e32 0x90, v0
	s_cbranch_execz .LBB81_29
; %bb.28:
	ds_load_2addr_b64 v[7:10], v12 offset1:144
	s_waitcnt lgkmcnt(0)
	v_add_f64 v[7:8], v[9:10], v[7:8]
	ds_store_b64 v12, v[7:8]
.LBB81_29:
	s_or_b32 exec_lo, exec_lo, s2
	s_delay_alu instid0(SALU_CYCLE_1)
	s_mov_b32 s2, exec_lo
	s_waitcnt lgkmcnt(0)
	s_barrier
	buffer_gl0_inv
	v_cmpx_gt_u32_e32 0x48, v0
	s_cbranch_execz .LBB81_31
; %bb.30:
	ds_load_2addr_b64 v[7:10], v12 offset1:72
	s_waitcnt lgkmcnt(0)
	v_add_f64 v[7:8], v[9:10], v[7:8]
	ds_store_b64 v12, v[7:8]
.LBB81_31:
	s_or_b32 exec_lo, exec_lo, s2
	s_waitcnt lgkmcnt(0)
	s_barrier
	buffer_gl0_inv
	s_and_saveexec_b32 s0, vcc_lo
	s_cbranch_execz .LBB81_33
; %bb.32:
	ds_load_2addr_b64 v[7:10], v12 offset1:36
	s_waitcnt lgkmcnt(0)
	v_add_f64 v[7:8], v[9:10], v[7:8]
	ds_store_b64 v12, v[7:8]
.LBB81_33:
	s_or_b32 exec_lo, exec_lo, s0
	s_delay_alu instid0(SALU_CYCLE_1)
	s_mov_b32 s0, exec_lo
	s_waitcnt lgkmcnt(0)
	buffer_gl0_inv
                                        ; implicit-def: $vgpr7
	v_cmpx_gt_u32_e32 18, v0
; %bb.34:
	v_add_nc_u32_e32 v7, 18, v0
	s_or_b32 s1, s1, exec_lo
                                        ; implicit-def: $vgpr5_vgpr6
; %bb.35:
	s_or_b32 exec_lo, exec_lo, s0
	v_mov_b32_e32 v8, v12
.LBB81_36:
	s_and_saveexec_b32 s0, s1
	s_cbranch_execnz .LBB81_39
; %bb.37:
	s_or_b32 exec_lo, exec_lo, s0
	v_cmp_gt_u32_e32 vcc_lo, 18, v0
	s_and_b32 exec_lo, exec_lo, vcc_lo
	s_cbranch_execnz .LBB81_40
.LBB81_38:
	s_nop 0
	s_sendmsg sendmsg(MSG_DEALLOC_VGPRS)
	s_endpgm
.LBB81_39:
	v_lshlrev_b32_e32 v7, 3, v7
	ds_load_b64 v[5:6], v8
	ds_load_b64 v[7:8], v7
	s_waitcnt lgkmcnt(0)
	v_add_f64 v[5:6], v[5:6], v[7:8]
	s_or_b32 exec_lo, exec_lo, s0
	v_cmp_gt_u32_e32 vcc_lo, 18, v0
	s_and_b32 exec_lo, exec_lo, vcc_lo
	s_cbranch_execz .LBB81_38
.LBB81_40:
	s_delay_alu instid0(VALU_DEP_2)
	v_mul_f64 v[3:4], v[3:4], v[5:6]
	s_mov_b32 s0, exec_lo
	v_cmpx_eq_f64_e32 0, v[1:2]
	s_xor_b32 s0, exec_lo, s0
	s_cbranch_execz .LBB81_42
; %bb.41:
	v_mad_u64_u32 v[1:2], null, s8, 18, v[0:1]
	v_mov_b32_e32 v2, 0
	s_delay_alu instid0(VALU_DEP_1) | instskip(NEXT) | instid1(VALU_DEP_1)
	v_lshlrev_b64 v[0:1], 3, v[1:2]
	v_add_co_u32 v0, vcc_lo, s10, v0
	s_delay_alu instid0(VALU_DEP_2)
	v_add_co_ci_u32_e32 v1, vcc_lo, s11, v1, vcc_lo
	global_store_b64 v[0:1], v[3:4], off
                                        ; implicit-def: $vgpr0
                                        ; implicit-def: $vgpr1_vgpr2
                                        ; implicit-def: $vgpr3_vgpr4
.LBB81_42:
	s_and_not1_saveexec_b32 s0, s0
	s_cbranch_execz .LBB81_38
; %bb.43:
	v_mad_u64_u32 v[5:6], null, s8, 18, v[0:1]
	v_mov_b32_e32 v6, 0
	s_delay_alu instid0(VALU_DEP_1) | instskip(NEXT) | instid1(VALU_DEP_1)
	v_lshlrev_b64 v[5:6], 3, v[5:6]
	v_add_co_u32 v5, vcc_lo, s10, v5
	s_delay_alu instid0(VALU_DEP_2)
	v_add_co_ci_u32_e32 v6, vcc_lo, s11, v6, vcc_lo
	global_load_b64 v[7:8], v[5:6], off
	s_waitcnt vmcnt(0)
	v_fma_f64 v[0:1], v[1:2], v[7:8], v[3:4]
	global_store_b64 v[5:6], v[0:1], off
	s_nop 0
	s_sendmsg sendmsg(MSG_DEALLOC_VGPRS)
	s_endpgm
	.section	.rodata,"a",@progbits
	.p2align	6, 0x0
	.amdhsa_kernel _ZN9rocsparseL20bsrxmvn_17_32_kernelILj18EdlidddEEvT2_20rocsparse_direction_NS_24const_host_device_scalarIT0_EES1_PKS1_PKT1_SA_S7_PKT3_PKT4_S5_PT5_21rocsparse_index_base_b
		.amdhsa_group_segment_fixed_size 2592
		.amdhsa_private_segment_fixed_size 0
		.amdhsa_kernarg_size 96
		.amdhsa_user_sgpr_count 15
		.amdhsa_user_sgpr_dispatch_ptr 0
		.amdhsa_user_sgpr_queue_ptr 0
		.amdhsa_user_sgpr_kernarg_segment_ptr 1
		.amdhsa_user_sgpr_dispatch_id 0
		.amdhsa_user_sgpr_private_segment_size 0
		.amdhsa_wavefront_size32 1
		.amdhsa_uses_dynamic_stack 0
		.amdhsa_enable_private_segment 0
		.amdhsa_system_sgpr_workgroup_id_x 1
		.amdhsa_system_sgpr_workgroup_id_y 0
		.amdhsa_system_sgpr_workgroup_id_z 0
		.amdhsa_system_sgpr_workgroup_info 0
		.amdhsa_system_vgpr_workitem_id 0
		.amdhsa_next_free_vgpr 19
		.amdhsa_next_free_sgpr 20
		.amdhsa_reserve_vcc 1
		.amdhsa_float_round_mode_32 0
		.amdhsa_float_round_mode_16_64 0
		.amdhsa_float_denorm_mode_32 3
		.amdhsa_float_denorm_mode_16_64 3
		.amdhsa_dx10_clamp 1
		.amdhsa_ieee_mode 1
		.amdhsa_fp16_overflow 0
		.amdhsa_workgroup_processor_mode 1
		.amdhsa_memory_ordered 1
		.amdhsa_forward_progress 0
		.amdhsa_shared_vgpr_count 0
		.amdhsa_exception_fp_ieee_invalid_op 0
		.amdhsa_exception_fp_denorm_src 0
		.amdhsa_exception_fp_ieee_div_zero 0
		.amdhsa_exception_fp_ieee_overflow 0
		.amdhsa_exception_fp_ieee_underflow 0
		.amdhsa_exception_fp_ieee_inexact 0
		.amdhsa_exception_int_div_zero 0
	.end_amdhsa_kernel
	.section	.text._ZN9rocsparseL20bsrxmvn_17_32_kernelILj18EdlidddEEvT2_20rocsparse_direction_NS_24const_host_device_scalarIT0_EES1_PKS1_PKT1_SA_S7_PKT3_PKT4_S5_PT5_21rocsparse_index_base_b,"axG",@progbits,_ZN9rocsparseL20bsrxmvn_17_32_kernelILj18EdlidddEEvT2_20rocsparse_direction_NS_24const_host_device_scalarIT0_EES1_PKS1_PKT1_SA_S7_PKT3_PKT4_S5_PT5_21rocsparse_index_base_b,comdat
.Lfunc_end81:
	.size	_ZN9rocsparseL20bsrxmvn_17_32_kernelILj18EdlidddEEvT2_20rocsparse_direction_NS_24const_host_device_scalarIT0_EES1_PKS1_PKT1_SA_S7_PKT3_PKT4_S5_PT5_21rocsparse_index_base_b, .Lfunc_end81-_ZN9rocsparseL20bsrxmvn_17_32_kernelILj18EdlidddEEvT2_20rocsparse_direction_NS_24const_host_device_scalarIT0_EES1_PKS1_PKT1_SA_S7_PKT3_PKT4_S5_PT5_21rocsparse_index_base_b
                                        ; -- End function
	.section	.AMDGPU.csdata,"",@progbits
; Kernel info:
; codeLenInByte = 1712
; NumSgprs: 22
; NumVgprs: 19
; ScratchSize: 0
; MemoryBound: 0
; FloatMode: 240
; IeeeMode: 1
; LDSByteSize: 2592 bytes/workgroup (compile time only)
; SGPRBlocks: 2
; VGPRBlocks: 2
; NumSGPRsForWavesPerEU: 22
; NumVGPRsForWavesPerEU: 19
; Occupancy: 14
; WaveLimiterHint : 1
; COMPUTE_PGM_RSRC2:SCRATCH_EN: 0
; COMPUTE_PGM_RSRC2:USER_SGPR: 15
; COMPUTE_PGM_RSRC2:TRAP_HANDLER: 0
; COMPUTE_PGM_RSRC2:TGID_X_EN: 1
; COMPUTE_PGM_RSRC2:TGID_Y_EN: 0
; COMPUTE_PGM_RSRC2:TGID_Z_EN: 0
; COMPUTE_PGM_RSRC2:TIDIG_COMP_CNT: 0
	.section	.text._ZN9rocsparseL20bsrxmvn_17_32_kernelILj19EdlidddEEvT2_20rocsparse_direction_NS_24const_host_device_scalarIT0_EES1_PKS1_PKT1_SA_S7_PKT3_PKT4_S5_PT5_21rocsparse_index_base_b,"axG",@progbits,_ZN9rocsparseL20bsrxmvn_17_32_kernelILj19EdlidddEEvT2_20rocsparse_direction_NS_24const_host_device_scalarIT0_EES1_PKS1_PKT1_SA_S7_PKT3_PKT4_S5_PT5_21rocsparse_index_base_b,comdat
	.globl	_ZN9rocsparseL20bsrxmvn_17_32_kernelILj19EdlidddEEvT2_20rocsparse_direction_NS_24const_host_device_scalarIT0_EES1_PKS1_PKT1_SA_S7_PKT3_PKT4_S5_PT5_21rocsparse_index_base_b ; -- Begin function _ZN9rocsparseL20bsrxmvn_17_32_kernelILj19EdlidddEEvT2_20rocsparse_direction_NS_24const_host_device_scalarIT0_EES1_PKS1_PKT1_SA_S7_PKT3_PKT4_S5_PT5_21rocsparse_index_base_b
	.p2align	8
	.type	_ZN9rocsparseL20bsrxmvn_17_32_kernelILj19EdlidddEEvT2_20rocsparse_direction_NS_24const_host_device_scalarIT0_EES1_PKS1_PKT1_SA_S7_PKT3_PKT4_S5_PT5_21rocsparse_index_base_b,@function
_ZN9rocsparseL20bsrxmvn_17_32_kernelILj19EdlidddEEvT2_20rocsparse_direction_NS_24const_host_device_scalarIT0_EES1_PKS1_PKT1_SA_S7_PKT3_PKT4_S5_PT5_21rocsparse_index_base_b: ; @_ZN9rocsparseL20bsrxmvn_17_32_kernelILj19EdlidddEEvT2_20rocsparse_direction_NS_24const_host_device_scalarIT0_EES1_PKS1_PKT1_SA_S7_PKT3_PKT4_S5_PT5_21rocsparse_index_base_b
; %bb.0:
	s_clause 0x2
	s_load_b64 s[12:13], s[0:1], 0x58
	s_load_b64 s[4:5], s[0:1], 0x8
	;; [unrolled: 1-line block ×3, first 2 shown]
	s_mov_b32 s8, s15
	s_waitcnt lgkmcnt(0)
	s_bitcmp1_b32 s13, 0
	v_dual_mov_b32 v3, s4 :: v_dual_mov_b32 v4, s5
	s_cselect_b32 s6, -1, 0
	s_delay_alu instid0(SALU_CYCLE_1)
	s_and_b32 vcc_lo, exec_lo, s6
	s_xor_b32 s6, s6, -1
	s_cbranch_vccnz .LBB82_2
; %bb.1:
	v_dual_mov_b32 v1, s4 :: v_dual_mov_b32 v2, s5
	flat_load_b64 v[3:4], v[1:2]
.LBB82_2:
	v_dual_mov_b32 v1, s2 :: v_dual_mov_b32 v2, s3
	s_and_not1_b32 vcc_lo, exec_lo, s6
	s_cbranch_vccnz .LBB82_4
; %bb.3:
	v_dual_mov_b32 v1, s2 :: v_dual_mov_b32 v2, s3
	flat_load_b64 v[1:2], v[1:2]
.LBB82_4:
	s_waitcnt vmcnt(0) lgkmcnt(0)
	v_cmp_neq_f64_e32 vcc_lo, 0, v[3:4]
	v_cmp_neq_f64_e64 s2, 1.0, v[1:2]
	s_delay_alu instid0(VALU_DEP_1) | instskip(NEXT) | instid1(SALU_CYCLE_1)
	s_or_b32 s2, vcc_lo, s2
	s_and_saveexec_b32 s3, s2
	s_cbranch_execz .LBB82_38
; %bb.5:
	s_clause 0x1
	s_load_b128 s[4:7], s[0:1], 0x18
	s_load_b64 s[10:11], s[0:1], 0x28
	s_waitcnt lgkmcnt(0)
	s_cmp_eq_u64 s[4:5], 0
	s_cbranch_scc1 .LBB82_7
; %bb.6:
	s_ashr_i32 s9, s8, 31
	s_delay_alu instid0(SALU_CYCLE_1) | instskip(NEXT) | instid1(SALU_CYCLE_1)
	s_lshl_b64 s[2:3], s[8:9], 2
	s_add_u32 s2, s4, s2
	s_addc_u32 s3, s5, s3
	s_load_b32 s2, s[2:3], 0x0
	s_waitcnt lgkmcnt(0)
	s_sub_i32 s8, s2, s12
.LBB82_7:
	s_load_b32 s3, s[0:1], 0x4
	v_mul_u32_u24_e32 v5, 0xd7a, v0
	v_lshlrev_b32_e32 v12, 3, v0
	s_delay_alu instid0(VALU_DEP_2) | instskip(SKIP_2) | instid1(VALU_DEP_3)
	v_lshrrev_b32_e32 v7, 16, v5
	v_mov_b32_e32 v5, 0
	v_mov_b32_e32 v6, 0
	v_mul_lo_u16 v8, v7, 19
	s_delay_alu instid0(VALU_DEP_1)
	v_sub_nc_u16 v13, v0, v8
	s_waitcnt lgkmcnt(0)
	s_cmp_eq_u32 s3, 1
	s_cselect_b32 s2, -1, 0
	s_cmp_lg_u32 s3, 1
	s_cselect_b32 s3, -1, 0
	s_ashr_i32 s9, s8, 31
	s_delay_alu instid0(SALU_CYCLE_1) | instskip(NEXT) | instid1(SALU_CYCLE_1)
	s_lshl_b64 s[4:5], s[8:9], 3
	s_add_u32 s6, s6, s4
	s_addc_u32 s7, s7, s5
	s_add_u32 s9, s6, 8
	s_addc_u32 s13, s7, 0
	;; [unrolled: 2-line block ×3, first 2 shown]
	s_cmp_eq_u64 s[10:11], 0
	s_load_b64 s[10:11], s[0:1], 0x50
	s_cselect_b32 s5, s13, s5
	s_cselect_b32 s4, s9, s4
	s_load_b64 s[18:19], s[6:7], 0x0
	s_load_b64 s[14:15], s[4:5], 0x0
	s_waitcnt lgkmcnt(0)
	v_cmp_ge_i64_e64 s4, s[18:19], s[14:15]
	s_delay_alu instid0(VALU_DEP_1)
	s_and_b32 vcc_lo, exec_lo, s4
	s_cbranch_vccnz .LBB82_12
; %bb.8:
	v_mul_lo_u16 v5, v7, 14
	v_and_b32_e32 v6, 0xffff, v0
	s_sub_u32 s14, s14, s12
	s_subb_u32 s15, s15, 0
	s_sub_u32 s16, s18, s12
	v_lshrrev_b16 v5, 8, v5
	v_mul_u32_u24_e32 v6, 0xb6, v6
	s_subb_u32 s17, s19, 0
	s_clause 0x1
	s_load_b128 s[4:7], s[0:1], 0x30
	s_load_b64 s[0:1], s[0:1], 0x40
	s_mul_hi_u32 s9, s16, 0xb48
	v_mul_lo_u16 v5, v5, 19
	v_lshrrev_b32_e32 v14, 16, v6
	s_mul_i32 s13, s17, 0xb48
	v_and_b32_e32 v6, 0xffff, v13
	s_add_i32 s9, s9, s13
	v_sub_nc_u16 v5, v7, v5
	v_add_co_u32 v8, s13, s18, v14
	s_delay_alu instid0(VALU_DEP_1) | instskip(NEXT) | instid1(VALU_DEP_3)
	v_add_co_ci_u32_e64 v9, null, s19, 0, s13
	v_and_b32_e32 v5, 0xff, v5
	s_delay_alu instid0(VALU_DEP_1) | instskip(NEXT) | instid1(VALU_DEP_4)
	v_cndmask_b32_e64 v7, v6, v5, s2
	v_sub_co_u32 v5, vcc_lo, v8, s12
	s_delay_alu instid0(VALU_DEP_4) | instskip(SKIP_2) | instid1(VALU_DEP_2)
	v_subrev_co_ci_u32_e32 v6, vcc_lo, 0, v9, vcc_lo
	v_lshlrev_b32_e32 v8, 3, v0
	s_mul_i32 s2, s16, 0xb48
	v_lshlrev_b64 v[10:11], 2, v[5:6]
	v_mov_b32_e32 v5, 0
	s_waitcnt lgkmcnt(0)
	s_add_u32 s2, s6, s2
	s_addc_u32 s6, s7, s9
	v_add_co_u32 v8, s2, s2, v8
	v_add_co_u32 v10, vcc_lo, s4, v10
	v_add_co_ci_u32_e64 v9, null, s6, 0, s2
	v_mov_b32_e32 v6, 0
	v_add_co_ci_u32_e32 v11, vcc_lo, s5, v11, vcc_lo
	s_set_inst_prefetch_distance 0x1
	s_branch .LBB82_10
	.p2align	6
.LBB82_9:                               ;   in Loop: Header=BB82_10 Depth=1
	s_or_b32 exec_lo, exec_lo, s2
	s_add_u32 s16, s16, 1
	s_addc_u32 s17, s17, 0
	v_add_co_u32 v10, vcc_lo, v10, 4
	v_cmp_lt_i64_e64 s2, s[16:17], s[14:15]
	v_add_co_ci_u32_e32 v11, vcc_lo, 0, v11, vcc_lo
	s_delay_alu instid0(VALU_DEP_2)
	s_and_b32 vcc_lo, exec_lo, s2
	s_cbranch_vccz .LBB82_12
.LBB82_10:                              ; =>This Inner Loop Header: Depth=1
	v_add_co_u32 v15, s2, v14, s16
	s_delay_alu instid0(VALU_DEP_1) | instskip(SKIP_1) | instid1(VALU_DEP_1)
	v_add_co_ci_u32_e64 v16, null, 0, s17, s2
	s_mov_b32 s2, exec_lo
	v_cmpx_gt_i64_e64 s[14:15], v[15:16]
	s_cbranch_execz .LBB82_9
; %bb.11:                               ;   in Loop: Header=BB82_10 Depth=1
	global_load_b32 v15, v[10:11], off
	s_waitcnt vmcnt(0)
	v_subrev_nc_u32_e32 v17, s12, v15
	s_delay_alu instid0(VALU_DEP_1) | instskip(NEXT) | instid1(VALU_DEP_1)
	v_mad_u64_u32 v[15:16], null, v17, 19, v[7:8]
	v_ashrrev_i32_e32 v16, 31, v15
	s_delay_alu instid0(VALU_DEP_1) | instskip(NEXT) | instid1(VALU_DEP_1)
	v_lshlrev_b64 v[15:16], 3, v[15:16]
	v_add_co_u32 v15, vcc_lo, s0, v15
	s_delay_alu instid0(VALU_DEP_2)
	v_add_co_ci_u32_e32 v16, vcc_lo, s1, v16, vcc_lo
	global_load_b64 v[17:18], v[8:9], off
	global_load_b64 v[15:16], v[15:16], off
	v_add_co_u32 v8, vcc_lo, 0xb48, v8
	v_add_co_ci_u32_e32 v9, vcc_lo, 0, v9, vcc_lo
	s_waitcnt vmcnt(0)
	v_fma_f64 v[5:6], v[17:18], v[15:16], v[5:6]
	s_branch .LBB82_9
.LBB82_12:
	s_set_inst_prefetch_distance 0x2
	s_and_b32 vcc_lo, exec_lo, s3
	ds_store_b64 v12, v[5:6]
	s_waitcnt lgkmcnt(0)
	s_barrier
	buffer_gl0_inv
	s_cbranch_vccz .LBB82_24
; %bb.13:
	s_mov_b32 s0, exec_lo
	v_cmpx_gt_u16_e32 3, v13
	s_cbranch_execz .LBB82_15
; %bb.14:
	ds_load_2addr_b64 v[7:10], v12 offset1:16
	s_waitcnt lgkmcnt(0)
	v_add_f64 v[7:8], v[9:10], v[7:8]
	ds_store_b64 v12, v[7:8]
.LBB82_15:
	s_or_b32 exec_lo, exec_lo, s0
	s_delay_alu instid0(SALU_CYCLE_1)
	s_mov_b32 s0, exec_lo
	s_waitcnt lgkmcnt(0)
	s_barrier
	buffer_gl0_inv
	v_cmpx_gt_u16_e32 8, v13
	s_cbranch_execz .LBB82_17
; %bb.16:
	ds_load_2addr_b64 v[7:10], v12 offset1:8
	s_waitcnt lgkmcnt(0)
	v_add_f64 v[7:8], v[9:10], v[7:8]
	ds_store_b64 v12, v[7:8]
.LBB82_17:
	s_or_b32 exec_lo, exec_lo, s0
	s_delay_alu instid0(SALU_CYCLE_1)
	s_mov_b32 s0, exec_lo
	s_waitcnt lgkmcnt(0)
	s_barrier
	buffer_gl0_inv
	;; [unrolled: 14-line block ×3, first 2 shown]
	v_cmpx_gt_u16_e32 2, v13
	s_cbranch_execz .LBB82_21
; %bb.20:
	ds_load_2addr_b64 v[7:10], v12 offset1:2
	s_waitcnt lgkmcnt(0)
	v_add_f64 v[7:8], v[9:10], v[7:8]
	ds_store_b64 v12, v[7:8]
.LBB82_21:
	s_or_b32 exec_lo, exec_lo, s0
	s_mov_b32 s1, 0
	s_mov_b32 s0, 0
	s_mov_b32 s2, exec_lo
	s_waitcnt lgkmcnt(0)
	s_barrier
	buffer_gl0_inv
                                        ; implicit-def: $vgpr7
                                        ; implicit-def: $vgpr8
	v_cmpx_gt_u32_e32 19, v0
	s_xor_b32 s2, exec_lo, s2
; %bb.22:
	v_mad_u32_u24 v7, v0, 19, 1
	v_mad_u32_u24 v8, 0x90, v0, v12
	s_mov_b32 s0, exec_lo
; %bb.23:
	s_or_b32 exec_lo, exec_lo, s2
	s_delay_alu instid0(SALU_CYCLE_1)
	s_and_b32 vcc_lo, exec_lo, s1
	s_cbranch_vccnz .LBB82_25
	s_branch .LBB82_36
.LBB82_24:
	s_mov_b32 s0, 0
                                        ; implicit-def: $vgpr7
                                        ; implicit-def: $vgpr8
	s_cbranch_execz .LBB82_36
.LBB82_25:
	s_mov_b32 s1, exec_lo
	v_cmpx_gt_u32_e32 57, v0
	s_cbranch_execz .LBB82_27
; %bb.26:
	ds_load_b64 v[7:8], v12 offset:2432
	ds_load_b64 v[9:10], v12
	s_waitcnt lgkmcnt(0)
	v_add_f64 v[7:8], v[7:8], v[9:10]
	ds_store_b64 v12, v[7:8]
.LBB82_27:
	s_or_b32 exec_lo, exec_lo, s1
	s_delay_alu instid0(SALU_CYCLE_1)
	s_mov_b32 s1, exec_lo
	s_waitcnt lgkmcnt(0)
	s_barrier
	buffer_gl0_inv
	v_cmpx_gt_u32_e32 0x98, v0
	s_cbranch_execz .LBB82_29
; %bb.28:
	ds_load_2addr_b64 v[7:10], v12 offset1:152
	s_waitcnt lgkmcnt(0)
	v_add_f64 v[7:8], v[9:10], v[7:8]
	ds_store_b64 v12, v[7:8]
.LBB82_29:
	s_or_b32 exec_lo, exec_lo, s1
	s_delay_alu instid0(SALU_CYCLE_1)
	s_mov_b32 s1, exec_lo
	s_waitcnt lgkmcnt(0)
	s_barrier
	buffer_gl0_inv
	v_cmpx_gt_u32_e32 0x4c, v0
	s_cbranch_execz .LBB82_31
; %bb.30:
	ds_load_2addr_b64 v[7:10], v12 offset1:76
	s_waitcnt lgkmcnt(0)
	v_add_f64 v[7:8], v[9:10], v[7:8]
	ds_store_b64 v12, v[7:8]
.LBB82_31:
	;; [unrolled: 14-line block ×3, first 2 shown]
	s_or_b32 exec_lo, exec_lo, s1
	s_delay_alu instid0(SALU_CYCLE_1)
	s_mov_b32 s1, exec_lo
	s_waitcnt lgkmcnt(0)
	buffer_gl0_inv
                                        ; implicit-def: $vgpr7
	v_cmpx_gt_u32_e32 19, v0
; %bb.34:
	v_add_nc_u32_e32 v7, 19, v0
	s_or_b32 s0, s0, exec_lo
                                        ; implicit-def: $vgpr5_vgpr6
; %bb.35:
	s_or_b32 exec_lo, exec_lo, s1
	v_mov_b32_e32 v8, v12
.LBB82_36:
	s_and_saveexec_b32 s1, s0
	s_cbranch_execnz .LBB82_39
; %bb.37:
	s_or_b32 exec_lo, exec_lo, s1
	v_cmp_gt_u32_e32 vcc_lo, 19, v0
	s_and_b32 exec_lo, exec_lo, vcc_lo
	s_cbranch_execnz .LBB82_40
.LBB82_38:
	s_nop 0
	s_sendmsg sendmsg(MSG_DEALLOC_VGPRS)
	s_endpgm
.LBB82_39:
	v_lshlrev_b32_e32 v7, 3, v7
	ds_load_b64 v[5:6], v8
	ds_load_b64 v[7:8], v7
	s_waitcnt lgkmcnt(0)
	v_add_f64 v[5:6], v[5:6], v[7:8]
	s_or_b32 exec_lo, exec_lo, s1
	v_cmp_gt_u32_e32 vcc_lo, 19, v0
	s_and_b32 exec_lo, exec_lo, vcc_lo
	s_cbranch_execz .LBB82_38
.LBB82_40:
	s_delay_alu instid0(VALU_DEP_2)
	v_mul_f64 v[3:4], v[3:4], v[5:6]
	s_mov_b32 s0, exec_lo
	v_cmpx_eq_f64_e32 0, v[1:2]
	s_xor_b32 s0, exec_lo, s0
	s_cbranch_execz .LBB82_42
; %bb.41:
	v_mad_u64_u32 v[1:2], null, s8, 19, v[0:1]
	v_mov_b32_e32 v2, 0
	s_delay_alu instid0(VALU_DEP_1) | instskip(NEXT) | instid1(VALU_DEP_1)
	v_lshlrev_b64 v[0:1], 3, v[1:2]
	v_add_co_u32 v0, vcc_lo, s10, v0
	s_delay_alu instid0(VALU_DEP_2)
	v_add_co_ci_u32_e32 v1, vcc_lo, s11, v1, vcc_lo
	global_store_b64 v[0:1], v[3:4], off
                                        ; implicit-def: $vgpr0
                                        ; implicit-def: $vgpr1_vgpr2
                                        ; implicit-def: $vgpr3_vgpr4
.LBB82_42:
	s_and_not1_saveexec_b32 s0, s0
	s_cbranch_execz .LBB82_38
; %bb.43:
	v_mad_u64_u32 v[5:6], null, s8, 19, v[0:1]
	v_mov_b32_e32 v6, 0
	s_delay_alu instid0(VALU_DEP_1) | instskip(NEXT) | instid1(VALU_DEP_1)
	v_lshlrev_b64 v[5:6], 3, v[5:6]
	v_add_co_u32 v5, vcc_lo, s10, v5
	s_delay_alu instid0(VALU_DEP_2)
	v_add_co_ci_u32_e32 v6, vcc_lo, s11, v6, vcc_lo
	global_load_b64 v[7:8], v[5:6], off
	s_waitcnt vmcnt(0)
	v_fma_f64 v[0:1], v[1:2], v[7:8], v[3:4]
	global_store_b64 v[5:6], v[0:1], off
	s_nop 0
	s_sendmsg sendmsg(MSG_DEALLOC_VGPRS)
	s_endpgm
	.section	.rodata,"a",@progbits
	.p2align	6, 0x0
	.amdhsa_kernel _ZN9rocsparseL20bsrxmvn_17_32_kernelILj19EdlidddEEvT2_20rocsparse_direction_NS_24const_host_device_scalarIT0_EES1_PKS1_PKT1_SA_S7_PKT3_PKT4_S5_PT5_21rocsparse_index_base_b
		.amdhsa_group_segment_fixed_size 2888
		.amdhsa_private_segment_fixed_size 0
		.amdhsa_kernarg_size 96
		.amdhsa_user_sgpr_count 15
		.amdhsa_user_sgpr_dispatch_ptr 0
		.amdhsa_user_sgpr_queue_ptr 0
		.amdhsa_user_sgpr_kernarg_segment_ptr 1
		.amdhsa_user_sgpr_dispatch_id 0
		.amdhsa_user_sgpr_private_segment_size 0
		.amdhsa_wavefront_size32 1
		.amdhsa_uses_dynamic_stack 0
		.amdhsa_enable_private_segment 0
		.amdhsa_system_sgpr_workgroup_id_x 1
		.amdhsa_system_sgpr_workgroup_id_y 0
		.amdhsa_system_sgpr_workgroup_id_z 0
		.amdhsa_system_sgpr_workgroup_info 0
		.amdhsa_system_vgpr_workitem_id 0
		.amdhsa_next_free_vgpr 19
		.amdhsa_next_free_sgpr 20
		.amdhsa_reserve_vcc 1
		.amdhsa_float_round_mode_32 0
		.amdhsa_float_round_mode_16_64 0
		.amdhsa_float_denorm_mode_32 3
		.amdhsa_float_denorm_mode_16_64 3
		.amdhsa_dx10_clamp 1
		.amdhsa_ieee_mode 1
		.amdhsa_fp16_overflow 0
		.amdhsa_workgroup_processor_mode 1
		.amdhsa_memory_ordered 1
		.amdhsa_forward_progress 0
		.amdhsa_shared_vgpr_count 0
		.amdhsa_exception_fp_ieee_invalid_op 0
		.amdhsa_exception_fp_denorm_src 0
		.amdhsa_exception_fp_ieee_div_zero 0
		.amdhsa_exception_fp_ieee_overflow 0
		.amdhsa_exception_fp_ieee_underflow 0
		.amdhsa_exception_fp_ieee_inexact 0
		.amdhsa_exception_int_div_zero 0
	.end_amdhsa_kernel
	.section	.text._ZN9rocsparseL20bsrxmvn_17_32_kernelILj19EdlidddEEvT2_20rocsparse_direction_NS_24const_host_device_scalarIT0_EES1_PKS1_PKT1_SA_S7_PKT3_PKT4_S5_PT5_21rocsparse_index_base_b,"axG",@progbits,_ZN9rocsparseL20bsrxmvn_17_32_kernelILj19EdlidddEEvT2_20rocsparse_direction_NS_24const_host_device_scalarIT0_EES1_PKS1_PKT1_SA_S7_PKT3_PKT4_S5_PT5_21rocsparse_index_base_b,comdat
.Lfunc_end82:
	.size	_ZN9rocsparseL20bsrxmvn_17_32_kernelILj19EdlidddEEvT2_20rocsparse_direction_NS_24const_host_device_scalarIT0_EES1_PKS1_PKT1_SA_S7_PKT3_PKT4_S5_PT5_21rocsparse_index_base_b, .Lfunc_end82-_ZN9rocsparseL20bsrxmvn_17_32_kernelILj19EdlidddEEvT2_20rocsparse_direction_NS_24const_host_device_scalarIT0_EES1_PKS1_PKT1_SA_S7_PKT3_PKT4_S5_PT5_21rocsparse_index_base_b
                                        ; -- End function
	.section	.AMDGPU.csdata,"",@progbits
; Kernel info:
; codeLenInByte = 1724
; NumSgprs: 22
; NumVgprs: 19
; ScratchSize: 0
; MemoryBound: 0
; FloatMode: 240
; IeeeMode: 1
; LDSByteSize: 2888 bytes/workgroup (compile time only)
; SGPRBlocks: 2
; VGPRBlocks: 2
; NumSGPRsForWavesPerEU: 22
; NumVGPRsForWavesPerEU: 19
; Occupancy: 15
; WaveLimiterHint : 1
; COMPUTE_PGM_RSRC2:SCRATCH_EN: 0
; COMPUTE_PGM_RSRC2:USER_SGPR: 15
; COMPUTE_PGM_RSRC2:TRAP_HANDLER: 0
; COMPUTE_PGM_RSRC2:TGID_X_EN: 1
; COMPUTE_PGM_RSRC2:TGID_Y_EN: 0
; COMPUTE_PGM_RSRC2:TGID_Z_EN: 0
; COMPUTE_PGM_RSRC2:TIDIG_COMP_CNT: 0
	.section	.text._ZN9rocsparseL20bsrxmvn_17_32_kernelILj20EdlidddEEvT2_20rocsparse_direction_NS_24const_host_device_scalarIT0_EES1_PKS1_PKT1_SA_S7_PKT3_PKT4_S5_PT5_21rocsparse_index_base_b,"axG",@progbits,_ZN9rocsparseL20bsrxmvn_17_32_kernelILj20EdlidddEEvT2_20rocsparse_direction_NS_24const_host_device_scalarIT0_EES1_PKS1_PKT1_SA_S7_PKT3_PKT4_S5_PT5_21rocsparse_index_base_b,comdat
	.globl	_ZN9rocsparseL20bsrxmvn_17_32_kernelILj20EdlidddEEvT2_20rocsparse_direction_NS_24const_host_device_scalarIT0_EES1_PKS1_PKT1_SA_S7_PKT3_PKT4_S5_PT5_21rocsparse_index_base_b ; -- Begin function _ZN9rocsparseL20bsrxmvn_17_32_kernelILj20EdlidddEEvT2_20rocsparse_direction_NS_24const_host_device_scalarIT0_EES1_PKS1_PKT1_SA_S7_PKT3_PKT4_S5_PT5_21rocsparse_index_base_b
	.p2align	8
	.type	_ZN9rocsparseL20bsrxmvn_17_32_kernelILj20EdlidddEEvT2_20rocsparse_direction_NS_24const_host_device_scalarIT0_EES1_PKS1_PKT1_SA_S7_PKT3_PKT4_S5_PT5_21rocsparse_index_base_b,@function
_ZN9rocsparseL20bsrxmvn_17_32_kernelILj20EdlidddEEvT2_20rocsparse_direction_NS_24const_host_device_scalarIT0_EES1_PKS1_PKT1_SA_S7_PKT3_PKT4_S5_PT5_21rocsparse_index_base_b: ; @_ZN9rocsparseL20bsrxmvn_17_32_kernelILj20EdlidddEEvT2_20rocsparse_direction_NS_24const_host_device_scalarIT0_EES1_PKS1_PKT1_SA_S7_PKT3_PKT4_S5_PT5_21rocsparse_index_base_b
; %bb.0:
	s_clause 0x2
	s_load_b64 s[12:13], s[0:1], 0x58
	s_load_b64 s[4:5], s[0:1], 0x8
	s_load_b64 s[2:3], s[0:1], 0x48
	s_mov_b32 s8, s15
	s_waitcnt lgkmcnt(0)
	s_bitcmp1_b32 s13, 0
	v_dual_mov_b32 v3, s4 :: v_dual_mov_b32 v4, s5
	s_cselect_b32 s6, -1, 0
	s_delay_alu instid0(SALU_CYCLE_1)
	s_and_b32 vcc_lo, exec_lo, s6
	s_xor_b32 s6, s6, -1
	s_cbranch_vccnz .LBB83_2
; %bb.1:
	v_dual_mov_b32 v1, s4 :: v_dual_mov_b32 v2, s5
	flat_load_b64 v[3:4], v[1:2]
.LBB83_2:
	v_dual_mov_b32 v1, s2 :: v_dual_mov_b32 v2, s3
	s_and_not1_b32 vcc_lo, exec_lo, s6
	s_cbranch_vccnz .LBB83_4
; %bb.3:
	v_dual_mov_b32 v1, s2 :: v_dual_mov_b32 v2, s3
	flat_load_b64 v[1:2], v[1:2]
.LBB83_4:
	s_waitcnt vmcnt(0) lgkmcnt(0)
	v_cmp_neq_f64_e32 vcc_lo, 0, v[3:4]
	v_cmp_neq_f64_e64 s2, 1.0, v[1:2]
	s_delay_alu instid0(VALU_DEP_1) | instskip(NEXT) | instid1(SALU_CYCLE_1)
	s_or_b32 s2, vcc_lo, s2
	s_and_saveexec_b32 s3, s2
	s_cbranch_execz .LBB83_38
; %bb.5:
	s_clause 0x1
	s_load_b128 s[4:7], s[0:1], 0x18
	s_load_b64 s[10:11], s[0:1], 0x28
	s_waitcnt lgkmcnt(0)
	s_cmp_eq_u64 s[4:5], 0
	s_cbranch_scc1 .LBB83_7
; %bb.6:
	s_ashr_i32 s9, s8, 31
	s_delay_alu instid0(SALU_CYCLE_1) | instskip(NEXT) | instid1(SALU_CYCLE_1)
	s_lshl_b64 s[2:3], s[8:9], 2
	s_add_u32 s2, s4, s2
	s_addc_u32 s3, s5, s3
	s_load_b32 s2, s[2:3], 0x0
	s_waitcnt lgkmcnt(0)
	s_sub_i32 s8, s2, s12
.LBB83_7:
	s_load_b32 s3, s[0:1], 0x4
	v_mul_u32_u24_e32 v5, 0xccd, v0
	v_lshlrev_b32_e32 v12, 3, v0
	s_delay_alu instid0(VALU_DEP_2) | instskip(SKIP_2) | instid1(VALU_DEP_3)
	v_lshrrev_b32_e32 v7, 16, v5
	v_mov_b32_e32 v5, 0
	v_mov_b32_e32 v6, 0
	v_mul_lo_u16 v8, v7, 20
	s_delay_alu instid0(VALU_DEP_1)
	v_sub_nc_u16 v13, v0, v8
	s_waitcnt lgkmcnt(0)
	s_cmp_eq_u32 s3, 1
	s_cselect_b32 s2, -1, 0
	s_cmp_lg_u32 s3, 1
	s_cselect_b32 s3, -1, 0
	s_ashr_i32 s9, s8, 31
	s_delay_alu instid0(SALU_CYCLE_1) | instskip(NEXT) | instid1(SALU_CYCLE_1)
	s_lshl_b64 s[4:5], s[8:9], 3
	s_add_u32 s6, s6, s4
	s_addc_u32 s7, s7, s5
	s_add_u32 s9, s6, 8
	s_addc_u32 s13, s7, 0
	;; [unrolled: 2-line block ×3, first 2 shown]
	s_cmp_eq_u64 s[10:11], 0
	s_load_b64 s[10:11], s[0:1], 0x50
	s_cselect_b32 s5, s13, s5
	s_cselect_b32 s4, s9, s4
	s_load_b64 s[18:19], s[6:7], 0x0
	s_load_b64 s[14:15], s[4:5], 0x0
	s_waitcnt lgkmcnt(0)
	v_cmp_ge_i64_e64 s4, s[18:19], s[14:15]
	s_delay_alu instid0(VALU_DEP_1)
	s_and_b32 vcc_lo, exec_lo, s4
	s_cbranch_vccnz .LBB83_12
; %bb.8:
	v_mul_lo_u16 v5, v7, 13
	v_and_b32_e32 v6, 0xffff, v0
	s_sub_u32 s14, s14, s12
	s_subb_u32 s15, s15, 0
	s_sub_u32 s16, s18, s12
	v_lshrrev_b16 v5, 8, v5
	v_mul_u32_u24_e32 v6, 0xa4, v6
	s_subb_u32 s17, s19, 0
	s_clause 0x1
	s_load_b128 s[4:7], s[0:1], 0x30
	s_load_b64 s[0:1], s[0:1], 0x40
	s_mul_hi_u32 s9, s16, 0xc80
	v_mul_lo_u16 v5, v5, 20
	v_lshrrev_b32_e32 v14, 16, v6
	s_mul_i32 s13, s17, 0xc80
	v_and_b32_e32 v6, 0xffff, v13
	s_add_i32 s9, s9, s13
	v_sub_nc_u16 v5, v7, v5
	v_add_co_u32 v8, s13, s18, v14
	s_delay_alu instid0(VALU_DEP_1) | instskip(NEXT) | instid1(VALU_DEP_3)
	v_add_co_ci_u32_e64 v9, null, s19, 0, s13
	v_and_b32_e32 v5, 0xff, v5
	s_delay_alu instid0(VALU_DEP_1) | instskip(NEXT) | instid1(VALU_DEP_4)
	v_cndmask_b32_e64 v7, v6, v5, s2
	v_sub_co_u32 v5, vcc_lo, v8, s12
	s_delay_alu instid0(VALU_DEP_4) | instskip(SKIP_2) | instid1(VALU_DEP_2)
	v_subrev_co_ci_u32_e32 v6, vcc_lo, 0, v9, vcc_lo
	v_lshlrev_b32_e32 v8, 3, v0
	s_mul_i32 s2, s16, 0xc80
	v_lshlrev_b64 v[10:11], 2, v[5:6]
	v_mov_b32_e32 v5, 0
	s_waitcnt lgkmcnt(0)
	s_add_u32 s2, s6, s2
	s_addc_u32 s6, s7, s9
	v_add_co_u32 v8, s2, s2, v8
	v_add_co_u32 v10, vcc_lo, s4, v10
	v_add_co_ci_u32_e64 v9, null, s6, 0, s2
	v_mov_b32_e32 v6, 0
	v_add_co_ci_u32_e32 v11, vcc_lo, s5, v11, vcc_lo
	s_set_inst_prefetch_distance 0x1
	s_branch .LBB83_10
	.p2align	6
.LBB83_9:                               ;   in Loop: Header=BB83_10 Depth=1
	s_or_b32 exec_lo, exec_lo, s2
	s_add_u32 s16, s16, 1
	s_addc_u32 s17, s17, 0
	v_add_co_u32 v10, vcc_lo, v10, 4
	v_cmp_lt_i64_e64 s2, s[16:17], s[14:15]
	v_add_co_ci_u32_e32 v11, vcc_lo, 0, v11, vcc_lo
	s_delay_alu instid0(VALU_DEP_2)
	s_and_b32 vcc_lo, exec_lo, s2
	s_cbranch_vccz .LBB83_12
.LBB83_10:                              ; =>This Inner Loop Header: Depth=1
	v_add_co_u32 v15, s2, v14, s16
	s_delay_alu instid0(VALU_DEP_1) | instskip(SKIP_1) | instid1(VALU_DEP_1)
	v_add_co_ci_u32_e64 v16, null, 0, s17, s2
	s_mov_b32 s2, exec_lo
	v_cmpx_gt_i64_e64 s[14:15], v[15:16]
	s_cbranch_execz .LBB83_9
; %bb.11:                               ;   in Loop: Header=BB83_10 Depth=1
	global_load_b32 v15, v[10:11], off
	s_waitcnt vmcnt(0)
	v_subrev_nc_u32_e32 v17, s12, v15
	s_delay_alu instid0(VALU_DEP_1) | instskip(NEXT) | instid1(VALU_DEP_1)
	v_mad_u64_u32 v[15:16], null, v17, 20, v[7:8]
	v_ashrrev_i32_e32 v16, 31, v15
	s_delay_alu instid0(VALU_DEP_1) | instskip(NEXT) | instid1(VALU_DEP_1)
	v_lshlrev_b64 v[15:16], 3, v[15:16]
	v_add_co_u32 v15, vcc_lo, s0, v15
	s_delay_alu instid0(VALU_DEP_2)
	v_add_co_ci_u32_e32 v16, vcc_lo, s1, v16, vcc_lo
	global_load_b64 v[17:18], v[8:9], off
	global_load_b64 v[15:16], v[15:16], off
	v_add_co_u32 v8, vcc_lo, 0xc80, v8
	v_add_co_ci_u32_e32 v9, vcc_lo, 0, v9, vcc_lo
	s_waitcnt vmcnt(0)
	v_fma_f64 v[5:6], v[17:18], v[15:16], v[5:6]
	s_branch .LBB83_9
.LBB83_12:
	s_set_inst_prefetch_distance 0x2
	s_and_b32 vcc_lo, exec_lo, s3
	ds_store_b64 v12, v[5:6]
	s_waitcnt lgkmcnt(0)
	s_barrier
	buffer_gl0_inv
	s_cbranch_vccz .LBB83_24
; %bb.13:
	v_cmp_gt_u16_e32 vcc_lo, 4, v13
	s_and_saveexec_b32 s0, vcc_lo
	s_cbranch_execz .LBB83_15
; %bb.14:
	ds_load_2addr_b64 v[7:10], v12 offset1:16
	s_waitcnt lgkmcnt(0)
	v_add_f64 v[7:8], v[9:10], v[7:8]
	ds_store_b64 v12, v[7:8]
.LBB83_15:
	s_or_b32 exec_lo, exec_lo, s0
	s_delay_alu instid0(SALU_CYCLE_1)
	s_mov_b32 s1, exec_lo
	s_waitcnt lgkmcnt(0)
	s_barrier
	buffer_gl0_inv
	v_cmpx_gt_u16_e32 8, v13
	s_cbranch_execz .LBB83_17
; %bb.16:
	ds_load_2addr_b64 v[7:10], v12 offset1:8
	s_waitcnt lgkmcnt(0)
	v_add_f64 v[7:8], v[9:10], v[7:8]
	ds_store_b64 v12, v[7:8]
.LBB83_17:
	s_or_b32 exec_lo, exec_lo, s1
	s_waitcnt lgkmcnt(0)
	s_barrier
	buffer_gl0_inv
	s_and_saveexec_b32 s0, vcc_lo
	s_cbranch_execz .LBB83_19
; %bb.18:
	ds_load_2addr_b64 v[7:10], v12 offset1:4
	s_waitcnt lgkmcnt(0)
	v_add_f64 v[7:8], v[9:10], v[7:8]
	ds_store_b64 v12, v[7:8]
.LBB83_19:
	s_or_b32 exec_lo, exec_lo, s0
	s_delay_alu instid0(SALU_CYCLE_1)
	s_mov_b32 s0, exec_lo
	s_waitcnt lgkmcnt(0)
	s_barrier
	buffer_gl0_inv
	v_cmpx_gt_u16_e32 2, v13
	s_cbranch_execz .LBB83_21
; %bb.20:
	ds_load_2addr_b64 v[7:10], v12 offset1:2
	s_waitcnt lgkmcnt(0)
	v_add_f64 v[7:8], v[9:10], v[7:8]
	ds_store_b64 v12, v[7:8]
.LBB83_21:
	s_or_b32 exec_lo, exec_lo, s0
	s_mov_b32 s0, 0
	s_mov_b32 s1, 0
	s_mov_b32 s2, exec_lo
	s_waitcnt lgkmcnt(0)
	s_barrier
	buffer_gl0_inv
                                        ; implicit-def: $vgpr7
                                        ; implicit-def: $vgpr8
	v_cmpx_gt_u32_e32 20, v0
	s_xor_b32 s2, exec_lo, s2
; %bb.22:
	v_mul_u32_u24_e32 v7, 20, v0
	v_mad_u32_u24 v8, 0x98, v0, v12
	s_mov_b32 s1, exec_lo
	s_delay_alu instid0(VALU_DEP_2)
	v_or_b32_e32 v7, 1, v7
; %bb.23:
	s_or_b32 exec_lo, exec_lo, s2
	s_delay_alu instid0(SALU_CYCLE_1)
	s_and_b32 vcc_lo, exec_lo, s0
	s_cbranch_vccnz .LBB83_25
	s_branch .LBB83_36
.LBB83_24:
	s_mov_b32 s1, 0
                                        ; implicit-def: $vgpr7
                                        ; implicit-def: $vgpr8
	s_cbranch_execz .LBB83_36
.LBB83_25:
	v_cmp_gt_u32_e32 vcc_lo, 0x50, v0
	s_and_saveexec_b32 s0, vcc_lo
	s_cbranch_execz .LBB83_27
; %bb.26:
	ds_load_2addr_stride64_b64 v[7:10], v12 offset1:5
	s_waitcnt lgkmcnt(0)
	v_add_f64 v[7:8], v[9:10], v[7:8]
	ds_store_b64 v12, v[7:8]
.LBB83_27:
	s_or_b32 exec_lo, exec_lo, s0
	s_delay_alu instid0(SALU_CYCLE_1)
	s_mov_b32 s2, exec_lo
	s_waitcnt lgkmcnt(0)
	s_barrier
	buffer_gl0_inv
	v_cmpx_gt_u32_e32 0xa0, v0
	s_cbranch_execz .LBB83_29
; %bb.28:
	ds_load_2addr_b64 v[7:10], v12 offset1:160
	s_waitcnt lgkmcnt(0)
	v_add_f64 v[7:8], v[9:10], v[7:8]
	ds_store_b64 v12, v[7:8]
.LBB83_29:
	s_or_b32 exec_lo, exec_lo, s2
	s_waitcnt lgkmcnt(0)
	s_barrier
	buffer_gl0_inv
	s_and_saveexec_b32 s0, vcc_lo
	s_cbranch_execz .LBB83_31
; %bb.30:
	ds_load_2addr_b64 v[7:10], v12 offset1:80
	s_waitcnt lgkmcnt(0)
	v_add_f64 v[7:8], v[9:10], v[7:8]
	ds_store_b64 v12, v[7:8]
.LBB83_31:
	s_or_b32 exec_lo, exec_lo, s0
	s_delay_alu instid0(SALU_CYCLE_1)
	s_mov_b32 s0, exec_lo
	s_waitcnt lgkmcnt(0)
	s_barrier
	buffer_gl0_inv
	v_cmpx_gt_u32_e32 40, v0
	s_cbranch_execz .LBB83_33
; %bb.32:
	ds_load_2addr_b64 v[7:10], v12 offset1:40
	s_waitcnt lgkmcnt(0)
	v_add_f64 v[7:8], v[9:10], v[7:8]
	ds_store_b64 v12, v[7:8]
.LBB83_33:
	s_or_b32 exec_lo, exec_lo, s0
	s_delay_alu instid0(SALU_CYCLE_1)
	s_mov_b32 s0, exec_lo
	s_waitcnt lgkmcnt(0)
	buffer_gl0_inv
                                        ; implicit-def: $vgpr7
	v_cmpx_gt_u32_e32 20, v0
; %bb.34:
	v_add_nc_u32_e32 v7, 20, v0
	s_or_b32 s1, s1, exec_lo
                                        ; implicit-def: $vgpr5_vgpr6
; %bb.35:
	s_or_b32 exec_lo, exec_lo, s0
	v_mov_b32_e32 v8, v12
.LBB83_36:
	s_and_saveexec_b32 s0, s1
	s_cbranch_execnz .LBB83_39
; %bb.37:
	s_or_b32 exec_lo, exec_lo, s0
	v_cmp_gt_u32_e32 vcc_lo, 20, v0
	s_and_b32 exec_lo, exec_lo, vcc_lo
	s_cbranch_execnz .LBB83_40
.LBB83_38:
	s_nop 0
	s_sendmsg sendmsg(MSG_DEALLOC_VGPRS)
	s_endpgm
.LBB83_39:
	v_lshlrev_b32_e32 v7, 3, v7
	ds_load_b64 v[5:6], v8
	ds_load_b64 v[7:8], v7
	s_waitcnt lgkmcnt(0)
	v_add_f64 v[5:6], v[5:6], v[7:8]
	s_or_b32 exec_lo, exec_lo, s0
	v_cmp_gt_u32_e32 vcc_lo, 20, v0
	s_and_b32 exec_lo, exec_lo, vcc_lo
	s_cbranch_execz .LBB83_38
.LBB83_40:
	s_delay_alu instid0(VALU_DEP_2)
	v_mul_f64 v[3:4], v[3:4], v[5:6]
	s_mov_b32 s0, exec_lo
	v_cmpx_eq_f64_e32 0, v[1:2]
	s_xor_b32 s0, exec_lo, s0
	s_cbranch_execz .LBB83_42
; %bb.41:
	v_mad_u64_u32 v[1:2], null, s8, 20, v[0:1]
	v_mov_b32_e32 v2, 0
	s_delay_alu instid0(VALU_DEP_1) | instskip(NEXT) | instid1(VALU_DEP_1)
	v_lshlrev_b64 v[0:1], 3, v[1:2]
	v_add_co_u32 v0, vcc_lo, s10, v0
	s_delay_alu instid0(VALU_DEP_2)
	v_add_co_ci_u32_e32 v1, vcc_lo, s11, v1, vcc_lo
	global_store_b64 v[0:1], v[3:4], off
                                        ; implicit-def: $vgpr0
                                        ; implicit-def: $vgpr1_vgpr2
                                        ; implicit-def: $vgpr3_vgpr4
.LBB83_42:
	s_and_not1_saveexec_b32 s0, s0
	s_cbranch_execz .LBB83_38
; %bb.43:
	v_mad_u64_u32 v[5:6], null, s8, 20, v[0:1]
	v_mov_b32_e32 v6, 0
	s_delay_alu instid0(VALU_DEP_1) | instskip(NEXT) | instid1(VALU_DEP_1)
	v_lshlrev_b64 v[5:6], 3, v[5:6]
	v_add_co_u32 v5, vcc_lo, s10, v5
	s_delay_alu instid0(VALU_DEP_2)
	v_add_co_ci_u32_e32 v6, vcc_lo, s11, v6, vcc_lo
	global_load_b64 v[7:8], v[5:6], off
	s_waitcnt vmcnt(0)
	v_fma_f64 v[0:1], v[1:2], v[7:8], v[3:4]
	global_store_b64 v[5:6], v[0:1], off
	s_nop 0
	s_sendmsg sendmsg(MSG_DEALLOC_VGPRS)
	s_endpgm
	.section	.rodata,"a",@progbits
	.p2align	6, 0x0
	.amdhsa_kernel _ZN9rocsparseL20bsrxmvn_17_32_kernelILj20EdlidddEEvT2_20rocsparse_direction_NS_24const_host_device_scalarIT0_EES1_PKS1_PKT1_SA_S7_PKT3_PKT4_S5_PT5_21rocsparse_index_base_b
		.amdhsa_group_segment_fixed_size 3200
		.amdhsa_private_segment_fixed_size 0
		.amdhsa_kernarg_size 96
		.amdhsa_user_sgpr_count 15
		.amdhsa_user_sgpr_dispatch_ptr 0
		.amdhsa_user_sgpr_queue_ptr 0
		.amdhsa_user_sgpr_kernarg_segment_ptr 1
		.amdhsa_user_sgpr_dispatch_id 0
		.amdhsa_user_sgpr_private_segment_size 0
		.amdhsa_wavefront_size32 1
		.amdhsa_uses_dynamic_stack 0
		.amdhsa_enable_private_segment 0
		.amdhsa_system_sgpr_workgroup_id_x 1
		.amdhsa_system_sgpr_workgroup_id_y 0
		.amdhsa_system_sgpr_workgroup_id_z 0
		.amdhsa_system_sgpr_workgroup_info 0
		.amdhsa_system_vgpr_workitem_id 0
		.amdhsa_next_free_vgpr 19
		.amdhsa_next_free_sgpr 20
		.amdhsa_reserve_vcc 1
		.amdhsa_float_round_mode_32 0
		.amdhsa_float_round_mode_16_64 0
		.amdhsa_float_denorm_mode_32 3
		.amdhsa_float_denorm_mode_16_64 3
		.amdhsa_dx10_clamp 1
		.amdhsa_ieee_mode 1
		.amdhsa_fp16_overflow 0
		.amdhsa_workgroup_processor_mode 1
		.amdhsa_memory_ordered 1
		.amdhsa_forward_progress 0
		.amdhsa_shared_vgpr_count 0
		.amdhsa_exception_fp_ieee_invalid_op 0
		.amdhsa_exception_fp_denorm_src 0
		.amdhsa_exception_fp_ieee_div_zero 0
		.amdhsa_exception_fp_ieee_overflow 0
		.amdhsa_exception_fp_ieee_underflow 0
		.amdhsa_exception_fp_ieee_inexact 0
		.amdhsa_exception_int_div_zero 0
	.end_amdhsa_kernel
	.section	.text._ZN9rocsparseL20bsrxmvn_17_32_kernelILj20EdlidddEEvT2_20rocsparse_direction_NS_24const_host_device_scalarIT0_EES1_PKS1_PKT1_SA_S7_PKT3_PKT4_S5_PT5_21rocsparse_index_base_b,"axG",@progbits,_ZN9rocsparseL20bsrxmvn_17_32_kernelILj20EdlidddEEvT2_20rocsparse_direction_NS_24const_host_device_scalarIT0_EES1_PKS1_PKT1_SA_S7_PKT3_PKT4_S5_PT5_21rocsparse_index_base_b,comdat
.Lfunc_end83:
	.size	_ZN9rocsparseL20bsrxmvn_17_32_kernelILj20EdlidddEEvT2_20rocsparse_direction_NS_24const_host_device_scalarIT0_EES1_PKS1_PKT1_SA_S7_PKT3_PKT4_S5_PT5_21rocsparse_index_base_b, .Lfunc_end83-_ZN9rocsparseL20bsrxmvn_17_32_kernelILj20EdlidddEEvT2_20rocsparse_direction_NS_24const_host_device_scalarIT0_EES1_PKS1_PKT1_SA_S7_PKT3_PKT4_S5_PT5_21rocsparse_index_base_b
                                        ; -- End function
	.section	.AMDGPU.csdata,"",@progbits
; Kernel info:
; codeLenInByte = 1704
; NumSgprs: 22
; NumVgprs: 19
; ScratchSize: 0
; MemoryBound: 0
; FloatMode: 240
; IeeeMode: 1
; LDSByteSize: 3200 bytes/workgroup (compile time only)
; SGPRBlocks: 2
; VGPRBlocks: 2
; NumSGPRsForWavesPerEU: 22
; NumVGPRsForWavesPerEU: 19
; Occupancy: 13
; WaveLimiterHint : 1
; COMPUTE_PGM_RSRC2:SCRATCH_EN: 0
; COMPUTE_PGM_RSRC2:USER_SGPR: 15
; COMPUTE_PGM_RSRC2:TRAP_HANDLER: 0
; COMPUTE_PGM_RSRC2:TGID_X_EN: 1
; COMPUTE_PGM_RSRC2:TGID_Y_EN: 0
; COMPUTE_PGM_RSRC2:TGID_Z_EN: 0
; COMPUTE_PGM_RSRC2:TIDIG_COMP_CNT: 0
	.section	.text._ZN9rocsparseL20bsrxmvn_17_32_kernelILj21EdlidddEEvT2_20rocsparse_direction_NS_24const_host_device_scalarIT0_EES1_PKS1_PKT1_SA_S7_PKT3_PKT4_S5_PT5_21rocsparse_index_base_b,"axG",@progbits,_ZN9rocsparseL20bsrxmvn_17_32_kernelILj21EdlidddEEvT2_20rocsparse_direction_NS_24const_host_device_scalarIT0_EES1_PKS1_PKT1_SA_S7_PKT3_PKT4_S5_PT5_21rocsparse_index_base_b,comdat
	.globl	_ZN9rocsparseL20bsrxmvn_17_32_kernelILj21EdlidddEEvT2_20rocsparse_direction_NS_24const_host_device_scalarIT0_EES1_PKS1_PKT1_SA_S7_PKT3_PKT4_S5_PT5_21rocsparse_index_base_b ; -- Begin function _ZN9rocsparseL20bsrxmvn_17_32_kernelILj21EdlidddEEvT2_20rocsparse_direction_NS_24const_host_device_scalarIT0_EES1_PKS1_PKT1_SA_S7_PKT3_PKT4_S5_PT5_21rocsparse_index_base_b
	.p2align	8
	.type	_ZN9rocsparseL20bsrxmvn_17_32_kernelILj21EdlidddEEvT2_20rocsparse_direction_NS_24const_host_device_scalarIT0_EES1_PKS1_PKT1_SA_S7_PKT3_PKT4_S5_PT5_21rocsparse_index_base_b,@function
_ZN9rocsparseL20bsrxmvn_17_32_kernelILj21EdlidddEEvT2_20rocsparse_direction_NS_24const_host_device_scalarIT0_EES1_PKS1_PKT1_SA_S7_PKT3_PKT4_S5_PT5_21rocsparse_index_base_b: ; @_ZN9rocsparseL20bsrxmvn_17_32_kernelILj21EdlidddEEvT2_20rocsparse_direction_NS_24const_host_device_scalarIT0_EES1_PKS1_PKT1_SA_S7_PKT3_PKT4_S5_PT5_21rocsparse_index_base_b
; %bb.0:
	s_clause 0x2
	s_load_b64 s[12:13], s[0:1], 0x58
	s_load_b64 s[4:5], s[0:1], 0x8
	;; [unrolled: 1-line block ×3, first 2 shown]
	s_mov_b32 s8, s15
	s_waitcnt lgkmcnt(0)
	s_bitcmp1_b32 s13, 0
	v_dual_mov_b32 v3, s4 :: v_dual_mov_b32 v4, s5
	s_cselect_b32 s6, -1, 0
	s_delay_alu instid0(SALU_CYCLE_1)
	s_and_b32 vcc_lo, exec_lo, s6
	s_xor_b32 s6, s6, -1
	s_cbranch_vccnz .LBB84_2
; %bb.1:
	v_dual_mov_b32 v1, s4 :: v_dual_mov_b32 v2, s5
	flat_load_b64 v[3:4], v[1:2]
.LBB84_2:
	v_dual_mov_b32 v1, s2 :: v_dual_mov_b32 v2, s3
	s_and_not1_b32 vcc_lo, exec_lo, s6
	s_cbranch_vccnz .LBB84_4
; %bb.3:
	v_dual_mov_b32 v1, s2 :: v_dual_mov_b32 v2, s3
	flat_load_b64 v[1:2], v[1:2]
.LBB84_4:
	s_waitcnt vmcnt(0) lgkmcnt(0)
	v_cmp_neq_f64_e32 vcc_lo, 0, v[3:4]
	v_cmp_neq_f64_e64 s2, 1.0, v[1:2]
	s_delay_alu instid0(VALU_DEP_1) | instskip(NEXT) | instid1(SALU_CYCLE_1)
	s_or_b32 s2, vcc_lo, s2
	s_and_saveexec_b32 s3, s2
	s_cbranch_execz .LBB84_38
; %bb.5:
	s_clause 0x1
	s_load_b128 s[4:7], s[0:1], 0x18
	s_load_b64 s[10:11], s[0:1], 0x28
	s_waitcnt lgkmcnt(0)
	s_cmp_eq_u64 s[4:5], 0
	s_cbranch_scc1 .LBB84_7
; %bb.6:
	s_ashr_i32 s9, s8, 31
	s_delay_alu instid0(SALU_CYCLE_1) | instskip(NEXT) | instid1(SALU_CYCLE_1)
	s_lshl_b64 s[2:3], s[8:9], 2
	s_add_u32 s2, s4, s2
	s_addc_u32 s3, s5, s3
	s_load_b32 s2, s[2:3], 0x0
	s_waitcnt lgkmcnt(0)
	s_sub_i32 s8, s2, s12
.LBB84_7:
	s_load_b32 s3, s[0:1], 0x4
	v_mul_u32_u24_e32 v5, 0xc31, v0
	v_lshlrev_b32_e32 v12, 3, v0
	s_delay_alu instid0(VALU_DEP_2) | instskip(SKIP_2) | instid1(VALU_DEP_3)
	v_lshrrev_b32_e32 v7, 16, v5
	v_mov_b32_e32 v5, 0
	v_mov_b32_e32 v6, 0
	v_mul_lo_u16 v8, v7, 21
	s_delay_alu instid0(VALU_DEP_1)
	v_sub_nc_u16 v13, v0, v8
	s_waitcnt lgkmcnt(0)
	s_cmp_eq_u32 s3, 1
	s_cselect_b32 s2, -1, 0
	s_cmp_lg_u32 s3, 1
	s_cselect_b32 s3, -1, 0
	s_ashr_i32 s9, s8, 31
	s_delay_alu instid0(SALU_CYCLE_1) | instskip(NEXT) | instid1(SALU_CYCLE_1)
	s_lshl_b64 s[4:5], s[8:9], 3
	s_add_u32 s6, s6, s4
	s_addc_u32 s7, s7, s5
	s_add_u32 s9, s6, 8
	s_addc_u32 s13, s7, 0
	s_add_u32 s4, s10, s4
	s_addc_u32 s5, s11, s5
	s_cmp_eq_u64 s[10:11], 0
	s_load_b64 s[10:11], s[0:1], 0x50
	s_cselect_b32 s5, s13, s5
	s_cselect_b32 s4, s9, s4
	s_load_b64 s[18:19], s[6:7], 0x0
	s_load_b64 s[14:15], s[4:5], 0x0
	s_waitcnt lgkmcnt(0)
	v_cmp_ge_i64_e64 s4, s[18:19], s[14:15]
	s_delay_alu instid0(VALU_DEP_1)
	s_and_b32 vcc_lo, exec_lo, s4
	s_cbranch_vccnz .LBB84_12
; %bb.8:
	v_mul_lo_u16 v5, v7, 25
	v_and_b32_e32 v6, 0xffff, v0
	s_sub_u32 s14, s14, s12
	s_subb_u32 s15, s15, 0
	s_sub_u32 s16, s18, s12
	v_lshrrev_b16 v5, 9, v5
	v_mul_u32_u24_e32 v6, 0x253, v6
	s_subb_u32 s17, s19, 0
	s_clause 0x1
	s_load_b128 s[4:7], s[0:1], 0x30
	s_load_b64 s[0:1], s[0:1], 0x40
	s_mul_hi_u32 s9, s16, 0xdc8
	v_mul_lo_u16 v5, v5, 21
	v_lshrrev_b32_e32 v14, 18, v6
	s_mul_i32 s13, s17, 0xdc8
	v_and_b32_e32 v6, 0xffff, v13
	s_add_i32 s9, s9, s13
	v_sub_nc_u16 v5, v7, v5
	v_add_co_u32 v8, s13, s18, v14
	s_delay_alu instid0(VALU_DEP_1) | instskip(NEXT) | instid1(VALU_DEP_3)
	v_add_co_ci_u32_e64 v9, null, s19, 0, s13
	v_and_b32_e32 v5, 0xff, v5
	s_delay_alu instid0(VALU_DEP_1) | instskip(NEXT) | instid1(VALU_DEP_4)
	v_cndmask_b32_e64 v7, v6, v5, s2
	v_sub_co_u32 v5, vcc_lo, v8, s12
	s_delay_alu instid0(VALU_DEP_4) | instskip(SKIP_2) | instid1(VALU_DEP_2)
	v_subrev_co_ci_u32_e32 v6, vcc_lo, 0, v9, vcc_lo
	v_lshlrev_b32_e32 v8, 3, v0
	s_mul_i32 s2, s16, 0xdc8
	v_lshlrev_b64 v[10:11], 2, v[5:6]
	v_mov_b32_e32 v5, 0
	s_waitcnt lgkmcnt(0)
	s_add_u32 s2, s6, s2
	s_addc_u32 s6, s7, s9
	v_add_co_u32 v8, s2, s2, v8
	v_add_co_u32 v10, vcc_lo, s4, v10
	v_add_co_ci_u32_e64 v9, null, s6, 0, s2
	v_mov_b32_e32 v6, 0
	v_add_co_ci_u32_e32 v11, vcc_lo, s5, v11, vcc_lo
	s_set_inst_prefetch_distance 0x1
	s_branch .LBB84_10
	.p2align	6
.LBB84_9:                               ;   in Loop: Header=BB84_10 Depth=1
	s_or_b32 exec_lo, exec_lo, s2
	s_add_u32 s16, s16, 1
	s_addc_u32 s17, s17, 0
	v_add_co_u32 v10, vcc_lo, v10, 4
	v_cmp_lt_i64_e64 s2, s[16:17], s[14:15]
	v_add_co_ci_u32_e32 v11, vcc_lo, 0, v11, vcc_lo
	s_delay_alu instid0(VALU_DEP_2)
	s_and_b32 vcc_lo, exec_lo, s2
	s_cbranch_vccz .LBB84_12
.LBB84_10:                              ; =>This Inner Loop Header: Depth=1
	v_add_co_u32 v15, s2, v14, s16
	s_delay_alu instid0(VALU_DEP_1) | instskip(SKIP_1) | instid1(VALU_DEP_1)
	v_add_co_ci_u32_e64 v16, null, 0, s17, s2
	s_mov_b32 s2, exec_lo
	v_cmpx_gt_i64_e64 s[14:15], v[15:16]
	s_cbranch_execz .LBB84_9
; %bb.11:                               ;   in Loop: Header=BB84_10 Depth=1
	global_load_b32 v15, v[10:11], off
	s_waitcnt vmcnt(0)
	v_subrev_nc_u32_e32 v17, s12, v15
	s_delay_alu instid0(VALU_DEP_1) | instskip(NEXT) | instid1(VALU_DEP_1)
	v_mad_u64_u32 v[15:16], null, v17, 21, v[7:8]
	v_ashrrev_i32_e32 v16, 31, v15
	s_delay_alu instid0(VALU_DEP_1) | instskip(NEXT) | instid1(VALU_DEP_1)
	v_lshlrev_b64 v[15:16], 3, v[15:16]
	v_add_co_u32 v15, vcc_lo, s0, v15
	s_delay_alu instid0(VALU_DEP_2)
	v_add_co_ci_u32_e32 v16, vcc_lo, s1, v16, vcc_lo
	global_load_b64 v[17:18], v[8:9], off
	global_load_b64 v[15:16], v[15:16], off
	v_add_co_u32 v8, vcc_lo, 0xdc8, v8
	v_add_co_ci_u32_e32 v9, vcc_lo, 0, v9, vcc_lo
	s_waitcnt vmcnt(0)
	v_fma_f64 v[5:6], v[17:18], v[15:16], v[5:6]
	s_branch .LBB84_9
.LBB84_12:
	s_set_inst_prefetch_distance 0x2
	s_and_b32 vcc_lo, exec_lo, s3
	ds_store_b64 v12, v[5:6]
	s_waitcnt lgkmcnt(0)
	s_barrier
	buffer_gl0_inv
	s_cbranch_vccz .LBB84_24
; %bb.13:
	s_mov_b32 s0, exec_lo
	v_cmpx_gt_u16_e32 5, v13
	s_cbranch_execz .LBB84_15
; %bb.14:
	ds_load_2addr_b64 v[7:10], v12 offset1:16
	s_waitcnt lgkmcnt(0)
	v_add_f64 v[7:8], v[9:10], v[7:8]
	ds_store_b64 v12, v[7:8]
.LBB84_15:
	s_or_b32 exec_lo, exec_lo, s0
	s_delay_alu instid0(SALU_CYCLE_1)
	s_mov_b32 s0, exec_lo
	s_waitcnt lgkmcnt(0)
	s_barrier
	buffer_gl0_inv
	v_cmpx_gt_u16_e32 8, v13
	s_cbranch_execz .LBB84_17
; %bb.16:
	ds_load_2addr_b64 v[7:10], v12 offset1:8
	s_waitcnt lgkmcnt(0)
	v_add_f64 v[7:8], v[9:10], v[7:8]
	ds_store_b64 v12, v[7:8]
.LBB84_17:
	s_or_b32 exec_lo, exec_lo, s0
	s_delay_alu instid0(SALU_CYCLE_1)
	s_mov_b32 s0, exec_lo
	s_waitcnt lgkmcnt(0)
	s_barrier
	buffer_gl0_inv
	;; [unrolled: 14-line block ×3, first 2 shown]
	v_cmpx_gt_u16_e32 2, v13
	s_cbranch_execz .LBB84_21
; %bb.20:
	ds_load_2addr_b64 v[7:10], v12 offset1:2
	s_waitcnt lgkmcnt(0)
	v_add_f64 v[7:8], v[9:10], v[7:8]
	ds_store_b64 v12, v[7:8]
.LBB84_21:
	s_or_b32 exec_lo, exec_lo, s0
	s_mov_b32 s1, 0
	s_mov_b32 s0, 0
	s_mov_b32 s2, exec_lo
	s_waitcnt lgkmcnt(0)
	s_barrier
	buffer_gl0_inv
                                        ; implicit-def: $vgpr7
                                        ; implicit-def: $vgpr8
	v_cmpx_gt_u32_e32 21, v0
	s_xor_b32 s2, exec_lo, s2
; %bb.22:
	v_mad_u32_u24 v7, v0, 21, 1
	v_mad_u32_u24 v8, 0xa0, v0, v12
	s_mov_b32 s0, exec_lo
; %bb.23:
	s_or_b32 exec_lo, exec_lo, s2
	s_delay_alu instid0(SALU_CYCLE_1)
	s_and_b32 vcc_lo, exec_lo, s1
	s_cbranch_vccnz .LBB84_25
	s_branch .LBB84_36
.LBB84_24:
	s_mov_b32 s0, 0
                                        ; implicit-def: $vgpr7
                                        ; implicit-def: $vgpr8
	s_cbranch_execz .LBB84_36
.LBB84_25:
	s_mov_b32 s1, exec_lo
	v_cmpx_gt_u32_e32 0x69, v0
	s_cbranch_execz .LBB84_27
; %bb.26:
	ds_load_b64 v[7:8], v12 offset:2688
	ds_load_b64 v[9:10], v12
	s_waitcnt lgkmcnt(0)
	v_add_f64 v[7:8], v[7:8], v[9:10]
	ds_store_b64 v12, v[7:8]
.LBB84_27:
	s_or_b32 exec_lo, exec_lo, s1
	s_delay_alu instid0(SALU_CYCLE_1)
	s_mov_b32 s1, exec_lo
	s_waitcnt lgkmcnt(0)
	s_barrier
	buffer_gl0_inv
	v_cmpx_gt_u32_e32 0xa8, v0
	s_cbranch_execz .LBB84_29
; %bb.28:
	ds_load_2addr_b64 v[7:10], v12 offset1:168
	s_waitcnt lgkmcnt(0)
	v_add_f64 v[7:8], v[9:10], v[7:8]
	ds_store_b64 v12, v[7:8]
.LBB84_29:
	s_or_b32 exec_lo, exec_lo, s1
	s_delay_alu instid0(SALU_CYCLE_1)
	s_mov_b32 s1, exec_lo
	s_waitcnt lgkmcnt(0)
	s_barrier
	buffer_gl0_inv
	v_cmpx_gt_u32_e32 0x54, v0
	s_cbranch_execz .LBB84_31
; %bb.30:
	ds_load_2addr_b64 v[7:10], v12 offset1:84
	s_waitcnt lgkmcnt(0)
	v_add_f64 v[7:8], v[9:10], v[7:8]
	ds_store_b64 v12, v[7:8]
.LBB84_31:
	;; [unrolled: 14-line block ×3, first 2 shown]
	s_or_b32 exec_lo, exec_lo, s1
	s_delay_alu instid0(SALU_CYCLE_1)
	s_mov_b32 s1, exec_lo
	s_waitcnt lgkmcnt(0)
	buffer_gl0_inv
                                        ; implicit-def: $vgpr7
	v_cmpx_gt_u32_e32 21, v0
; %bb.34:
	v_add_nc_u32_e32 v7, 21, v0
	s_or_b32 s0, s0, exec_lo
                                        ; implicit-def: $vgpr5_vgpr6
; %bb.35:
	s_or_b32 exec_lo, exec_lo, s1
	v_mov_b32_e32 v8, v12
.LBB84_36:
	s_and_saveexec_b32 s1, s0
	s_cbranch_execnz .LBB84_39
; %bb.37:
	s_or_b32 exec_lo, exec_lo, s1
	v_cmp_gt_u32_e32 vcc_lo, 21, v0
	s_and_b32 exec_lo, exec_lo, vcc_lo
	s_cbranch_execnz .LBB84_40
.LBB84_38:
	s_nop 0
	s_sendmsg sendmsg(MSG_DEALLOC_VGPRS)
	s_endpgm
.LBB84_39:
	v_lshlrev_b32_e32 v7, 3, v7
	ds_load_b64 v[5:6], v8
	ds_load_b64 v[7:8], v7
	s_waitcnt lgkmcnt(0)
	v_add_f64 v[5:6], v[5:6], v[7:8]
	s_or_b32 exec_lo, exec_lo, s1
	v_cmp_gt_u32_e32 vcc_lo, 21, v0
	s_and_b32 exec_lo, exec_lo, vcc_lo
	s_cbranch_execz .LBB84_38
.LBB84_40:
	s_delay_alu instid0(VALU_DEP_2)
	v_mul_f64 v[3:4], v[3:4], v[5:6]
	s_mov_b32 s0, exec_lo
	v_cmpx_eq_f64_e32 0, v[1:2]
	s_xor_b32 s0, exec_lo, s0
	s_cbranch_execz .LBB84_42
; %bb.41:
	v_mad_u64_u32 v[1:2], null, s8, 21, v[0:1]
	v_mov_b32_e32 v2, 0
	s_delay_alu instid0(VALU_DEP_1) | instskip(NEXT) | instid1(VALU_DEP_1)
	v_lshlrev_b64 v[0:1], 3, v[1:2]
	v_add_co_u32 v0, vcc_lo, s10, v0
	s_delay_alu instid0(VALU_DEP_2)
	v_add_co_ci_u32_e32 v1, vcc_lo, s11, v1, vcc_lo
	global_store_b64 v[0:1], v[3:4], off
                                        ; implicit-def: $vgpr0
                                        ; implicit-def: $vgpr1_vgpr2
                                        ; implicit-def: $vgpr3_vgpr4
.LBB84_42:
	s_and_not1_saveexec_b32 s0, s0
	s_cbranch_execz .LBB84_38
; %bb.43:
	v_mad_u64_u32 v[5:6], null, s8, 21, v[0:1]
	v_mov_b32_e32 v6, 0
	s_delay_alu instid0(VALU_DEP_1) | instskip(NEXT) | instid1(VALU_DEP_1)
	v_lshlrev_b64 v[5:6], 3, v[5:6]
	v_add_co_u32 v5, vcc_lo, s10, v5
	s_delay_alu instid0(VALU_DEP_2)
	v_add_co_ci_u32_e32 v6, vcc_lo, s11, v6, vcc_lo
	global_load_b64 v[7:8], v[5:6], off
	s_waitcnt vmcnt(0)
	v_fma_f64 v[0:1], v[1:2], v[7:8], v[3:4]
	global_store_b64 v[5:6], v[0:1], off
	s_nop 0
	s_sendmsg sendmsg(MSG_DEALLOC_VGPRS)
	s_endpgm
	.section	.rodata,"a",@progbits
	.p2align	6, 0x0
	.amdhsa_kernel _ZN9rocsparseL20bsrxmvn_17_32_kernelILj21EdlidddEEvT2_20rocsparse_direction_NS_24const_host_device_scalarIT0_EES1_PKS1_PKT1_SA_S7_PKT3_PKT4_S5_PT5_21rocsparse_index_base_b
		.amdhsa_group_segment_fixed_size 3528
		.amdhsa_private_segment_fixed_size 0
		.amdhsa_kernarg_size 96
		.amdhsa_user_sgpr_count 15
		.amdhsa_user_sgpr_dispatch_ptr 0
		.amdhsa_user_sgpr_queue_ptr 0
		.amdhsa_user_sgpr_kernarg_segment_ptr 1
		.amdhsa_user_sgpr_dispatch_id 0
		.amdhsa_user_sgpr_private_segment_size 0
		.amdhsa_wavefront_size32 1
		.amdhsa_uses_dynamic_stack 0
		.amdhsa_enable_private_segment 0
		.amdhsa_system_sgpr_workgroup_id_x 1
		.amdhsa_system_sgpr_workgroup_id_y 0
		.amdhsa_system_sgpr_workgroup_id_z 0
		.amdhsa_system_sgpr_workgroup_info 0
		.amdhsa_system_vgpr_workitem_id 0
		.amdhsa_next_free_vgpr 19
		.amdhsa_next_free_sgpr 20
		.amdhsa_reserve_vcc 1
		.amdhsa_float_round_mode_32 0
		.amdhsa_float_round_mode_16_64 0
		.amdhsa_float_denorm_mode_32 3
		.amdhsa_float_denorm_mode_16_64 3
		.amdhsa_dx10_clamp 1
		.amdhsa_ieee_mode 1
		.amdhsa_fp16_overflow 0
		.amdhsa_workgroup_processor_mode 1
		.amdhsa_memory_ordered 1
		.amdhsa_forward_progress 0
		.amdhsa_shared_vgpr_count 0
		.amdhsa_exception_fp_ieee_invalid_op 0
		.amdhsa_exception_fp_denorm_src 0
		.amdhsa_exception_fp_ieee_div_zero 0
		.amdhsa_exception_fp_ieee_overflow 0
		.amdhsa_exception_fp_ieee_underflow 0
		.amdhsa_exception_fp_ieee_inexact 0
		.amdhsa_exception_int_div_zero 0
	.end_amdhsa_kernel
	.section	.text._ZN9rocsparseL20bsrxmvn_17_32_kernelILj21EdlidddEEvT2_20rocsparse_direction_NS_24const_host_device_scalarIT0_EES1_PKS1_PKT1_SA_S7_PKT3_PKT4_S5_PT5_21rocsparse_index_base_b,"axG",@progbits,_ZN9rocsparseL20bsrxmvn_17_32_kernelILj21EdlidddEEvT2_20rocsparse_direction_NS_24const_host_device_scalarIT0_EES1_PKS1_PKT1_SA_S7_PKT3_PKT4_S5_PT5_21rocsparse_index_base_b,comdat
.Lfunc_end84:
	.size	_ZN9rocsparseL20bsrxmvn_17_32_kernelILj21EdlidddEEvT2_20rocsparse_direction_NS_24const_host_device_scalarIT0_EES1_PKS1_PKT1_SA_S7_PKT3_PKT4_S5_PT5_21rocsparse_index_base_b, .Lfunc_end84-_ZN9rocsparseL20bsrxmvn_17_32_kernelILj21EdlidddEEvT2_20rocsparse_direction_NS_24const_host_device_scalarIT0_EES1_PKS1_PKT1_SA_S7_PKT3_PKT4_S5_PT5_21rocsparse_index_base_b
                                        ; -- End function
	.section	.AMDGPU.csdata,"",@progbits
; Kernel info:
; codeLenInByte = 1728
; NumSgprs: 22
; NumVgprs: 19
; ScratchSize: 0
; MemoryBound: 0
; FloatMode: 240
; IeeeMode: 1
; LDSByteSize: 3528 bytes/workgroup (compile time only)
; SGPRBlocks: 2
; VGPRBlocks: 2
; NumSGPRsForWavesPerEU: 22
; NumVGPRsForWavesPerEU: 19
; Occupancy: 14
; WaveLimiterHint : 1
; COMPUTE_PGM_RSRC2:SCRATCH_EN: 0
; COMPUTE_PGM_RSRC2:USER_SGPR: 15
; COMPUTE_PGM_RSRC2:TRAP_HANDLER: 0
; COMPUTE_PGM_RSRC2:TGID_X_EN: 1
; COMPUTE_PGM_RSRC2:TGID_Y_EN: 0
; COMPUTE_PGM_RSRC2:TGID_Z_EN: 0
; COMPUTE_PGM_RSRC2:TIDIG_COMP_CNT: 0
	.section	.text._ZN9rocsparseL20bsrxmvn_17_32_kernelILj22EdlidddEEvT2_20rocsparse_direction_NS_24const_host_device_scalarIT0_EES1_PKS1_PKT1_SA_S7_PKT3_PKT4_S5_PT5_21rocsparse_index_base_b,"axG",@progbits,_ZN9rocsparseL20bsrxmvn_17_32_kernelILj22EdlidddEEvT2_20rocsparse_direction_NS_24const_host_device_scalarIT0_EES1_PKS1_PKT1_SA_S7_PKT3_PKT4_S5_PT5_21rocsparse_index_base_b,comdat
	.globl	_ZN9rocsparseL20bsrxmvn_17_32_kernelILj22EdlidddEEvT2_20rocsparse_direction_NS_24const_host_device_scalarIT0_EES1_PKS1_PKT1_SA_S7_PKT3_PKT4_S5_PT5_21rocsparse_index_base_b ; -- Begin function _ZN9rocsparseL20bsrxmvn_17_32_kernelILj22EdlidddEEvT2_20rocsparse_direction_NS_24const_host_device_scalarIT0_EES1_PKS1_PKT1_SA_S7_PKT3_PKT4_S5_PT5_21rocsparse_index_base_b
	.p2align	8
	.type	_ZN9rocsparseL20bsrxmvn_17_32_kernelILj22EdlidddEEvT2_20rocsparse_direction_NS_24const_host_device_scalarIT0_EES1_PKS1_PKT1_SA_S7_PKT3_PKT4_S5_PT5_21rocsparse_index_base_b,@function
_ZN9rocsparseL20bsrxmvn_17_32_kernelILj22EdlidddEEvT2_20rocsparse_direction_NS_24const_host_device_scalarIT0_EES1_PKS1_PKT1_SA_S7_PKT3_PKT4_S5_PT5_21rocsparse_index_base_b: ; @_ZN9rocsparseL20bsrxmvn_17_32_kernelILj22EdlidddEEvT2_20rocsparse_direction_NS_24const_host_device_scalarIT0_EES1_PKS1_PKT1_SA_S7_PKT3_PKT4_S5_PT5_21rocsparse_index_base_b
; %bb.0:
	s_clause 0x2
	s_load_b64 s[12:13], s[0:1], 0x58
	s_load_b64 s[4:5], s[0:1], 0x8
	;; [unrolled: 1-line block ×3, first 2 shown]
	s_mov_b32 s8, s15
	s_waitcnt lgkmcnt(0)
	s_bitcmp1_b32 s13, 0
	v_dual_mov_b32 v3, s4 :: v_dual_mov_b32 v4, s5
	s_cselect_b32 s6, -1, 0
	s_delay_alu instid0(SALU_CYCLE_1)
	s_and_b32 vcc_lo, exec_lo, s6
	s_xor_b32 s6, s6, -1
	s_cbranch_vccnz .LBB85_2
; %bb.1:
	v_dual_mov_b32 v1, s4 :: v_dual_mov_b32 v2, s5
	flat_load_b64 v[3:4], v[1:2]
.LBB85_2:
	v_dual_mov_b32 v1, s2 :: v_dual_mov_b32 v2, s3
	s_and_not1_b32 vcc_lo, exec_lo, s6
	s_cbranch_vccnz .LBB85_4
; %bb.3:
	v_dual_mov_b32 v1, s2 :: v_dual_mov_b32 v2, s3
	flat_load_b64 v[1:2], v[1:2]
.LBB85_4:
	s_waitcnt vmcnt(0) lgkmcnt(0)
	v_cmp_neq_f64_e32 vcc_lo, 0, v[3:4]
	v_cmp_neq_f64_e64 s2, 1.0, v[1:2]
	s_delay_alu instid0(VALU_DEP_1) | instskip(NEXT) | instid1(SALU_CYCLE_1)
	s_or_b32 s2, vcc_lo, s2
	s_and_saveexec_b32 s3, s2
	s_cbranch_execz .LBB85_38
; %bb.5:
	s_clause 0x1
	s_load_b128 s[4:7], s[0:1], 0x18
	s_load_b64 s[10:11], s[0:1], 0x28
	s_waitcnt lgkmcnt(0)
	s_cmp_eq_u64 s[4:5], 0
	s_cbranch_scc1 .LBB85_7
; %bb.6:
	s_ashr_i32 s9, s8, 31
	s_delay_alu instid0(SALU_CYCLE_1) | instskip(NEXT) | instid1(SALU_CYCLE_1)
	s_lshl_b64 s[2:3], s[8:9], 2
	s_add_u32 s2, s4, s2
	s_addc_u32 s3, s5, s3
	s_load_b32 s2, s[2:3], 0x0
	s_waitcnt lgkmcnt(0)
	s_sub_i32 s8, s2, s12
.LBB85_7:
	s_load_b32 s3, s[0:1], 0x4
	v_mul_u32_u24_e32 v5, 0xba3, v0
	v_lshlrev_b32_e32 v12, 3, v0
	s_delay_alu instid0(VALU_DEP_2) | instskip(SKIP_2) | instid1(VALU_DEP_3)
	v_lshrrev_b32_e32 v7, 16, v5
	v_mov_b32_e32 v5, 0
	v_mov_b32_e32 v6, 0
	v_mul_lo_u16 v8, v7, 22
	s_delay_alu instid0(VALU_DEP_1)
	v_sub_nc_u16 v13, v0, v8
	s_waitcnt lgkmcnt(0)
	s_cmp_eq_u32 s3, 1
	s_cselect_b32 s2, -1, 0
	s_cmp_lg_u32 s3, 1
	s_cselect_b32 s3, -1, 0
	s_ashr_i32 s9, s8, 31
	s_delay_alu instid0(SALU_CYCLE_1) | instskip(NEXT) | instid1(SALU_CYCLE_1)
	s_lshl_b64 s[4:5], s[8:9], 3
	s_add_u32 s6, s6, s4
	s_addc_u32 s7, s7, s5
	s_add_u32 s9, s6, 8
	s_addc_u32 s13, s7, 0
	;; [unrolled: 2-line block ×3, first 2 shown]
	s_cmp_eq_u64 s[10:11], 0
	s_load_b64 s[10:11], s[0:1], 0x50
	s_cselect_b32 s5, s13, s5
	s_cselect_b32 s4, s9, s4
	s_load_b64 s[18:19], s[6:7], 0x0
	s_load_b64 s[14:15], s[4:5], 0x0
	s_waitcnt lgkmcnt(0)
	v_cmp_ge_i64_e64 s4, s[18:19], s[14:15]
	s_delay_alu instid0(VALU_DEP_1)
	s_and_b32 vcc_lo, exec_lo, s4
	s_cbranch_vccnz .LBB85_12
; %bb.8:
	v_mul_lo_u16 v5, v7, 12
	v_and_b32_e32 v6, 0xffff, v0
	s_sub_u32 s14, s14, s12
	s_subb_u32 s15, s15, 0
	s_sub_u32 s16, s18, s12
	v_lshrrev_b16 v5, 8, v5
	v_mul_u32_u24_e32 v6, 0x10f, v6
	s_subb_u32 s17, s19, 0
	s_clause 0x1
	s_load_b128 s[4:7], s[0:1], 0x30
	s_load_b64 s[0:1], s[0:1], 0x40
	s_mul_hi_u32 s9, s16, 0xf20
	v_mul_lo_u16 v5, v5, 22
	v_lshrrev_b32_e32 v14, 17, v6
	s_mul_i32 s13, s17, 0xf20
	v_and_b32_e32 v6, 0xffff, v13
	s_add_i32 s9, s9, s13
	v_sub_nc_u16 v5, v7, v5
	v_add_co_u32 v8, s13, s18, v14
	s_delay_alu instid0(VALU_DEP_1) | instskip(NEXT) | instid1(VALU_DEP_3)
	v_add_co_ci_u32_e64 v9, null, s19, 0, s13
	v_and_b32_e32 v5, 0xff, v5
	s_delay_alu instid0(VALU_DEP_1) | instskip(NEXT) | instid1(VALU_DEP_4)
	v_cndmask_b32_e64 v7, v6, v5, s2
	v_sub_co_u32 v5, vcc_lo, v8, s12
	s_delay_alu instid0(VALU_DEP_4) | instskip(SKIP_2) | instid1(VALU_DEP_2)
	v_subrev_co_ci_u32_e32 v6, vcc_lo, 0, v9, vcc_lo
	v_lshlrev_b32_e32 v8, 3, v0
	s_mul_i32 s2, s16, 0xf20
	v_lshlrev_b64 v[10:11], 2, v[5:6]
	v_mov_b32_e32 v5, 0
	s_waitcnt lgkmcnt(0)
	s_add_u32 s2, s6, s2
	s_addc_u32 s6, s7, s9
	v_add_co_u32 v8, s2, s2, v8
	v_add_co_u32 v10, vcc_lo, s4, v10
	v_add_co_ci_u32_e64 v9, null, s6, 0, s2
	v_mov_b32_e32 v6, 0
	v_add_co_ci_u32_e32 v11, vcc_lo, s5, v11, vcc_lo
	s_set_inst_prefetch_distance 0x1
	s_branch .LBB85_10
	.p2align	6
.LBB85_9:                               ;   in Loop: Header=BB85_10 Depth=1
	s_or_b32 exec_lo, exec_lo, s2
	s_add_u32 s16, s16, 1
	s_addc_u32 s17, s17, 0
	v_add_co_u32 v10, vcc_lo, v10, 4
	v_cmp_lt_i64_e64 s2, s[16:17], s[14:15]
	v_add_co_ci_u32_e32 v11, vcc_lo, 0, v11, vcc_lo
	s_delay_alu instid0(VALU_DEP_2)
	s_and_b32 vcc_lo, exec_lo, s2
	s_cbranch_vccz .LBB85_12
.LBB85_10:                              ; =>This Inner Loop Header: Depth=1
	v_add_co_u32 v15, s2, v14, s16
	s_delay_alu instid0(VALU_DEP_1) | instskip(SKIP_1) | instid1(VALU_DEP_1)
	v_add_co_ci_u32_e64 v16, null, 0, s17, s2
	s_mov_b32 s2, exec_lo
	v_cmpx_gt_i64_e64 s[14:15], v[15:16]
	s_cbranch_execz .LBB85_9
; %bb.11:                               ;   in Loop: Header=BB85_10 Depth=1
	global_load_b32 v15, v[10:11], off
	s_waitcnt vmcnt(0)
	v_subrev_nc_u32_e32 v17, s12, v15
	s_delay_alu instid0(VALU_DEP_1) | instskip(NEXT) | instid1(VALU_DEP_1)
	v_mad_u64_u32 v[15:16], null, v17, 22, v[7:8]
	v_ashrrev_i32_e32 v16, 31, v15
	s_delay_alu instid0(VALU_DEP_1) | instskip(NEXT) | instid1(VALU_DEP_1)
	v_lshlrev_b64 v[15:16], 3, v[15:16]
	v_add_co_u32 v15, vcc_lo, s0, v15
	s_delay_alu instid0(VALU_DEP_2)
	v_add_co_ci_u32_e32 v16, vcc_lo, s1, v16, vcc_lo
	global_load_b64 v[17:18], v[8:9], off
	global_load_b64 v[15:16], v[15:16], off
	v_add_co_u32 v8, vcc_lo, 0xf20, v8
	v_add_co_ci_u32_e32 v9, vcc_lo, 0, v9, vcc_lo
	s_waitcnt vmcnt(0)
	v_fma_f64 v[5:6], v[17:18], v[15:16], v[5:6]
	s_branch .LBB85_9
.LBB85_12:
	s_set_inst_prefetch_distance 0x2
	s_and_b32 vcc_lo, exec_lo, s3
	ds_store_b64 v12, v[5:6]
	s_waitcnt lgkmcnt(0)
	s_barrier
	buffer_gl0_inv
	s_cbranch_vccz .LBB85_24
; %bb.13:
	s_mov_b32 s0, exec_lo
	v_cmpx_gt_u16_e32 6, v13
	s_cbranch_execz .LBB85_15
; %bb.14:
	ds_load_2addr_b64 v[7:10], v12 offset1:16
	s_waitcnt lgkmcnt(0)
	v_add_f64 v[7:8], v[9:10], v[7:8]
	ds_store_b64 v12, v[7:8]
.LBB85_15:
	s_or_b32 exec_lo, exec_lo, s0
	s_delay_alu instid0(SALU_CYCLE_1)
	s_mov_b32 s0, exec_lo
	s_waitcnt lgkmcnt(0)
	s_barrier
	buffer_gl0_inv
	v_cmpx_gt_u16_e32 8, v13
	s_cbranch_execz .LBB85_17
; %bb.16:
	ds_load_2addr_b64 v[7:10], v12 offset1:8
	s_waitcnt lgkmcnt(0)
	v_add_f64 v[7:8], v[9:10], v[7:8]
	ds_store_b64 v12, v[7:8]
.LBB85_17:
	s_or_b32 exec_lo, exec_lo, s0
	s_delay_alu instid0(SALU_CYCLE_1)
	s_mov_b32 s0, exec_lo
	s_waitcnt lgkmcnt(0)
	s_barrier
	buffer_gl0_inv
	;; [unrolled: 14-line block ×3, first 2 shown]
	v_cmpx_gt_u16_e32 2, v13
	s_cbranch_execz .LBB85_21
; %bb.20:
	ds_load_2addr_b64 v[7:10], v12 offset1:2
	s_waitcnt lgkmcnt(0)
	v_add_f64 v[7:8], v[9:10], v[7:8]
	ds_store_b64 v12, v[7:8]
.LBB85_21:
	s_or_b32 exec_lo, exec_lo, s0
	s_mov_b32 s1, 0
	s_mov_b32 s0, 0
	s_mov_b32 s2, exec_lo
	s_waitcnt lgkmcnt(0)
	s_barrier
	buffer_gl0_inv
                                        ; implicit-def: $vgpr7
                                        ; implicit-def: $vgpr8
	v_cmpx_gt_u32_e32 22, v0
	s_xor_b32 s2, exec_lo, s2
; %bb.22:
	v_mul_u32_u24_e32 v7, 22, v0
	v_mad_u32_u24 v8, 0xa8, v0, v12
	s_mov_b32 s0, exec_lo
	s_delay_alu instid0(VALU_DEP_2)
	v_or_b32_e32 v7, 1, v7
; %bb.23:
	s_or_b32 exec_lo, exec_lo, s2
	s_delay_alu instid0(SALU_CYCLE_1)
	s_and_b32 vcc_lo, exec_lo, s1
	s_cbranch_vccnz .LBB85_25
	s_branch .LBB85_36
.LBB85_24:
	s_mov_b32 s0, 0
                                        ; implicit-def: $vgpr7
                                        ; implicit-def: $vgpr8
	s_cbranch_execz .LBB85_36
.LBB85_25:
	s_mov_b32 s1, exec_lo
	v_cmpx_gt_u32_e32 0x84, v0
	s_cbranch_execz .LBB85_27
; %bb.26:
	ds_load_b64 v[7:8], v12 offset:2816
	ds_load_b64 v[9:10], v12
	s_waitcnt lgkmcnt(0)
	v_add_f64 v[7:8], v[7:8], v[9:10]
	ds_store_b64 v12, v[7:8]
.LBB85_27:
	s_or_b32 exec_lo, exec_lo, s1
	s_delay_alu instid0(SALU_CYCLE_1)
	s_mov_b32 s1, exec_lo
	s_waitcnt lgkmcnt(0)
	s_barrier
	buffer_gl0_inv
	v_cmpx_gt_u32_e32 0xb0, v0
	s_cbranch_execz .LBB85_29
; %bb.28:
	ds_load_2addr_b64 v[7:10], v12 offset1:176
	s_waitcnt lgkmcnt(0)
	v_add_f64 v[7:8], v[9:10], v[7:8]
	ds_store_b64 v12, v[7:8]
.LBB85_29:
	s_or_b32 exec_lo, exec_lo, s1
	s_delay_alu instid0(SALU_CYCLE_1)
	s_mov_b32 s1, exec_lo
	s_waitcnt lgkmcnt(0)
	s_barrier
	buffer_gl0_inv
	v_cmpx_gt_u32_e32 0x58, v0
	s_cbranch_execz .LBB85_31
; %bb.30:
	ds_load_2addr_b64 v[7:10], v12 offset1:88
	s_waitcnt lgkmcnt(0)
	v_add_f64 v[7:8], v[9:10], v[7:8]
	ds_store_b64 v12, v[7:8]
.LBB85_31:
	;; [unrolled: 14-line block ×3, first 2 shown]
	s_or_b32 exec_lo, exec_lo, s1
	s_delay_alu instid0(SALU_CYCLE_1)
	s_mov_b32 s1, exec_lo
	s_waitcnt lgkmcnt(0)
	buffer_gl0_inv
                                        ; implicit-def: $vgpr7
	v_cmpx_gt_u32_e32 22, v0
; %bb.34:
	v_add_nc_u32_e32 v7, 22, v0
	s_or_b32 s0, s0, exec_lo
                                        ; implicit-def: $vgpr5_vgpr6
; %bb.35:
	s_or_b32 exec_lo, exec_lo, s1
	v_mov_b32_e32 v8, v12
.LBB85_36:
	s_and_saveexec_b32 s1, s0
	s_cbranch_execnz .LBB85_39
; %bb.37:
	s_or_b32 exec_lo, exec_lo, s1
	v_cmp_gt_u32_e32 vcc_lo, 22, v0
	s_and_b32 exec_lo, exec_lo, vcc_lo
	s_cbranch_execnz .LBB85_40
.LBB85_38:
	s_nop 0
	s_sendmsg sendmsg(MSG_DEALLOC_VGPRS)
	s_endpgm
.LBB85_39:
	v_lshlrev_b32_e32 v7, 3, v7
	ds_load_b64 v[5:6], v8
	ds_load_b64 v[7:8], v7
	s_waitcnt lgkmcnt(0)
	v_add_f64 v[5:6], v[5:6], v[7:8]
	s_or_b32 exec_lo, exec_lo, s1
	v_cmp_gt_u32_e32 vcc_lo, 22, v0
	s_and_b32 exec_lo, exec_lo, vcc_lo
	s_cbranch_execz .LBB85_38
.LBB85_40:
	s_delay_alu instid0(VALU_DEP_2)
	v_mul_f64 v[3:4], v[3:4], v[5:6]
	s_mov_b32 s0, exec_lo
	v_cmpx_eq_f64_e32 0, v[1:2]
	s_xor_b32 s0, exec_lo, s0
	s_cbranch_execz .LBB85_42
; %bb.41:
	v_mad_u64_u32 v[1:2], null, s8, 22, v[0:1]
	v_mov_b32_e32 v2, 0
	s_delay_alu instid0(VALU_DEP_1) | instskip(NEXT) | instid1(VALU_DEP_1)
	v_lshlrev_b64 v[0:1], 3, v[1:2]
	v_add_co_u32 v0, vcc_lo, s10, v0
	s_delay_alu instid0(VALU_DEP_2)
	v_add_co_ci_u32_e32 v1, vcc_lo, s11, v1, vcc_lo
	global_store_b64 v[0:1], v[3:4], off
                                        ; implicit-def: $vgpr0
                                        ; implicit-def: $vgpr1_vgpr2
                                        ; implicit-def: $vgpr3_vgpr4
.LBB85_42:
	s_and_not1_saveexec_b32 s0, s0
	s_cbranch_execz .LBB85_38
; %bb.43:
	v_mad_u64_u32 v[5:6], null, s8, 22, v[0:1]
	v_mov_b32_e32 v6, 0
	s_delay_alu instid0(VALU_DEP_1) | instskip(NEXT) | instid1(VALU_DEP_1)
	v_lshlrev_b64 v[5:6], 3, v[5:6]
	v_add_co_u32 v5, vcc_lo, s10, v5
	s_delay_alu instid0(VALU_DEP_2)
	v_add_co_ci_u32_e32 v6, vcc_lo, s11, v6, vcc_lo
	global_load_b64 v[7:8], v[5:6], off
	s_waitcnt vmcnt(0)
	v_fma_f64 v[0:1], v[1:2], v[7:8], v[3:4]
	global_store_b64 v[5:6], v[0:1], off
	s_nop 0
	s_sendmsg sendmsg(MSG_DEALLOC_VGPRS)
	s_endpgm
	.section	.rodata,"a",@progbits
	.p2align	6, 0x0
	.amdhsa_kernel _ZN9rocsparseL20bsrxmvn_17_32_kernelILj22EdlidddEEvT2_20rocsparse_direction_NS_24const_host_device_scalarIT0_EES1_PKS1_PKT1_SA_S7_PKT3_PKT4_S5_PT5_21rocsparse_index_base_b
		.amdhsa_group_segment_fixed_size 3872
		.amdhsa_private_segment_fixed_size 0
		.amdhsa_kernarg_size 96
		.amdhsa_user_sgpr_count 15
		.amdhsa_user_sgpr_dispatch_ptr 0
		.amdhsa_user_sgpr_queue_ptr 0
		.amdhsa_user_sgpr_kernarg_segment_ptr 1
		.amdhsa_user_sgpr_dispatch_id 0
		.amdhsa_user_sgpr_private_segment_size 0
		.amdhsa_wavefront_size32 1
		.amdhsa_uses_dynamic_stack 0
		.amdhsa_enable_private_segment 0
		.amdhsa_system_sgpr_workgroup_id_x 1
		.amdhsa_system_sgpr_workgroup_id_y 0
		.amdhsa_system_sgpr_workgroup_id_z 0
		.amdhsa_system_sgpr_workgroup_info 0
		.amdhsa_system_vgpr_workitem_id 0
		.amdhsa_next_free_vgpr 19
		.amdhsa_next_free_sgpr 20
		.amdhsa_reserve_vcc 1
		.amdhsa_float_round_mode_32 0
		.amdhsa_float_round_mode_16_64 0
		.amdhsa_float_denorm_mode_32 3
		.amdhsa_float_denorm_mode_16_64 3
		.amdhsa_dx10_clamp 1
		.amdhsa_ieee_mode 1
		.amdhsa_fp16_overflow 0
		.amdhsa_workgroup_processor_mode 1
		.amdhsa_memory_ordered 1
		.amdhsa_forward_progress 0
		.amdhsa_shared_vgpr_count 0
		.amdhsa_exception_fp_ieee_invalid_op 0
		.amdhsa_exception_fp_denorm_src 0
		.amdhsa_exception_fp_ieee_div_zero 0
		.amdhsa_exception_fp_ieee_overflow 0
		.amdhsa_exception_fp_ieee_underflow 0
		.amdhsa_exception_fp_ieee_inexact 0
		.amdhsa_exception_int_div_zero 0
	.end_amdhsa_kernel
	.section	.text._ZN9rocsparseL20bsrxmvn_17_32_kernelILj22EdlidddEEvT2_20rocsparse_direction_NS_24const_host_device_scalarIT0_EES1_PKS1_PKT1_SA_S7_PKT3_PKT4_S5_PT5_21rocsparse_index_base_b,"axG",@progbits,_ZN9rocsparseL20bsrxmvn_17_32_kernelILj22EdlidddEEvT2_20rocsparse_direction_NS_24const_host_device_scalarIT0_EES1_PKS1_PKT1_SA_S7_PKT3_PKT4_S5_PT5_21rocsparse_index_base_b,comdat
.Lfunc_end85:
	.size	_ZN9rocsparseL20bsrxmvn_17_32_kernelILj22EdlidddEEvT2_20rocsparse_direction_NS_24const_host_device_scalarIT0_EES1_PKS1_PKT1_SA_S7_PKT3_PKT4_S5_PT5_21rocsparse_index_base_b, .Lfunc_end85-_ZN9rocsparseL20bsrxmvn_17_32_kernelILj22EdlidddEEvT2_20rocsparse_direction_NS_24const_host_device_scalarIT0_EES1_PKS1_PKT1_SA_S7_PKT3_PKT4_S5_PT5_21rocsparse_index_base_b
                                        ; -- End function
	.section	.AMDGPU.csdata,"",@progbits
; Kernel info:
; codeLenInByte = 1732
; NumSgprs: 22
; NumVgprs: 19
; ScratchSize: 0
; MemoryBound: 0
; FloatMode: 240
; IeeeMode: 1
; LDSByteSize: 3872 bytes/workgroup (compile time only)
; SGPRBlocks: 2
; VGPRBlocks: 2
; NumSGPRsForWavesPerEU: 22
; NumVGPRsForWavesPerEU: 19
; Occupancy: 16
; WaveLimiterHint : 1
; COMPUTE_PGM_RSRC2:SCRATCH_EN: 0
; COMPUTE_PGM_RSRC2:USER_SGPR: 15
; COMPUTE_PGM_RSRC2:TRAP_HANDLER: 0
; COMPUTE_PGM_RSRC2:TGID_X_EN: 1
; COMPUTE_PGM_RSRC2:TGID_Y_EN: 0
; COMPUTE_PGM_RSRC2:TGID_Z_EN: 0
; COMPUTE_PGM_RSRC2:TIDIG_COMP_CNT: 0
	.section	.text._ZN9rocsparseL20bsrxmvn_17_32_kernelILj23EdlidddEEvT2_20rocsparse_direction_NS_24const_host_device_scalarIT0_EES1_PKS1_PKT1_SA_S7_PKT3_PKT4_S5_PT5_21rocsparse_index_base_b,"axG",@progbits,_ZN9rocsparseL20bsrxmvn_17_32_kernelILj23EdlidddEEvT2_20rocsparse_direction_NS_24const_host_device_scalarIT0_EES1_PKS1_PKT1_SA_S7_PKT3_PKT4_S5_PT5_21rocsparse_index_base_b,comdat
	.globl	_ZN9rocsparseL20bsrxmvn_17_32_kernelILj23EdlidddEEvT2_20rocsparse_direction_NS_24const_host_device_scalarIT0_EES1_PKS1_PKT1_SA_S7_PKT3_PKT4_S5_PT5_21rocsparse_index_base_b ; -- Begin function _ZN9rocsparseL20bsrxmvn_17_32_kernelILj23EdlidddEEvT2_20rocsparse_direction_NS_24const_host_device_scalarIT0_EES1_PKS1_PKT1_SA_S7_PKT3_PKT4_S5_PT5_21rocsparse_index_base_b
	.p2align	8
	.type	_ZN9rocsparseL20bsrxmvn_17_32_kernelILj23EdlidddEEvT2_20rocsparse_direction_NS_24const_host_device_scalarIT0_EES1_PKS1_PKT1_SA_S7_PKT3_PKT4_S5_PT5_21rocsparse_index_base_b,@function
_ZN9rocsparseL20bsrxmvn_17_32_kernelILj23EdlidddEEvT2_20rocsparse_direction_NS_24const_host_device_scalarIT0_EES1_PKS1_PKT1_SA_S7_PKT3_PKT4_S5_PT5_21rocsparse_index_base_b: ; @_ZN9rocsparseL20bsrxmvn_17_32_kernelILj23EdlidddEEvT2_20rocsparse_direction_NS_24const_host_device_scalarIT0_EES1_PKS1_PKT1_SA_S7_PKT3_PKT4_S5_PT5_21rocsparse_index_base_b
; %bb.0:
	s_clause 0x2
	s_load_b64 s[12:13], s[0:1], 0x58
	s_load_b64 s[4:5], s[0:1], 0x8
	s_load_b64 s[2:3], s[0:1], 0x48
	s_mov_b32 s8, s15
	s_waitcnt lgkmcnt(0)
	s_bitcmp1_b32 s13, 0
	v_dual_mov_b32 v3, s4 :: v_dual_mov_b32 v4, s5
	s_cselect_b32 s6, -1, 0
	s_delay_alu instid0(SALU_CYCLE_1)
	s_and_b32 vcc_lo, exec_lo, s6
	s_xor_b32 s6, s6, -1
	s_cbranch_vccnz .LBB86_2
; %bb.1:
	v_dual_mov_b32 v1, s4 :: v_dual_mov_b32 v2, s5
	flat_load_b64 v[3:4], v[1:2]
.LBB86_2:
	v_dual_mov_b32 v1, s2 :: v_dual_mov_b32 v2, s3
	s_and_not1_b32 vcc_lo, exec_lo, s6
	s_cbranch_vccnz .LBB86_4
; %bb.3:
	v_dual_mov_b32 v1, s2 :: v_dual_mov_b32 v2, s3
	flat_load_b64 v[1:2], v[1:2]
.LBB86_4:
	s_waitcnt vmcnt(0) lgkmcnt(0)
	v_cmp_neq_f64_e32 vcc_lo, 0, v[3:4]
	v_cmp_neq_f64_e64 s2, 1.0, v[1:2]
	s_delay_alu instid0(VALU_DEP_1) | instskip(NEXT) | instid1(SALU_CYCLE_1)
	s_or_b32 s2, vcc_lo, s2
	s_and_saveexec_b32 s3, s2
	s_cbranch_execz .LBB86_38
; %bb.5:
	s_clause 0x1
	s_load_b128 s[4:7], s[0:1], 0x18
	s_load_b64 s[10:11], s[0:1], 0x28
	s_waitcnt lgkmcnt(0)
	s_cmp_eq_u64 s[4:5], 0
	s_cbranch_scc1 .LBB86_7
; %bb.6:
	s_ashr_i32 s9, s8, 31
	s_delay_alu instid0(SALU_CYCLE_1) | instskip(NEXT) | instid1(SALU_CYCLE_1)
	s_lshl_b64 s[2:3], s[8:9], 2
	s_add_u32 s2, s4, s2
	s_addc_u32 s3, s5, s3
	s_load_b32 s2, s[2:3], 0x0
	s_waitcnt lgkmcnt(0)
	s_sub_i32 s8, s2, s12
.LBB86_7:
	s_load_b32 s3, s[0:1], 0x4
	v_mul_u32_u24_e32 v5, 0xb22, v0
	v_lshlrev_b32_e32 v12, 3, v0
	s_delay_alu instid0(VALU_DEP_2) | instskip(SKIP_2) | instid1(VALU_DEP_3)
	v_lshrrev_b32_e32 v7, 16, v5
	v_mov_b32_e32 v5, 0
	v_mov_b32_e32 v6, 0
	v_mul_lo_u16 v8, v7, 23
	s_delay_alu instid0(VALU_DEP_1)
	v_sub_nc_u16 v13, v0, v8
	s_waitcnt lgkmcnt(0)
	s_cmp_eq_u32 s3, 1
	s_cselect_b32 s2, -1, 0
	s_cmp_lg_u32 s3, 1
	s_cselect_b32 s3, -1, 0
	s_ashr_i32 s9, s8, 31
	s_delay_alu instid0(SALU_CYCLE_1) | instskip(NEXT) | instid1(SALU_CYCLE_1)
	s_lshl_b64 s[4:5], s[8:9], 3
	s_add_u32 s6, s6, s4
	s_addc_u32 s7, s7, s5
	s_add_u32 s9, s6, 8
	s_addc_u32 s13, s7, 0
	;; [unrolled: 2-line block ×3, first 2 shown]
	s_cmp_eq_u64 s[10:11], 0
	s_load_b64 s[10:11], s[0:1], 0x50
	s_cselect_b32 s5, s13, s5
	s_cselect_b32 s4, s9, s4
	s_load_b64 s[18:19], s[6:7], 0x0
	s_load_b64 s[14:15], s[4:5], 0x0
	s_waitcnt lgkmcnt(0)
	v_cmp_ge_i64_e64 s4, s[18:19], s[14:15]
	s_delay_alu instid0(VALU_DEP_1)
	s_and_b32 vcc_lo, exec_lo, s4
	s_cbranch_vccnz .LBB86_12
; %bb.8:
	v_and_b32_e32 v5, 0xffff, v7
	v_cmp_lt_u32_e32 vcc_lo, 0x210, v0
	v_and_b32_e32 v6, 0xffff, v13
	s_clause 0x1
	s_load_b128 s[4:7], s[0:1], 0x30
	s_load_b64 s[0:1], s[0:1], 0x40
	s_sub_u32 s14, s14, s12
	v_subrev_nc_u32_e32 v7, 23, v5
	v_cndmask_b32_e64 v14, 0, 1, vcc_lo
	v_cmp_gt_u32_e32 vcc_lo, 0x211, v0
	s_subb_u32 s15, s15, 0
	s_sub_u32 s16, s18, s12
	v_lshlrev_b32_e32 v8, 3, v0
	s_subb_u32 s17, s19, 0
	v_cndmask_b32_e32 v5, v7, v5, vcc_lo
	s_mul_hi_u32 s9, s16, 0x1088
	s_mul_i32 s13, s17, 0x1088
	s_delay_alu instid0(SALU_CYCLE_1) | instskip(NEXT) | instid1(VALU_DEP_1)
	s_add_i32 s9, s9, s13
	v_cndmask_b32_e64 v7, v6, v5, s2
	v_add_co_u32 v5, s2, s18, v14
	s_delay_alu instid0(VALU_DEP_1) | instskip(SKIP_1) | instid1(VALU_DEP_2)
	v_add_co_ci_u32_e64 v6, null, s19, 0, s2
	s_mul_i32 s2, s16, 0x1088
	v_sub_co_u32 v5, vcc_lo, v5, s12
	s_delay_alu instid0(VALU_DEP_2)
	v_subrev_co_ci_u32_e32 v6, vcc_lo, 0, v6, vcc_lo
	s_waitcnt lgkmcnt(0)
	s_add_u32 s2, s6, s2
	s_addc_u32 s6, s7, s9
	v_add_co_u32 v8, s2, s2, v8
	v_lshlrev_b64 v[10:11], 2, v[5:6]
	v_mov_b32_e32 v5, 0
	v_add_co_ci_u32_e64 v9, null, s6, 0, s2
	v_mov_b32_e32 v6, 0
	s_delay_alu instid0(VALU_DEP_4)
	v_add_co_u32 v10, vcc_lo, s4, v10
	v_add_co_ci_u32_e32 v11, vcc_lo, s5, v11, vcc_lo
	s_set_inst_prefetch_distance 0x1
	s_branch .LBB86_10
	.p2align	6
.LBB86_9:                               ;   in Loop: Header=BB86_10 Depth=1
	s_or_b32 exec_lo, exec_lo, s2
	s_add_u32 s16, s16, 1
	s_addc_u32 s17, s17, 0
	v_add_co_u32 v10, vcc_lo, v10, 4
	v_cmp_lt_i64_e64 s2, s[16:17], s[14:15]
	v_add_co_ci_u32_e32 v11, vcc_lo, 0, v11, vcc_lo
	s_delay_alu instid0(VALU_DEP_2)
	s_and_b32 vcc_lo, exec_lo, s2
	s_cbranch_vccz .LBB86_12
.LBB86_10:                              ; =>This Inner Loop Header: Depth=1
	v_add_co_u32 v15, s2, v14, s16
	s_delay_alu instid0(VALU_DEP_1) | instskip(SKIP_1) | instid1(VALU_DEP_1)
	v_add_co_ci_u32_e64 v16, null, 0, s17, s2
	s_mov_b32 s2, exec_lo
	v_cmpx_gt_i64_e64 s[14:15], v[15:16]
	s_cbranch_execz .LBB86_9
; %bb.11:                               ;   in Loop: Header=BB86_10 Depth=1
	global_load_b32 v15, v[10:11], off
	s_waitcnt vmcnt(0)
	v_subrev_nc_u32_e32 v17, s12, v15
	s_delay_alu instid0(VALU_DEP_1) | instskip(NEXT) | instid1(VALU_DEP_1)
	v_mad_u64_u32 v[15:16], null, v17, 23, v[7:8]
	v_ashrrev_i32_e32 v16, 31, v15
	s_delay_alu instid0(VALU_DEP_1) | instskip(NEXT) | instid1(VALU_DEP_1)
	v_lshlrev_b64 v[15:16], 3, v[15:16]
	v_add_co_u32 v15, vcc_lo, s0, v15
	s_delay_alu instid0(VALU_DEP_2)
	v_add_co_ci_u32_e32 v16, vcc_lo, s1, v16, vcc_lo
	global_load_b64 v[17:18], v[8:9], off
	global_load_b64 v[15:16], v[15:16], off
	v_add_co_u32 v8, vcc_lo, 0x1088, v8
	v_add_co_ci_u32_e32 v9, vcc_lo, 0, v9, vcc_lo
	s_waitcnt vmcnt(0)
	v_fma_f64 v[5:6], v[17:18], v[15:16], v[5:6]
	s_branch .LBB86_9
.LBB86_12:
	s_set_inst_prefetch_distance 0x2
	s_and_b32 vcc_lo, exec_lo, s3
	ds_store_b64 v12, v[5:6]
	s_waitcnt lgkmcnt(0)
	s_barrier
	buffer_gl0_inv
	s_cbranch_vccz .LBB86_24
; %bb.13:
	s_mov_b32 s0, exec_lo
	v_cmpx_gt_u16_e32 7, v13
	s_cbranch_execz .LBB86_15
; %bb.14:
	ds_load_2addr_b64 v[7:10], v12 offset1:16
	s_waitcnt lgkmcnt(0)
	v_add_f64 v[7:8], v[9:10], v[7:8]
	ds_store_b64 v12, v[7:8]
.LBB86_15:
	s_or_b32 exec_lo, exec_lo, s0
	s_delay_alu instid0(SALU_CYCLE_1)
	s_mov_b32 s0, exec_lo
	s_waitcnt lgkmcnt(0)
	s_barrier
	buffer_gl0_inv
	v_cmpx_gt_u16_e32 8, v13
	s_cbranch_execz .LBB86_17
; %bb.16:
	ds_load_2addr_b64 v[7:10], v12 offset1:8
	s_waitcnt lgkmcnt(0)
	v_add_f64 v[7:8], v[9:10], v[7:8]
	ds_store_b64 v12, v[7:8]
.LBB86_17:
	s_or_b32 exec_lo, exec_lo, s0
	s_delay_alu instid0(SALU_CYCLE_1)
	s_mov_b32 s0, exec_lo
	s_waitcnt lgkmcnt(0)
	s_barrier
	buffer_gl0_inv
	;; [unrolled: 14-line block ×3, first 2 shown]
	v_cmpx_gt_u16_e32 2, v13
	s_cbranch_execz .LBB86_21
; %bb.20:
	ds_load_2addr_b64 v[7:10], v12 offset1:2
	s_waitcnt lgkmcnt(0)
	v_add_f64 v[7:8], v[9:10], v[7:8]
	ds_store_b64 v12, v[7:8]
.LBB86_21:
	s_or_b32 exec_lo, exec_lo, s0
	s_mov_b32 s1, 0
	s_mov_b32 s0, 0
	s_mov_b32 s2, exec_lo
	s_waitcnt lgkmcnt(0)
	s_barrier
	buffer_gl0_inv
                                        ; implicit-def: $vgpr7
                                        ; implicit-def: $vgpr8
	v_cmpx_gt_u32_e32 23, v0
	s_xor_b32 s2, exec_lo, s2
; %bb.22:
	v_mad_u32_u24 v7, v0, 23, 1
	v_mad_u32_u24 v8, 0xb0, v0, v12
	s_mov_b32 s0, exec_lo
; %bb.23:
	s_or_b32 exec_lo, exec_lo, s2
	s_delay_alu instid0(SALU_CYCLE_1)
	s_and_b32 vcc_lo, exec_lo, s1
	s_cbranch_vccnz .LBB86_25
	s_branch .LBB86_36
.LBB86_24:
	s_mov_b32 s0, 0
                                        ; implicit-def: $vgpr7
                                        ; implicit-def: $vgpr8
	s_cbranch_execz .LBB86_36
.LBB86_25:
	s_mov_b32 s1, exec_lo
	v_cmpx_gt_u32_e32 0xa1, v0
	s_cbranch_execz .LBB86_27
; %bb.26:
	ds_load_b64 v[7:8], v12 offset:2944
	ds_load_b64 v[9:10], v12
	s_waitcnt lgkmcnt(0)
	v_add_f64 v[7:8], v[7:8], v[9:10]
	ds_store_b64 v12, v[7:8]
.LBB86_27:
	s_or_b32 exec_lo, exec_lo, s1
	s_delay_alu instid0(SALU_CYCLE_1)
	s_mov_b32 s1, exec_lo
	s_waitcnt lgkmcnt(0)
	s_barrier
	buffer_gl0_inv
	v_cmpx_gt_u32_e32 0xb8, v0
	s_cbranch_execz .LBB86_29
; %bb.28:
	ds_load_2addr_b64 v[7:10], v12 offset1:184
	s_waitcnt lgkmcnt(0)
	v_add_f64 v[7:8], v[9:10], v[7:8]
	ds_store_b64 v12, v[7:8]
.LBB86_29:
	s_or_b32 exec_lo, exec_lo, s1
	s_delay_alu instid0(SALU_CYCLE_1)
	s_mov_b32 s1, exec_lo
	s_waitcnt lgkmcnt(0)
	s_barrier
	buffer_gl0_inv
	v_cmpx_gt_u32_e32 0x5c, v0
	s_cbranch_execz .LBB86_31
; %bb.30:
	ds_load_2addr_b64 v[7:10], v12 offset1:92
	s_waitcnt lgkmcnt(0)
	v_add_f64 v[7:8], v[9:10], v[7:8]
	ds_store_b64 v12, v[7:8]
.LBB86_31:
	;; [unrolled: 14-line block ×3, first 2 shown]
	s_or_b32 exec_lo, exec_lo, s1
	s_delay_alu instid0(SALU_CYCLE_1)
	s_mov_b32 s1, exec_lo
	s_waitcnt lgkmcnt(0)
	buffer_gl0_inv
                                        ; implicit-def: $vgpr7
	v_cmpx_gt_u32_e32 23, v0
; %bb.34:
	v_add_nc_u32_e32 v7, 23, v0
	s_or_b32 s0, s0, exec_lo
                                        ; implicit-def: $vgpr5_vgpr6
; %bb.35:
	s_or_b32 exec_lo, exec_lo, s1
	v_mov_b32_e32 v8, v12
.LBB86_36:
	s_and_saveexec_b32 s1, s0
	s_cbranch_execnz .LBB86_39
; %bb.37:
	s_or_b32 exec_lo, exec_lo, s1
	v_cmp_gt_u32_e32 vcc_lo, 23, v0
	s_and_b32 exec_lo, exec_lo, vcc_lo
	s_cbranch_execnz .LBB86_40
.LBB86_38:
	s_nop 0
	s_sendmsg sendmsg(MSG_DEALLOC_VGPRS)
	s_endpgm
.LBB86_39:
	v_lshlrev_b32_e32 v7, 3, v7
	ds_load_b64 v[5:6], v8
	ds_load_b64 v[7:8], v7
	s_waitcnt lgkmcnt(0)
	v_add_f64 v[5:6], v[5:6], v[7:8]
	s_or_b32 exec_lo, exec_lo, s1
	v_cmp_gt_u32_e32 vcc_lo, 23, v0
	s_and_b32 exec_lo, exec_lo, vcc_lo
	s_cbranch_execz .LBB86_38
.LBB86_40:
	s_delay_alu instid0(VALU_DEP_2)
	v_mul_f64 v[3:4], v[3:4], v[5:6]
	s_mov_b32 s0, exec_lo
	v_cmpx_eq_f64_e32 0, v[1:2]
	s_xor_b32 s0, exec_lo, s0
	s_cbranch_execz .LBB86_42
; %bb.41:
	v_mad_u64_u32 v[1:2], null, s8, 23, v[0:1]
	v_mov_b32_e32 v2, 0
	s_delay_alu instid0(VALU_DEP_1) | instskip(NEXT) | instid1(VALU_DEP_1)
	v_lshlrev_b64 v[0:1], 3, v[1:2]
	v_add_co_u32 v0, vcc_lo, s10, v0
	s_delay_alu instid0(VALU_DEP_2)
	v_add_co_ci_u32_e32 v1, vcc_lo, s11, v1, vcc_lo
	global_store_b64 v[0:1], v[3:4], off
                                        ; implicit-def: $vgpr0
                                        ; implicit-def: $vgpr1_vgpr2
                                        ; implicit-def: $vgpr3_vgpr4
.LBB86_42:
	s_and_not1_saveexec_b32 s0, s0
	s_cbranch_execz .LBB86_38
; %bb.43:
	v_mad_u64_u32 v[5:6], null, s8, 23, v[0:1]
	v_mov_b32_e32 v6, 0
	s_delay_alu instid0(VALU_DEP_1) | instskip(NEXT) | instid1(VALU_DEP_1)
	v_lshlrev_b64 v[5:6], 3, v[5:6]
	v_add_co_u32 v5, vcc_lo, s10, v5
	s_delay_alu instid0(VALU_DEP_2)
	v_add_co_ci_u32_e32 v6, vcc_lo, s11, v6, vcc_lo
	global_load_b64 v[7:8], v[5:6], off
	s_waitcnt vmcnt(0)
	v_fma_f64 v[0:1], v[1:2], v[7:8], v[3:4]
	global_store_b64 v[5:6], v[0:1], off
	s_nop 0
	s_sendmsg sendmsg(MSG_DEALLOC_VGPRS)
	s_endpgm
	.section	.rodata,"a",@progbits
	.p2align	6, 0x0
	.amdhsa_kernel _ZN9rocsparseL20bsrxmvn_17_32_kernelILj23EdlidddEEvT2_20rocsparse_direction_NS_24const_host_device_scalarIT0_EES1_PKS1_PKT1_SA_S7_PKT3_PKT4_S5_PT5_21rocsparse_index_base_b
		.amdhsa_group_segment_fixed_size 4232
		.amdhsa_private_segment_fixed_size 0
		.amdhsa_kernarg_size 96
		.amdhsa_user_sgpr_count 15
		.amdhsa_user_sgpr_dispatch_ptr 0
		.amdhsa_user_sgpr_queue_ptr 0
		.amdhsa_user_sgpr_kernarg_segment_ptr 1
		.amdhsa_user_sgpr_dispatch_id 0
		.amdhsa_user_sgpr_private_segment_size 0
		.amdhsa_wavefront_size32 1
		.amdhsa_uses_dynamic_stack 0
		.amdhsa_enable_private_segment 0
		.amdhsa_system_sgpr_workgroup_id_x 1
		.amdhsa_system_sgpr_workgroup_id_y 0
		.amdhsa_system_sgpr_workgroup_id_z 0
		.amdhsa_system_sgpr_workgroup_info 0
		.amdhsa_system_vgpr_workitem_id 0
		.amdhsa_next_free_vgpr 19
		.amdhsa_next_free_sgpr 20
		.amdhsa_reserve_vcc 1
		.amdhsa_float_round_mode_32 0
		.amdhsa_float_round_mode_16_64 0
		.amdhsa_float_denorm_mode_32 3
		.amdhsa_float_denorm_mode_16_64 3
		.amdhsa_dx10_clamp 1
		.amdhsa_ieee_mode 1
		.amdhsa_fp16_overflow 0
		.amdhsa_workgroup_processor_mode 1
		.amdhsa_memory_ordered 1
		.amdhsa_forward_progress 0
		.amdhsa_shared_vgpr_count 0
		.amdhsa_exception_fp_ieee_invalid_op 0
		.amdhsa_exception_fp_denorm_src 0
		.amdhsa_exception_fp_ieee_div_zero 0
		.amdhsa_exception_fp_ieee_overflow 0
		.amdhsa_exception_fp_ieee_underflow 0
		.amdhsa_exception_fp_ieee_inexact 0
		.amdhsa_exception_int_div_zero 0
	.end_amdhsa_kernel
	.section	.text._ZN9rocsparseL20bsrxmvn_17_32_kernelILj23EdlidddEEvT2_20rocsparse_direction_NS_24const_host_device_scalarIT0_EES1_PKS1_PKT1_SA_S7_PKT3_PKT4_S5_PT5_21rocsparse_index_base_b,"axG",@progbits,_ZN9rocsparseL20bsrxmvn_17_32_kernelILj23EdlidddEEvT2_20rocsparse_direction_NS_24const_host_device_scalarIT0_EES1_PKS1_PKT1_SA_S7_PKT3_PKT4_S5_PT5_21rocsparse_index_base_b,comdat
.Lfunc_end86:
	.size	_ZN9rocsparseL20bsrxmvn_17_32_kernelILj23EdlidddEEvT2_20rocsparse_direction_NS_24const_host_device_scalarIT0_EES1_PKS1_PKT1_SA_S7_PKT3_PKT4_S5_PT5_21rocsparse_index_base_b, .Lfunc_end86-_ZN9rocsparseL20bsrxmvn_17_32_kernelILj23EdlidddEEvT2_20rocsparse_direction_NS_24const_host_device_scalarIT0_EES1_PKS1_PKT1_SA_S7_PKT3_PKT4_S5_PT5_21rocsparse_index_base_b
                                        ; -- End function
	.section	.AMDGPU.csdata,"",@progbits
; Kernel info:
; codeLenInByte = 1712
; NumSgprs: 22
; NumVgprs: 19
; ScratchSize: 0
; MemoryBound: 0
; FloatMode: 240
; IeeeMode: 1
; LDSByteSize: 4232 bytes/workgroup (compile time only)
; SGPRBlocks: 2
; VGPRBlocks: 2
; NumSGPRsForWavesPerEU: 22
; NumVGPRsForWavesPerEU: 19
; Occupancy: 13
; WaveLimiterHint : 1
; COMPUTE_PGM_RSRC2:SCRATCH_EN: 0
; COMPUTE_PGM_RSRC2:USER_SGPR: 15
; COMPUTE_PGM_RSRC2:TRAP_HANDLER: 0
; COMPUTE_PGM_RSRC2:TGID_X_EN: 1
; COMPUTE_PGM_RSRC2:TGID_Y_EN: 0
; COMPUTE_PGM_RSRC2:TGID_Z_EN: 0
; COMPUTE_PGM_RSRC2:TIDIG_COMP_CNT: 0
	.section	.text._ZN9rocsparseL20bsrxmvn_17_32_kernelILj24EdlidddEEvT2_20rocsparse_direction_NS_24const_host_device_scalarIT0_EES1_PKS1_PKT1_SA_S7_PKT3_PKT4_S5_PT5_21rocsparse_index_base_b,"axG",@progbits,_ZN9rocsparseL20bsrxmvn_17_32_kernelILj24EdlidddEEvT2_20rocsparse_direction_NS_24const_host_device_scalarIT0_EES1_PKS1_PKT1_SA_S7_PKT3_PKT4_S5_PT5_21rocsparse_index_base_b,comdat
	.globl	_ZN9rocsparseL20bsrxmvn_17_32_kernelILj24EdlidddEEvT2_20rocsparse_direction_NS_24const_host_device_scalarIT0_EES1_PKS1_PKT1_SA_S7_PKT3_PKT4_S5_PT5_21rocsparse_index_base_b ; -- Begin function _ZN9rocsparseL20bsrxmvn_17_32_kernelILj24EdlidddEEvT2_20rocsparse_direction_NS_24const_host_device_scalarIT0_EES1_PKS1_PKT1_SA_S7_PKT3_PKT4_S5_PT5_21rocsparse_index_base_b
	.p2align	8
	.type	_ZN9rocsparseL20bsrxmvn_17_32_kernelILj24EdlidddEEvT2_20rocsparse_direction_NS_24const_host_device_scalarIT0_EES1_PKS1_PKT1_SA_S7_PKT3_PKT4_S5_PT5_21rocsparse_index_base_b,@function
_ZN9rocsparseL20bsrxmvn_17_32_kernelILj24EdlidddEEvT2_20rocsparse_direction_NS_24const_host_device_scalarIT0_EES1_PKS1_PKT1_SA_S7_PKT3_PKT4_S5_PT5_21rocsparse_index_base_b: ; @_ZN9rocsparseL20bsrxmvn_17_32_kernelILj24EdlidddEEvT2_20rocsparse_direction_NS_24const_host_device_scalarIT0_EES1_PKS1_PKT1_SA_S7_PKT3_PKT4_S5_PT5_21rocsparse_index_base_b
; %bb.0:
	s_clause 0x2
	s_load_b64 s[12:13], s[0:1], 0x58
	s_load_b64 s[4:5], s[0:1], 0x8
	;; [unrolled: 1-line block ×3, first 2 shown]
	s_mov_b32 s8, s15
	s_waitcnt lgkmcnt(0)
	s_bitcmp1_b32 s13, 0
	v_dual_mov_b32 v3, s4 :: v_dual_mov_b32 v4, s5
	s_cselect_b32 s6, -1, 0
	s_delay_alu instid0(SALU_CYCLE_1)
	s_and_b32 vcc_lo, exec_lo, s6
	s_xor_b32 s6, s6, -1
	s_cbranch_vccnz .LBB87_2
; %bb.1:
	v_dual_mov_b32 v1, s4 :: v_dual_mov_b32 v2, s5
	flat_load_b64 v[3:4], v[1:2]
.LBB87_2:
	v_dual_mov_b32 v1, s2 :: v_dual_mov_b32 v2, s3
	s_and_not1_b32 vcc_lo, exec_lo, s6
	s_cbranch_vccnz .LBB87_4
; %bb.3:
	v_dual_mov_b32 v1, s2 :: v_dual_mov_b32 v2, s3
	flat_load_b64 v[1:2], v[1:2]
.LBB87_4:
	s_waitcnt vmcnt(0) lgkmcnt(0)
	v_cmp_neq_f64_e32 vcc_lo, 0, v[3:4]
	v_cmp_neq_f64_e64 s2, 1.0, v[1:2]
	s_delay_alu instid0(VALU_DEP_1) | instskip(NEXT) | instid1(SALU_CYCLE_1)
	s_or_b32 s2, vcc_lo, s2
	s_and_saveexec_b32 s3, s2
	s_cbranch_execz .LBB87_38
; %bb.5:
	s_clause 0x1
	s_load_b128 s[4:7], s[0:1], 0x18
	s_load_b64 s[10:11], s[0:1], 0x28
	s_waitcnt lgkmcnt(0)
	s_cmp_eq_u64 s[4:5], 0
	s_cbranch_scc1 .LBB87_7
; %bb.6:
	s_ashr_i32 s9, s8, 31
	s_delay_alu instid0(SALU_CYCLE_1) | instskip(NEXT) | instid1(SALU_CYCLE_1)
	s_lshl_b64 s[2:3], s[8:9], 2
	s_add_u32 s2, s4, s2
	s_addc_u32 s3, s5, s3
	s_load_b32 s2, s[2:3], 0x0
	s_waitcnt lgkmcnt(0)
	s_sub_i32 s8, s2, s12
.LBB87_7:
	s_load_b32 s3, s[0:1], 0x4
	v_mul_u32_u24_e32 v5, 0xaab, v0
	v_lshlrev_b32_e32 v12, 3, v0
	s_delay_alu instid0(VALU_DEP_2) | instskip(SKIP_2) | instid1(VALU_DEP_3)
	v_lshrrev_b32_e32 v7, 16, v5
	v_mov_b32_e32 v5, 0
	v_mov_b32_e32 v6, 0
	v_mul_lo_u16 v8, v7, 24
	s_delay_alu instid0(VALU_DEP_1)
	v_sub_nc_u16 v13, v0, v8
	s_waitcnt lgkmcnt(0)
	s_cmp_eq_u32 s3, 1
	s_cselect_b32 s2, -1, 0
	s_cmp_lg_u32 s3, 1
	s_cselect_b32 s3, -1, 0
	s_ashr_i32 s9, s8, 31
	s_delay_alu instid0(SALU_CYCLE_1) | instskip(NEXT) | instid1(SALU_CYCLE_1)
	s_lshl_b64 s[4:5], s[8:9], 3
	s_add_u32 s6, s6, s4
	s_addc_u32 s7, s7, s5
	s_add_u32 s9, s6, 8
	s_addc_u32 s13, s7, 0
	;; [unrolled: 2-line block ×3, first 2 shown]
	s_cmp_eq_u64 s[10:11], 0
	s_load_b64 s[10:11], s[0:1], 0x50
	s_cselect_b32 s5, s13, s5
	s_cselect_b32 s4, s9, s4
	s_load_b64 s[18:19], s[6:7], 0x0
	s_load_b64 s[14:15], s[4:5], 0x0
	s_waitcnt lgkmcnt(0)
	v_cmp_ge_i64_e64 s4, s[18:19], s[14:15]
	s_delay_alu instid0(VALU_DEP_1)
	s_and_b32 vcc_lo, exec_lo, s4
	s_cbranch_vccnz .LBB87_12
; %bb.8:
	v_and_b32_e32 v5, 0xffff, v7
	v_cmp_lt_u32_e32 vcc_lo, 0x23f, v0
	v_and_b32_e32 v6, 0xffff, v13
	s_clause 0x1
	s_load_b128 s[4:7], s[0:1], 0x30
	s_load_b64 s[0:1], s[0:1], 0x40
	s_sub_u32 s14, s14, s12
	v_subrev_nc_u32_e32 v7, 24, v5
	v_cndmask_b32_e64 v14, 0, 1, vcc_lo
	v_cmp_gt_u32_e32 vcc_lo, 0x240, v0
	s_subb_u32 s15, s15, 0
	s_sub_u32 s16, s18, s12
	v_lshlrev_b32_e32 v8, 3, v0
	s_subb_u32 s17, s19, 0
	v_cndmask_b32_e32 v5, v7, v5, vcc_lo
	s_mul_hi_u32 s9, s16, 0x1200
	s_mul_i32 s13, s17, 0x1200
	s_delay_alu instid0(SALU_CYCLE_1) | instskip(NEXT) | instid1(VALU_DEP_1)
	s_add_i32 s9, s9, s13
	v_cndmask_b32_e64 v7, v6, v5, s2
	v_add_co_u32 v5, s2, s18, v14
	s_delay_alu instid0(VALU_DEP_1) | instskip(SKIP_1) | instid1(VALU_DEP_2)
	v_add_co_ci_u32_e64 v6, null, s19, 0, s2
	s_mul_i32 s2, s16, 0x1200
	v_sub_co_u32 v5, vcc_lo, v5, s12
	s_delay_alu instid0(VALU_DEP_2)
	v_subrev_co_ci_u32_e32 v6, vcc_lo, 0, v6, vcc_lo
	s_waitcnt lgkmcnt(0)
	s_add_u32 s2, s6, s2
	s_addc_u32 s6, s7, s9
	v_add_co_u32 v8, s2, s2, v8
	v_lshlrev_b64 v[10:11], 2, v[5:6]
	v_mov_b32_e32 v5, 0
	v_add_co_ci_u32_e64 v9, null, s6, 0, s2
	v_mov_b32_e32 v6, 0
	s_delay_alu instid0(VALU_DEP_4)
	v_add_co_u32 v10, vcc_lo, s4, v10
	v_add_co_ci_u32_e32 v11, vcc_lo, s5, v11, vcc_lo
	s_set_inst_prefetch_distance 0x1
	s_branch .LBB87_10
	.p2align	6
.LBB87_9:                               ;   in Loop: Header=BB87_10 Depth=1
	s_or_b32 exec_lo, exec_lo, s2
	s_add_u32 s16, s16, 1
	s_addc_u32 s17, s17, 0
	v_add_co_u32 v10, vcc_lo, v10, 4
	v_cmp_lt_i64_e64 s2, s[16:17], s[14:15]
	v_add_co_ci_u32_e32 v11, vcc_lo, 0, v11, vcc_lo
	s_delay_alu instid0(VALU_DEP_2)
	s_and_b32 vcc_lo, exec_lo, s2
	s_cbranch_vccz .LBB87_12
.LBB87_10:                              ; =>This Inner Loop Header: Depth=1
	v_add_co_u32 v15, s2, v14, s16
	s_delay_alu instid0(VALU_DEP_1) | instskip(SKIP_1) | instid1(VALU_DEP_1)
	v_add_co_ci_u32_e64 v16, null, 0, s17, s2
	s_mov_b32 s2, exec_lo
	v_cmpx_gt_i64_e64 s[14:15], v[15:16]
	s_cbranch_execz .LBB87_9
; %bb.11:                               ;   in Loop: Header=BB87_10 Depth=1
	global_load_b32 v15, v[10:11], off
	s_waitcnt vmcnt(0)
	v_subrev_nc_u32_e32 v17, s12, v15
	s_delay_alu instid0(VALU_DEP_1) | instskip(NEXT) | instid1(VALU_DEP_1)
	v_mad_u64_u32 v[15:16], null, v17, 24, v[7:8]
	v_ashrrev_i32_e32 v16, 31, v15
	s_delay_alu instid0(VALU_DEP_1) | instskip(NEXT) | instid1(VALU_DEP_1)
	v_lshlrev_b64 v[15:16], 3, v[15:16]
	v_add_co_u32 v15, vcc_lo, s0, v15
	s_delay_alu instid0(VALU_DEP_2)
	v_add_co_ci_u32_e32 v16, vcc_lo, s1, v16, vcc_lo
	global_load_b64 v[17:18], v[8:9], off
	global_load_b64 v[15:16], v[15:16], off
	v_add_co_u32 v8, vcc_lo, 0x1200, v8
	v_add_co_ci_u32_e32 v9, vcc_lo, 0, v9, vcc_lo
	s_waitcnt vmcnt(0)
	v_fma_f64 v[5:6], v[17:18], v[15:16], v[5:6]
	s_branch .LBB87_9
.LBB87_12:
	s_set_inst_prefetch_distance 0x2
	s_and_b32 vcc_lo, exec_lo, s3
	ds_store_b64 v12, v[5:6]
	s_waitcnt lgkmcnt(0)
	s_barrier
	buffer_gl0_inv
	s_cbranch_vccz .LBB87_24
; %bb.13:
	v_cmp_gt_u16_e32 vcc_lo, 8, v13
	s_and_saveexec_b32 s0, vcc_lo
	s_cbranch_execz .LBB87_15
; %bb.14:
	ds_load_2addr_b64 v[7:10], v12 offset1:16
	s_waitcnt lgkmcnt(0)
	v_add_f64 v[7:8], v[9:10], v[7:8]
	ds_store_b64 v12, v[7:8]
.LBB87_15:
	s_or_b32 exec_lo, exec_lo, s0
	s_waitcnt lgkmcnt(0)
	s_barrier
	buffer_gl0_inv
	s_and_saveexec_b32 s0, vcc_lo
	s_cbranch_execz .LBB87_17
; %bb.16:
	ds_load_2addr_b64 v[7:10], v12 offset1:8
	s_waitcnt lgkmcnt(0)
	v_add_f64 v[7:8], v[9:10], v[7:8]
	ds_store_b64 v12, v[7:8]
.LBB87_17:
	s_or_b32 exec_lo, exec_lo, s0
	s_delay_alu instid0(SALU_CYCLE_1)
	s_mov_b32 s0, exec_lo
	s_waitcnt lgkmcnt(0)
	s_barrier
	buffer_gl0_inv
	v_cmpx_gt_u16_e32 4, v13
	s_cbranch_execz .LBB87_19
; %bb.18:
	ds_load_2addr_b64 v[7:10], v12 offset1:4
	s_waitcnt lgkmcnt(0)
	v_add_f64 v[7:8], v[9:10], v[7:8]
	ds_store_b64 v12, v[7:8]
.LBB87_19:
	s_or_b32 exec_lo, exec_lo, s0
	s_delay_alu instid0(SALU_CYCLE_1)
	s_mov_b32 s0, exec_lo
	s_waitcnt lgkmcnt(0)
	s_barrier
	buffer_gl0_inv
	v_cmpx_gt_u16_e32 2, v13
	s_cbranch_execz .LBB87_21
; %bb.20:
	ds_load_2addr_b64 v[7:10], v12 offset1:2
	s_waitcnt lgkmcnt(0)
	v_add_f64 v[7:8], v[9:10], v[7:8]
	ds_store_b64 v12, v[7:8]
.LBB87_21:
	s_or_b32 exec_lo, exec_lo, s0
	s_mov_b32 s1, 0
	s_mov_b32 s0, 0
	s_mov_b32 s2, exec_lo
	s_waitcnt lgkmcnt(0)
	s_barrier
	buffer_gl0_inv
                                        ; implicit-def: $vgpr7
                                        ; implicit-def: $vgpr8
	v_cmpx_gt_u32_e32 24, v0
	s_xor_b32 s2, exec_lo, s2
; %bb.22:
	v_mul_u32_u24_e32 v7, 24, v0
	v_mad_u32_u24 v8, 0xb8, v0, v12
	s_mov_b32 s0, exec_lo
	s_delay_alu instid0(VALU_DEP_2)
	v_or_b32_e32 v7, 1, v7
; %bb.23:
	s_or_b32 exec_lo, exec_lo, s2
	s_delay_alu instid0(SALU_CYCLE_1)
	s_and_b32 vcc_lo, exec_lo, s1
	s_cbranch_vccnz .LBB87_25
	s_branch .LBB87_36
.LBB87_24:
	s_mov_b32 s0, 0
                                        ; implicit-def: $vgpr7
                                        ; implicit-def: $vgpr8
	s_cbranch_execz .LBB87_36
.LBB87_25:
	v_cmp_gt_u32_e32 vcc_lo, 0xc0, v0
	s_and_saveexec_b32 s1, vcc_lo
	s_cbranch_execz .LBB87_27
; %bb.26:
	ds_load_2addr_stride64_b64 v[7:10], v12 offset1:6
	s_waitcnt lgkmcnt(0)
	v_add_f64 v[7:8], v[9:10], v[7:8]
	ds_store_b64 v12, v[7:8]
.LBB87_27:
	s_or_b32 exec_lo, exec_lo, s1
	s_waitcnt lgkmcnt(0)
	s_barrier
	buffer_gl0_inv
	s_and_saveexec_b32 s1, vcc_lo
	s_cbranch_execz .LBB87_29
; %bb.28:
	ds_load_2addr_stride64_b64 v[7:10], v12 offset1:3
	s_waitcnt lgkmcnt(0)
	v_add_f64 v[7:8], v[9:10], v[7:8]
	ds_store_b64 v12, v[7:8]
.LBB87_29:
	s_or_b32 exec_lo, exec_lo, s1
	s_delay_alu instid0(SALU_CYCLE_1)
	s_mov_b32 s1, exec_lo
	s_waitcnt lgkmcnt(0)
	s_barrier
	buffer_gl0_inv
	v_cmpx_gt_u32_e32 0x60, v0
	s_cbranch_execz .LBB87_31
; %bb.30:
	ds_load_2addr_b64 v[7:10], v12 offset1:96
	s_waitcnt lgkmcnt(0)
	v_add_f64 v[7:8], v[9:10], v[7:8]
	ds_store_b64 v12, v[7:8]
.LBB87_31:
	s_or_b32 exec_lo, exec_lo, s1
	s_delay_alu instid0(SALU_CYCLE_1)
	s_mov_b32 s1, exec_lo
	s_waitcnt lgkmcnt(0)
	s_barrier
	buffer_gl0_inv
	v_cmpx_gt_u32_e32 48, v0
	s_cbranch_execz .LBB87_33
; %bb.32:
	ds_load_2addr_b64 v[7:10], v12 offset1:48
	s_waitcnt lgkmcnt(0)
	v_add_f64 v[7:8], v[9:10], v[7:8]
	ds_store_b64 v12, v[7:8]
.LBB87_33:
	s_or_b32 exec_lo, exec_lo, s1
	s_delay_alu instid0(SALU_CYCLE_1)
	s_mov_b32 s1, exec_lo
	s_waitcnt lgkmcnt(0)
	buffer_gl0_inv
                                        ; implicit-def: $vgpr7
	v_cmpx_gt_u32_e32 24, v0
; %bb.34:
	v_add_nc_u32_e32 v7, 24, v0
	s_or_b32 s0, s0, exec_lo
                                        ; implicit-def: $vgpr5_vgpr6
; %bb.35:
	s_or_b32 exec_lo, exec_lo, s1
	v_mov_b32_e32 v8, v12
.LBB87_36:
	s_and_saveexec_b32 s1, s0
	s_cbranch_execnz .LBB87_39
; %bb.37:
	s_or_b32 exec_lo, exec_lo, s1
	v_cmp_gt_u32_e32 vcc_lo, 24, v0
	s_and_b32 exec_lo, exec_lo, vcc_lo
	s_cbranch_execnz .LBB87_40
.LBB87_38:
	s_nop 0
	s_sendmsg sendmsg(MSG_DEALLOC_VGPRS)
	s_endpgm
.LBB87_39:
	v_lshlrev_b32_e32 v7, 3, v7
	ds_load_b64 v[5:6], v8
	ds_load_b64 v[7:8], v7
	s_waitcnt lgkmcnt(0)
	v_add_f64 v[5:6], v[5:6], v[7:8]
	s_or_b32 exec_lo, exec_lo, s1
	v_cmp_gt_u32_e32 vcc_lo, 24, v0
	s_and_b32 exec_lo, exec_lo, vcc_lo
	s_cbranch_execz .LBB87_38
.LBB87_40:
	s_delay_alu instid0(VALU_DEP_2)
	v_mul_f64 v[3:4], v[3:4], v[5:6]
	s_mov_b32 s0, exec_lo
	v_cmpx_eq_f64_e32 0, v[1:2]
	s_xor_b32 s0, exec_lo, s0
	s_cbranch_execz .LBB87_42
; %bb.41:
	v_mad_u64_u32 v[1:2], null, s8, 24, v[0:1]
	v_mov_b32_e32 v2, 0
	s_delay_alu instid0(VALU_DEP_1) | instskip(NEXT) | instid1(VALU_DEP_1)
	v_lshlrev_b64 v[0:1], 3, v[1:2]
	v_add_co_u32 v0, vcc_lo, s10, v0
	s_delay_alu instid0(VALU_DEP_2)
	v_add_co_ci_u32_e32 v1, vcc_lo, s11, v1, vcc_lo
	global_store_b64 v[0:1], v[3:4], off
                                        ; implicit-def: $vgpr0
                                        ; implicit-def: $vgpr1_vgpr2
                                        ; implicit-def: $vgpr3_vgpr4
.LBB87_42:
	s_and_not1_saveexec_b32 s0, s0
	s_cbranch_execz .LBB87_38
; %bb.43:
	v_mad_u64_u32 v[5:6], null, s8, 24, v[0:1]
	v_mov_b32_e32 v6, 0
	s_delay_alu instid0(VALU_DEP_1) | instskip(NEXT) | instid1(VALU_DEP_1)
	v_lshlrev_b64 v[5:6], 3, v[5:6]
	v_add_co_u32 v5, vcc_lo, s10, v5
	s_delay_alu instid0(VALU_DEP_2)
	v_add_co_ci_u32_e32 v6, vcc_lo, s11, v6, vcc_lo
	global_load_b64 v[7:8], v[5:6], off
	s_waitcnt vmcnt(0)
	v_fma_f64 v[0:1], v[1:2], v[7:8], v[3:4]
	global_store_b64 v[5:6], v[0:1], off
	s_nop 0
	s_sendmsg sendmsg(MSG_DEALLOC_VGPRS)
	s_endpgm
	.section	.rodata,"a",@progbits
	.p2align	6, 0x0
	.amdhsa_kernel _ZN9rocsparseL20bsrxmvn_17_32_kernelILj24EdlidddEEvT2_20rocsparse_direction_NS_24const_host_device_scalarIT0_EES1_PKS1_PKT1_SA_S7_PKT3_PKT4_S5_PT5_21rocsparse_index_base_b
		.amdhsa_group_segment_fixed_size 4608
		.amdhsa_private_segment_fixed_size 0
		.amdhsa_kernarg_size 96
		.amdhsa_user_sgpr_count 15
		.amdhsa_user_sgpr_dispatch_ptr 0
		.amdhsa_user_sgpr_queue_ptr 0
		.amdhsa_user_sgpr_kernarg_segment_ptr 1
		.amdhsa_user_sgpr_dispatch_id 0
		.amdhsa_user_sgpr_private_segment_size 0
		.amdhsa_wavefront_size32 1
		.amdhsa_uses_dynamic_stack 0
		.amdhsa_enable_private_segment 0
		.amdhsa_system_sgpr_workgroup_id_x 1
		.amdhsa_system_sgpr_workgroup_id_y 0
		.amdhsa_system_sgpr_workgroup_id_z 0
		.amdhsa_system_sgpr_workgroup_info 0
		.amdhsa_system_vgpr_workitem_id 0
		.amdhsa_next_free_vgpr 19
		.amdhsa_next_free_sgpr 20
		.amdhsa_reserve_vcc 1
		.amdhsa_float_round_mode_32 0
		.amdhsa_float_round_mode_16_64 0
		.amdhsa_float_denorm_mode_32 3
		.amdhsa_float_denorm_mode_16_64 3
		.amdhsa_dx10_clamp 1
		.amdhsa_ieee_mode 1
		.amdhsa_fp16_overflow 0
		.amdhsa_workgroup_processor_mode 1
		.amdhsa_memory_ordered 1
		.amdhsa_forward_progress 0
		.amdhsa_shared_vgpr_count 0
		.amdhsa_exception_fp_ieee_invalid_op 0
		.amdhsa_exception_fp_denorm_src 0
		.amdhsa_exception_fp_ieee_div_zero 0
		.amdhsa_exception_fp_ieee_overflow 0
		.amdhsa_exception_fp_ieee_underflow 0
		.amdhsa_exception_fp_ieee_inexact 0
		.amdhsa_exception_int_div_zero 0
	.end_amdhsa_kernel
	.section	.text._ZN9rocsparseL20bsrxmvn_17_32_kernelILj24EdlidddEEvT2_20rocsparse_direction_NS_24const_host_device_scalarIT0_EES1_PKS1_PKT1_SA_S7_PKT3_PKT4_S5_PT5_21rocsparse_index_base_b,"axG",@progbits,_ZN9rocsparseL20bsrxmvn_17_32_kernelILj24EdlidddEEvT2_20rocsparse_direction_NS_24const_host_device_scalarIT0_EES1_PKS1_PKT1_SA_S7_PKT3_PKT4_S5_PT5_21rocsparse_index_base_b,comdat
.Lfunc_end87:
	.size	_ZN9rocsparseL20bsrxmvn_17_32_kernelILj24EdlidddEEvT2_20rocsparse_direction_NS_24const_host_device_scalarIT0_EES1_PKS1_PKT1_SA_S7_PKT3_PKT4_S5_PT5_21rocsparse_index_base_b, .Lfunc_end87-_ZN9rocsparseL20bsrxmvn_17_32_kernelILj24EdlidddEEvT2_20rocsparse_direction_NS_24const_host_device_scalarIT0_EES1_PKS1_PKT1_SA_S7_PKT3_PKT4_S5_PT5_21rocsparse_index_base_b
                                        ; -- End function
	.section	.AMDGPU.csdata,"",@progbits
; Kernel info:
; codeLenInByte = 1688
; NumSgprs: 22
; NumVgprs: 19
; ScratchSize: 0
; MemoryBound: 0
; FloatMode: 240
; IeeeMode: 1
; LDSByteSize: 4608 bytes/workgroup (compile time only)
; SGPRBlocks: 2
; VGPRBlocks: 2
; NumSGPRsForWavesPerEU: 22
; NumVGPRsForWavesPerEU: 19
; Occupancy: 14
; WaveLimiterHint : 1
; COMPUTE_PGM_RSRC2:SCRATCH_EN: 0
; COMPUTE_PGM_RSRC2:USER_SGPR: 15
; COMPUTE_PGM_RSRC2:TRAP_HANDLER: 0
; COMPUTE_PGM_RSRC2:TGID_X_EN: 1
; COMPUTE_PGM_RSRC2:TGID_Y_EN: 0
; COMPUTE_PGM_RSRC2:TGID_Z_EN: 0
; COMPUTE_PGM_RSRC2:TIDIG_COMP_CNT: 0
	.section	.text._ZN9rocsparseL20bsrxmvn_17_32_kernelILj25EdlidddEEvT2_20rocsparse_direction_NS_24const_host_device_scalarIT0_EES1_PKS1_PKT1_SA_S7_PKT3_PKT4_S5_PT5_21rocsparse_index_base_b,"axG",@progbits,_ZN9rocsparseL20bsrxmvn_17_32_kernelILj25EdlidddEEvT2_20rocsparse_direction_NS_24const_host_device_scalarIT0_EES1_PKS1_PKT1_SA_S7_PKT3_PKT4_S5_PT5_21rocsparse_index_base_b,comdat
	.globl	_ZN9rocsparseL20bsrxmvn_17_32_kernelILj25EdlidddEEvT2_20rocsparse_direction_NS_24const_host_device_scalarIT0_EES1_PKS1_PKT1_SA_S7_PKT3_PKT4_S5_PT5_21rocsparse_index_base_b ; -- Begin function _ZN9rocsparseL20bsrxmvn_17_32_kernelILj25EdlidddEEvT2_20rocsparse_direction_NS_24const_host_device_scalarIT0_EES1_PKS1_PKT1_SA_S7_PKT3_PKT4_S5_PT5_21rocsparse_index_base_b
	.p2align	8
	.type	_ZN9rocsparseL20bsrxmvn_17_32_kernelILj25EdlidddEEvT2_20rocsparse_direction_NS_24const_host_device_scalarIT0_EES1_PKS1_PKT1_SA_S7_PKT3_PKT4_S5_PT5_21rocsparse_index_base_b,@function
_ZN9rocsparseL20bsrxmvn_17_32_kernelILj25EdlidddEEvT2_20rocsparse_direction_NS_24const_host_device_scalarIT0_EES1_PKS1_PKT1_SA_S7_PKT3_PKT4_S5_PT5_21rocsparse_index_base_b: ; @_ZN9rocsparseL20bsrxmvn_17_32_kernelILj25EdlidddEEvT2_20rocsparse_direction_NS_24const_host_device_scalarIT0_EES1_PKS1_PKT1_SA_S7_PKT3_PKT4_S5_PT5_21rocsparse_index_base_b
; %bb.0:
	s_clause 0x2
	s_load_b64 s[12:13], s[0:1], 0x58
	s_load_b64 s[4:5], s[0:1], 0x8
	;; [unrolled: 1-line block ×3, first 2 shown]
	s_mov_b32 s8, s15
	s_waitcnt lgkmcnt(0)
	s_bitcmp1_b32 s13, 0
	v_dual_mov_b32 v3, s4 :: v_dual_mov_b32 v4, s5
	s_cselect_b32 s6, -1, 0
	s_delay_alu instid0(SALU_CYCLE_1)
	s_and_b32 vcc_lo, exec_lo, s6
	s_xor_b32 s6, s6, -1
	s_cbranch_vccnz .LBB88_2
; %bb.1:
	v_dual_mov_b32 v1, s4 :: v_dual_mov_b32 v2, s5
	flat_load_b64 v[3:4], v[1:2]
.LBB88_2:
	v_dual_mov_b32 v1, s2 :: v_dual_mov_b32 v2, s3
	s_and_not1_b32 vcc_lo, exec_lo, s6
	s_cbranch_vccnz .LBB88_4
; %bb.3:
	v_dual_mov_b32 v1, s2 :: v_dual_mov_b32 v2, s3
	flat_load_b64 v[1:2], v[1:2]
.LBB88_4:
	s_waitcnt vmcnt(0) lgkmcnt(0)
	v_cmp_neq_f64_e32 vcc_lo, 0, v[3:4]
	v_cmp_neq_f64_e64 s2, 1.0, v[1:2]
	s_delay_alu instid0(VALU_DEP_1) | instskip(NEXT) | instid1(SALU_CYCLE_1)
	s_or_b32 s2, vcc_lo, s2
	s_and_saveexec_b32 s3, s2
	s_cbranch_execz .LBB88_38
; %bb.5:
	s_clause 0x1
	s_load_b128 s[4:7], s[0:1], 0x18
	s_load_b64 s[10:11], s[0:1], 0x28
	s_waitcnt lgkmcnt(0)
	s_cmp_eq_u64 s[4:5], 0
	s_cbranch_scc1 .LBB88_7
; %bb.6:
	s_ashr_i32 s9, s8, 31
	s_delay_alu instid0(SALU_CYCLE_1) | instskip(NEXT) | instid1(SALU_CYCLE_1)
	s_lshl_b64 s[2:3], s[8:9], 2
	s_add_u32 s2, s4, s2
	s_addc_u32 s3, s5, s3
	s_load_b32 s2, s[2:3], 0x0
	s_waitcnt lgkmcnt(0)
	s_sub_i32 s8, s2, s12
.LBB88_7:
	s_load_b32 s3, s[0:1], 0x4
	v_mul_u32_u24_e32 v5, 0xa3e, v0
	v_lshlrev_b32_e32 v12, 3, v0
	s_delay_alu instid0(VALU_DEP_2) | instskip(SKIP_2) | instid1(VALU_DEP_3)
	v_lshrrev_b32_e32 v7, 16, v5
	v_mov_b32_e32 v5, 0
	v_mov_b32_e32 v6, 0
	v_mul_lo_u16 v8, v7, 25
	s_delay_alu instid0(VALU_DEP_1)
	v_sub_nc_u16 v13, v0, v8
	s_waitcnt lgkmcnt(0)
	s_cmp_eq_u32 s3, 1
	s_cselect_b32 s2, -1, 0
	s_cmp_lg_u32 s3, 1
	s_cselect_b32 s3, -1, 0
	s_ashr_i32 s9, s8, 31
	s_delay_alu instid0(SALU_CYCLE_1) | instskip(NEXT) | instid1(SALU_CYCLE_1)
	s_lshl_b64 s[4:5], s[8:9], 3
	s_add_u32 s6, s6, s4
	s_addc_u32 s7, s7, s5
	s_add_u32 s9, s6, 8
	s_addc_u32 s13, s7, 0
	;; [unrolled: 2-line block ×3, first 2 shown]
	s_cmp_eq_u64 s[10:11], 0
	s_load_b64 s[10:11], s[0:1], 0x50
	s_cselect_b32 s5, s13, s5
	s_cselect_b32 s4, s9, s4
	s_load_b64 s[18:19], s[6:7], 0x0
	s_load_b64 s[14:15], s[4:5], 0x0
	s_waitcnt lgkmcnt(0)
	v_cmp_ge_i64_e64 s4, s[18:19], s[14:15]
	s_delay_alu instid0(VALU_DEP_1)
	s_and_b32 vcc_lo, exec_lo, s4
	s_cbranch_vccnz .LBB88_12
; %bb.8:
	v_and_b32_e32 v5, 0xffff, v7
	v_cmp_lt_u32_e32 vcc_lo, 0x270, v0
	v_and_b32_e32 v6, 0xffff, v13
	s_clause 0x1
	s_load_b128 s[4:7], s[0:1], 0x30
	s_load_b64 s[0:1], s[0:1], 0x40
	s_sub_u32 s14, s14, s12
	v_subrev_nc_u32_e32 v7, 25, v5
	v_cndmask_b32_e64 v14, 0, 1, vcc_lo
	v_cmp_gt_u32_e32 vcc_lo, 0x271, v0
	s_subb_u32 s15, s15, 0
	s_sub_u32 s16, s18, s12
	v_lshlrev_b32_e32 v8, 3, v0
	s_subb_u32 s17, s19, 0
	v_cndmask_b32_e32 v5, v7, v5, vcc_lo
	s_mul_hi_u32 s9, s16, 0x1388
	s_mul_i32 s13, s17, 0x1388
	s_delay_alu instid0(SALU_CYCLE_1) | instskip(NEXT) | instid1(VALU_DEP_1)
	s_add_i32 s9, s9, s13
	v_cndmask_b32_e64 v7, v6, v5, s2
	v_add_co_u32 v5, s2, s18, v14
	s_delay_alu instid0(VALU_DEP_1) | instskip(SKIP_1) | instid1(VALU_DEP_2)
	v_add_co_ci_u32_e64 v6, null, s19, 0, s2
	s_mul_i32 s2, s16, 0x1388
	v_sub_co_u32 v5, vcc_lo, v5, s12
	s_delay_alu instid0(VALU_DEP_2)
	v_subrev_co_ci_u32_e32 v6, vcc_lo, 0, v6, vcc_lo
	s_waitcnt lgkmcnt(0)
	s_add_u32 s2, s6, s2
	s_addc_u32 s6, s7, s9
	v_add_co_u32 v8, s2, s2, v8
	v_lshlrev_b64 v[10:11], 2, v[5:6]
	v_mov_b32_e32 v5, 0
	v_add_co_ci_u32_e64 v9, null, s6, 0, s2
	v_mov_b32_e32 v6, 0
	s_delay_alu instid0(VALU_DEP_4)
	v_add_co_u32 v10, vcc_lo, s4, v10
	v_add_co_ci_u32_e32 v11, vcc_lo, s5, v11, vcc_lo
	s_set_inst_prefetch_distance 0x1
	s_branch .LBB88_10
	.p2align	6
.LBB88_9:                               ;   in Loop: Header=BB88_10 Depth=1
	s_or_b32 exec_lo, exec_lo, s2
	s_add_u32 s16, s16, 1
	s_addc_u32 s17, s17, 0
	v_add_co_u32 v10, vcc_lo, v10, 4
	v_cmp_lt_i64_e64 s2, s[16:17], s[14:15]
	v_add_co_ci_u32_e32 v11, vcc_lo, 0, v11, vcc_lo
	s_delay_alu instid0(VALU_DEP_2)
	s_and_b32 vcc_lo, exec_lo, s2
	s_cbranch_vccz .LBB88_12
.LBB88_10:                              ; =>This Inner Loop Header: Depth=1
	v_add_co_u32 v15, s2, v14, s16
	s_delay_alu instid0(VALU_DEP_1) | instskip(SKIP_1) | instid1(VALU_DEP_1)
	v_add_co_ci_u32_e64 v16, null, 0, s17, s2
	s_mov_b32 s2, exec_lo
	v_cmpx_gt_i64_e64 s[14:15], v[15:16]
	s_cbranch_execz .LBB88_9
; %bb.11:                               ;   in Loop: Header=BB88_10 Depth=1
	global_load_b32 v15, v[10:11], off
	s_waitcnt vmcnt(0)
	v_subrev_nc_u32_e32 v17, s12, v15
	s_delay_alu instid0(VALU_DEP_1) | instskip(NEXT) | instid1(VALU_DEP_1)
	v_mad_u64_u32 v[15:16], null, v17, 25, v[7:8]
	v_ashrrev_i32_e32 v16, 31, v15
	s_delay_alu instid0(VALU_DEP_1) | instskip(NEXT) | instid1(VALU_DEP_1)
	v_lshlrev_b64 v[15:16], 3, v[15:16]
	v_add_co_u32 v15, vcc_lo, s0, v15
	s_delay_alu instid0(VALU_DEP_2)
	v_add_co_ci_u32_e32 v16, vcc_lo, s1, v16, vcc_lo
	global_load_b64 v[17:18], v[8:9], off
	global_load_b64 v[15:16], v[15:16], off
	v_add_co_u32 v8, vcc_lo, 0x1388, v8
	v_add_co_ci_u32_e32 v9, vcc_lo, 0, v9, vcc_lo
	s_waitcnt vmcnt(0)
	v_fma_f64 v[5:6], v[17:18], v[15:16], v[5:6]
	s_branch .LBB88_9
.LBB88_12:
	s_set_inst_prefetch_distance 0x2
	s_and_b32 vcc_lo, exec_lo, s3
	ds_store_b64 v12, v[5:6]
	s_waitcnt lgkmcnt(0)
	s_barrier
	buffer_gl0_inv
	s_cbranch_vccz .LBB88_24
; %bb.13:
	s_mov_b32 s0, exec_lo
	v_cmpx_gt_u16_e32 9, v13
	s_cbranch_execz .LBB88_15
; %bb.14:
	ds_load_2addr_b64 v[7:10], v12 offset1:16
	s_waitcnt lgkmcnt(0)
	v_add_f64 v[7:8], v[9:10], v[7:8]
	ds_store_b64 v12, v[7:8]
.LBB88_15:
	s_or_b32 exec_lo, exec_lo, s0
	s_delay_alu instid0(SALU_CYCLE_1)
	s_mov_b32 s0, exec_lo
	s_waitcnt lgkmcnt(0)
	s_barrier
	buffer_gl0_inv
	v_cmpx_gt_u16_e32 8, v13
	s_cbranch_execz .LBB88_17
; %bb.16:
	ds_load_2addr_b64 v[7:10], v12 offset1:8
	s_waitcnt lgkmcnt(0)
	v_add_f64 v[7:8], v[9:10], v[7:8]
	ds_store_b64 v12, v[7:8]
.LBB88_17:
	s_or_b32 exec_lo, exec_lo, s0
	s_delay_alu instid0(SALU_CYCLE_1)
	s_mov_b32 s0, exec_lo
	s_waitcnt lgkmcnt(0)
	s_barrier
	buffer_gl0_inv
	v_cmpx_gt_u16_e32 4, v13
	s_cbranch_execz .LBB88_19
; %bb.18:
	ds_load_2addr_b64 v[7:10], v12 offset1:4
	s_waitcnt lgkmcnt(0)
	v_add_f64 v[7:8], v[9:10], v[7:8]
	ds_store_b64 v12, v[7:8]
.LBB88_19:
	s_or_b32 exec_lo, exec_lo, s0
	s_delay_alu instid0(SALU_CYCLE_1)
	s_mov_b32 s0, exec_lo
	s_waitcnt lgkmcnt(0)
	s_barrier
	buffer_gl0_inv
	v_cmpx_gt_u16_e32 2, v13
	s_cbranch_execz .LBB88_21
; %bb.20:
	ds_load_2addr_b64 v[7:10], v12 offset1:2
	s_waitcnt lgkmcnt(0)
	v_add_f64 v[7:8], v[9:10], v[7:8]
	ds_store_b64 v12, v[7:8]
.LBB88_21:
	s_or_b32 exec_lo, exec_lo, s0
	s_mov_b32 s1, 0
	s_mov_b32 s0, 0
	s_mov_b32 s2, exec_lo
	s_waitcnt lgkmcnt(0)
	s_barrier
	buffer_gl0_inv
                                        ; implicit-def: $vgpr7
                                        ; implicit-def: $vgpr8
	v_cmpx_gt_u32_e32 25, v0
	s_xor_b32 s2, exec_lo, s2
; %bb.22:
	v_mad_u32_u24 v7, v0, 25, 1
	v_mad_u32_u24 v8, 0xc0, v0, v12
	s_mov_b32 s0, exec_lo
; %bb.23:
	s_or_b32 exec_lo, exec_lo, s2
	s_delay_alu instid0(SALU_CYCLE_1)
	s_and_b32 vcc_lo, exec_lo, s1
	s_cbranch_vccnz .LBB88_25
	s_branch .LBB88_36
.LBB88_24:
	s_mov_b32 s0, 0
                                        ; implicit-def: $vgpr7
                                        ; implicit-def: $vgpr8
	s_cbranch_execz .LBB88_36
.LBB88_25:
	s_mov_b32 s1, exec_lo
	v_cmpx_gt_u32_e32 0xe1, v0
	s_cbranch_execz .LBB88_27
; %bb.26:
	ds_load_b64 v[7:8], v12 offset:3200
	ds_load_b64 v[9:10], v12
	s_waitcnt lgkmcnt(0)
	v_add_f64 v[7:8], v[7:8], v[9:10]
	ds_store_b64 v12, v[7:8]
.LBB88_27:
	s_or_b32 exec_lo, exec_lo, s1
	s_delay_alu instid0(SALU_CYCLE_1)
	s_mov_b32 s1, exec_lo
	s_waitcnt lgkmcnt(0)
	s_barrier
	buffer_gl0_inv
	v_cmpx_gt_u32_e32 0xc8, v0
	s_cbranch_execz .LBB88_29
; %bb.28:
	ds_load_2addr_b64 v[7:10], v12 offset1:200
	s_waitcnt lgkmcnt(0)
	v_add_f64 v[7:8], v[9:10], v[7:8]
	ds_store_b64 v12, v[7:8]
.LBB88_29:
	s_or_b32 exec_lo, exec_lo, s1
	s_delay_alu instid0(SALU_CYCLE_1)
	s_mov_b32 s1, exec_lo
	s_waitcnt lgkmcnt(0)
	s_barrier
	buffer_gl0_inv
	v_cmpx_gt_u32_e32 0x64, v0
	s_cbranch_execz .LBB88_31
; %bb.30:
	ds_load_2addr_b64 v[7:10], v12 offset1:100
	s_waitcnt lgkmcnt(0)
	v_add_f64 v[7:8], v[9:10], v[7:8]
	ds_store_b64 v12, v[7:8]
.LBB88_31:
	s_or_b32 exec_lo, exec_lo, s1
	s_delay_alu instid0(SALU_CYCLE_1)
	s_mov_b32 s1, exec_lo
	s_waitcnt lgkmcnt(0)
	s_barrier
	buffer_gl0_inv
	v_cmpx_gt_u32_e32 50, v0
	s_cbranch_execz .LBB88_33
; %bb.32:
	ds_load_2addr_b64 v[7:10], v12 offset1:50
	s_waitcnt lgkmcnt(0)
	v_add_f64 v[7:8], v[9:10], v[7:8]
	ds_store_b64 v12, v[7:8]
.LBB88_33:
	s_or_b32 exec_lo, exec_lo, s1
	s_delay_alu instid0(SALU_CYCLE_1)
	s_mov_b32 s1, exec_lo
	s_waitcnt lgkmcnt(0)
	buffer_gl0_inv
                                        ; implicit-def: $vgpr7
	v_cmpx_gt_u32_e32 25, v0
; %bb.34:
	v_add_nc_u32_e32 v7, 25, v0
	s_or_b32 s0, s0, exec_lo
                                        ; implicit-def: $vgpr5_vgpr6
; %bb.35:
	s_or_b32 exec_lo, exec_lo, s1
	v_mov_b32_e32 v8, v12
.LBB88_36:
	s_and_saveexec_b32 s1, s0
	s_cbranch_execnz .LBB88_39
; %bb.37:
	s_or_b32 exec_lo, exec_lo, s1
	v_cmp_gt_u32_e32 vcc_lo, 25, v0
	s_and_b32 exec_lo, exec_lo, vcc_lo
	s_cbranch_execnz .LBB88_40
.LBB88_38:
	s_nop 0
	s_sendmsg sendmsg(MSG_DEALLOC_VGPRS)
	s_endpgm
.LBB88_39:
	v_lshlrev_b32_e32 v7, 3, v7
	ds_load_b64 v[5:6], v8
	ds_load_b64 v[7:8], v7
	s_waitcnt lgkmcnt(0)
	v_add_f64 v[5:6], v[5:6], v[7:8]
	s_or_b32 exec_lo, exec_lo, s1
	v_cmp_gt_u32_e32 vcc_lo, 25, v0
	s_and_b32 exec_lo, exec_lo, vcc_lo
	s_cbranch_execz .LBB88_38
.LBB88_40:
	s_delay_alu instid0(VALU_DEP_2)
	v_mul_f64 v[3:4], v[3:4], v[5:6]
	s_mov_b32 s0, exec_lo
	v_cmpx_eq_f64_e32 0, v[1:2]
	s_xor_b32 s0, exec_lo, s0
	s_cbranch_execz .LBB88_42
; %bb.41:
	v_mad_u64_u32 v[1:2], null, s8, 25, v[0:1]
	v_mov_b32_e32 v2, 0
	s_delay_alu instid0(VALU_DEP_1) | instskip(NEXT) | instid1(VALU_DEP_1)
	v_lshlrev_b64 v[0:1], 3, v[1:2]
	v_add_co_u32 v0, vcc_lo, s10, v0
	s_delay_alu instid0(VALU_DEP_2)
	v_add_co_ci_u32_e32 v1, vcc_lo, s11, v1, vcc_lo
	global_store_b64 v[0:1], v[3:4], off
                                        ; implicit-def: $vgpr0
                                        ; implicit-def: $vgpr1_vgpr2
                                        ; implicit-def: $vgpr3_vgpr4
.LBB88_42:
	s_and_not1_saveexec_b32 s0, s0
	s_cbranch_execz .LBB88_38
; %bb.43:
	v_mad_u64_u32 v[5:6], null, s8, 25, v[0:1]
	v_mov_b32_e32 v6, 0
	s_delay_alu instid0(VALU_DEP_1) | instskip(NEXT) | instid1(VALU_DEP_1)
	v_lshlrev_b64 v[5:6], 3, v[5:6]
	v_add_co_u32 v5, vcc_lo, s10, v5
	s_delay_alu instid0(VALU_DEP_2)
	v_add_co_ci_u32_e32 v6, vcc_lo, s11, v6, vcc_lo
	global_load_b64 v[7:8], v[5:6], off
	s_waitcnt vmcnt(0)
	v_fma_f64 v[0:1], v[1:2], v[7:8], v[3:4]
	global_store_b64 v[5:6], v[0:1], off
	s_nop 0
	s_sendmsg sendmsg(MSG_DEALLOC_VGPRS)
	s_endpgm
	.section	.rodata,"a",@progbits
	.p2align	6, 0x0
	.amdhsa_kernel _ZN9rocsparseL20bsrxmvn_17_32_kernelILj25EdlidddEEvT2_20rocsparse_direction_NS_24const_host_device_scalarIT0_EES1_PKS1_PKT1_SA_S7_PKT3_PKT4_S5_PT5_21rocsparse_index_base_b
		.amdhsa_group_segment_fixed_size 5000
		.amdhsa_private_segment_fixed_size 0
		.amdhsa_kernarg_size 96
		.amdhsa_user_sgpr_count 15
		.amdhsa_user_sgpr_dispatch_ptr 0
		.amdhsa_user_sgpr_queue_ptr 0
		.amdhsa_user_sgpr_kernarg_segment_ptr 1
		.amdhsa_user_sgpr_dispatch_id 0
		.amdhsa_user_sgpr_private_segment_size 0
		.amdhsa_wavefront_size32 1
		.amdhsa_uses_dynamic_stack 0
		.amdhsa_enable_private_segment 0
		.amdhsa_system_sgpr_workgroup_id_x 1
		.amdhsa_system_sgpr_workgroup_id_y 0
		.amdhsa_system_sgpr_workgroup_id_z 0
		.amdhsa_system_sgpr_workgroup_info 0
		.amdhsa_system_vgpr_workitem_id 0
		.amdhsa_next_free_vgpr 19
		.amdhsa_next_free_sgpr 20
		.amdhsa_reserve_vcc 1
		.amdhsa_float_round_mode_32 0
		.amdhsa_float_round_mode_16_64 0
		.amdhsa_float_denorm_mode_32 3
		.amdhsa_float_denorm_mode_16_64 3
		.amdhsa_dx10_clamp 1
		.amdhsa_ieee_mode 1
		.amdhsa_fp16_overflow 0
		.amdhsa_workgroup_processor_mode 1
		.amdhsa_memory_ordered 1
		.amdhsa_forward_progress 0
		.amdhsa_shared_vgpr_count 0
		.amdhsa_exception_fp_ieee_invalid_op 0
		.amdhsa_exception_fp_denorm_src 0
		.amdhsa_exception_fp_ieee_div_zero 0
		.amdhsa_exception_fp_ieee_overflow 0
		.amdhsa_exception_fp_ieee_underflow 0
		.amdhsa_exception_fp_ieee_inexact 0
		.amdhsa_exception_int_div_zero 0
	.end_amdhsa_kernel
	.section	.text._ZN9rocsparseL20bsrxmvn_17_32_kernelILj25EdlidddEEvT2_20rocsparse_direction_NS_24const_host_device_scalarIT0_EES1_PKS1_PKT1_SA_S7_PKT3_PKT4_S5_PT5_21rocsparse_index_base_b,"axG",@progbits,_ZN9rocsparseL20bsrxmvn_17_32_kernelILj25EdlidddEEvT2_20rocsparse_direction_NS_24const_host_device_scalarIT0_EES1_PKS1_PKT1_SA_S7_PKT3_PKT4_S5_PT5_21rocsparse_index_base_b,comdat
.Lfunc_end88:
	.size	_ZN9rocsparseL20bsrxmvn_17_32_kernelILj25EdlidddEEvT2_20rocsparse_direction_NS_24const_host_device_scalarIT0_EES1_PKS1_PKT1_SA_S7_PKT3_PKT4_S5_PT5_21rocsparse_index_base_b, .Lfunc_end88-_ZN9rocsparseL20bsrxmvn_17_32_kernelILj25EdlidddEEvT2_20rocsparse_direction_NS_24const_host_device_scalarIT0_EES1_PKS1_PKT1_SA_S7_PKT3_PKT4_S5_PT5_21rocsparse_index_base_b
                                        ; -- End function
	.section	.AMDGPU.csdata,"",@progbits
; Kernel info:
; codeLenInByte = 1712
; NumSgprs: 22
; NumVgprs: 19
; ScratchSize: 0
; MemoryBound: 0
; FloatMode: 240
; IeeeMode: 1
; LDSByteSize: 5000 bytes/workgroup (compile time only)
; SGPRBlocks: 2
; VGPRBlocks: 2
; NumSGPRsForWavesPerEU: 22
; NumVGPRsForWavesPerEU: 19
; Occupancy: 15
; WaveLimiterHint : 1
; COMPUTE_PGM_RSRC2:SCRATCH_EN: 0
; COMPUTE_PGM_RSRC2:USER_SGPR: 15
; COMPUTE_PGM_RSRC2:TRAP_HANDLER: 0
; COMPUTE_PGM_RSRC2:TGID_X_EN: 1
; COMPUTE_PGM_RSRC2:TGID_Y_EN: 0
; COMPUTE_PGM_RSRC2:TGID_Z_EN: 0
; COMPUTE_PGM_RSRC2:TIDIG_COMP_CNT: 0
	.section	.text._ZN9rocsparseL20bsrxmvn_17_32_kernelILj26EdlidddEEvT2_20rocsparse_direction_NS_24const_host_device_scalarIT0_EES1_PKS1_PKT1_SA_S7_PKT3_PKT4_S5_PT5_21rocsparse_index_base_b,"axG",@progbits,_ZN9rocsparseL20bsrxmvn_17_32_kernelILj26EdlidddEEvT2_20rocsparse_direction_NS_24const_host_device_scalarIT0_EES1_PKS1_PKT1_SA_S7_PKT3_PKT4_S5_PT5_21rocsparse_index_base_b,comdat
	.globl	_ZN9rocsparseL20bsrxmvn_17_32_kernelILj26EdlidddEEvT2_20rocsparse_direction_NS_24const_host_device_scalarIT0_EES1_PKS1_PKT1_SA_S7_PKT3_PKT4_S5_PT5_21rocsparse_index_base_b ; -- Begin function _ZN9rocsparseL20bsrxmvn_17_32_kernelILj26EdlidddEEvT2_20rocsparse_direction_NS_24const_host_device_scalarIT0_EES1_PKS1_PKT1_SA_S7_PKT3_PKT4_S5_PT5_21rocsparse_index_base_b
	.p2align	8
	.type	_ZN9rocsparseL20bsrxmvn_17_32_kernelILj26EdlidddEEvT2_20rocsparse_direction_NS_24const_host_device_scalarIT0_EES1_PKS1_PKT1_SA_S7_PKT3_PKT4_S5_PT5_21rocsparse_index_base_b,@function
_ZN9rocsparseL20bsrxmvn_17_32_kernelILj26EdlidddEEvT2_20rocsparse_direction_NS_24const_host_device_scalarIT0_EES1_PKS1_PKT1_SA_S7_PKT3_PKT4_S5_PT5_21rocsparse_index_base_b: ; @_ZN9rocsparseL20bsrxmvn_17_32_kernelILj26EdlidddEEvT2_20rocsparse_direction_NS_24const_host_device_scalarIT0_EES1_PKS1_PKT1_SA_S7_PKT3_PKT4_S5_PT5_21rocsparse_index_base_b
; %bb.0:
	s_clause 0x2
	s_load_b64 s[12:13], s[0:1], 0x58
	s_load_b64 s[4:5], s[0:1], 0x8
	;; [unrolled: 1-line block ×3, first 2 shown]
	s_mov_b32 s8, s15
	s_waitcnt lgkmcnt(0)
	s_bitcmp1_b32 s13, 0
	v_dual_mov_b32 v3, s4 :: v_dual_mov_b32 v4, s5
	s_cselect_b32 s6, -1, 0
	s_delay_alu instid0(SALU_CYCLE_1)
	s_and_b32 vcc_lo, exec_lo, s6
	s_xor_b32 s6, s6, -1
	s_cbranch_vccnz .LBB89_2
; %bb.1:
	v_dual_mov_b32 v1, s4 :: v_dual_mov_b32 v2, s5
	flat_load_b64 v[3:4], v[1:2]
.LBB89_2:
	v_dual_mov_b32 v1, s2 :: v_dual_mov_b32 v2, s3
	s_and_not1_b32 vcc_lo, exec_lo, s6
	s_cbranch_vccnz .LBB89_4
; %bb.3:
	v_dual_mov_b32 v1, s2 :: v_dual_mov_b32 v2, s3
	flat_load_b64 v[1:2], v[1:2]
.LBB89_4:
	s_waitcnt vmcnt(0) lgkmcnt(0)
	v_cmp_neq_f64_e32 vcc_lo, 0, v[3:4]
	v_cmp_neq_f64_e64 s2, 1.0, v[1:2]
	s_delay_alu instid0(VALU_DEP_1) | instskip(NEXT) | instid1(SALU_CYCLE_1)
	s_or_b32 s2, vcc_lo, s2
	s_and_saveexec_b32 s3, s2
	s_cbranch_execz .LBB89_38
; %bb.5:
	s_clause 0x1
	s_load_b128 s[4:7], s[0:1], 0x18
	s_load_b64 s[10:11], s[0:1], 0x28
	s_waitcnt lgkmcnt(0)
	s_cmp_eq_u64 s[4:5], 0
	s_cbranch_scc1 .LBB89_7
; %bb.6:
	s_ashr_i32 s9, s8, 31
	s_delay_alu instid0(SALU_CYCLE_1) | instskip(NEXT) | instid1(SALU_CYCLE_1)
	s_lshl_b64 s[2:3], s[8:9], 2
	s_add_u32 s2, s4, s2
	s_addc_u32 s3, s5, s3
	s_load_b32 s2, s[2:3], 0x0
	s_waitcnt lgkmcnt(0)
	s_sub_i32 s8, s2, s12
.LBB89_7:
	s_load_b32 s3, s[0:1], 0x4
	v_mul_u32_u24_e32 v5, 0x9d9, v0
	v_lshlrev_b32_e32 v12, 3, v0
	s_delay_alu instid0(VALU_DEP_2) | instskip(SKIP_2) | instid1(VALU_DEP_3)
	v_lshrrev_b32_e32 v7, 16, v5
	v_mov_b32_e32 v5, 0
	v_mov_b32_e32 v6, 0
	v_mul_lo_u16 v8, v7, 26
	s_delay_alu instid0(VALU_DEP_1)
	v_sub_nc_u16 v13, v0, v8
	s_waitcnt lgkmcnt(0)
	s_cmp_eq_u32 s3, 1
	s_cselect_b32 s2, -1, 0
	s_cmp_lg_u32 s3, 1
	s_cselect_b32 s3, -1, 0
	s_ashr_i32 s9, s8, 31
	s_delay_alu instid0(SALU_CYCLE_1) | instskip(NEXT) | instid1(SALU_CYCLE_1)
	s_lshl_b64 s[4:5], s[8:9], 3
	s_add_u32 s6, s6, s4
	s_addc_u32 s7, s7, s5
	s_add_u32 s9, s6, 8
	s_addc_u32 s13, s7, 0
	;; [unrolled: 2-line block ×3, first 2 shown]
	s_cmp_eq_u64 s[10:11], 0
	s_load_b64 s[10:11], s[0:1], 0x50
	s_cselect_b32 s5, s13, s5
	s_cselect_b32 s4, s9, s4
	s_load_b64 s[18:19], s[6:7], 0x0
	s_load_b64 s[14:15], s[4:5], 0x0
	s_waitcnt lgkmcnt(0)
	v_cmp_ge_i64_e64 s4, s[18:19], s[14:15]
	s_delay_alu instid0(VALU_DEP_1)
	s_and_b32 vcc_lo, exec_lo, s4
	s_cbranch_vccnz .LBB89_12
; %bb.8:
	v_and_b32_e32 v5, 0xffff, v7
	v_cmp_lt_u32_e32 vcc_lo, 0x2a3, v0
	v_and_b32_e32 v6, 0xffff, v13
	s_clause 0x1
	s_load_b128 s[4:7], s[0:1], 0x30
	s_load_b64 s[0:1], s[0:1], 0x40
	s_sub_u32 s14, s14, s12
	v_subrev_nc_u32_e32 v7, 26, v5
	v_cndmask_b32_e64 v14, 0, 1, vcc_lo
	v_cmp_gt_u32_e32 vcc_lo, 0x2a4, v0
	s_subb_u32 s15, s15, 0
	s_sub_u32 s16, s18, s12
	v_lshlrev_b32_e32 v8, 3, v0
	s_subb_u32 s17, s19, 0
	v_cndmask_b32_e32 v5, v7, v5, vcc_lo
	s_mul_hi_u32 s9, s16, 0x1520
	s_mul_i32 s13, s17, 0x1520
	s_delay_alu instid0(SALU_CYCLE_1) | instskip(NEXT) | instid1(VALU_DEP_1)
	s_add_i32 s9, s9, s13
	v_cndmask_b32_e64 v7, v6, v5, s2
	v_add_co_u32 v5, s2, s18, v14
	s_delay_alu instid0(VALU_DEP_1) | instskip(SKIP_1) | instid1(VALU_DEP_2)
	v_add_co_ci_u32_e64 v6, null, s19, 0, s2
	s_mul_i32 s2, s16, 0x1520
	v_sub_co_u32 v5, vcc_lo, v5, s12
	s_delay_alu instid0(VALU_DEP_2)
	v_subrev_co_ci_u32_e32 v6, vcc_lo, 0, v6, vcc_lo
	s_waitcnt lgkmcnt(0)
	s_add_u32 s2, s6, s2
	s_addc_u32 s6, s7, s9
	v_add_co_u32 v8, s2, s2, v8
	v_lshlrev_b64 v[10:11], 2, v[5:6]
	v_mov_b32_e32 v5, 0
	v_add_co_ci_u32_e64 v9, null, s6, 0, s2
	v_mov_b32_e32 v6, 0
	s_delay_alu instid0(VALU_DEP_4)
	v_add_co_u32 v10, vcc_lo, s4, v10
	v_add_co_ci_u32_e32 v11, vcc_lo, s5, v11, vcc_lo
	s_set_inst_prefetch_distance 0x1
	s_branch .LBB89_10
	.p2align	6
.LBB89_9:                               ;   in Loop: Header=BB89_10 Depth=1
	s_or_b32 exec_lo, exec_lo, s2
	s_add_u32 s16, s16, 1
	s_addc_u32 s17, s17, 0
	v_add_co_u32 v10, vcc_lo, v10, 4
	v_cmp_lt_i64_e64 s2, s[16:17], s[14:15]
	v_add_co_ci_u32_e32 v11, vcc_lo, 0, v11, vcc_lo
	s_delay_alu instid0(VALU_DEP_2)
	s_and_b32 vcc_lo, exec_lo, s2
	s_cbranch_vccz .LBB89_12
.LBB89_10:                              ; =>This Inner Loop Header: Depth=1
	v_add_co_u32 v15, s2, v14, s16
	s_delay_alu instid0(VALU_DEP_1) | instskip(SKIP_1) | instid1(VALU_DEP_1)
	v_add_co_ci_u32_e64 v16, null, 0, s17, s2
	s_mov_b32 s2, exec_lo
	v_cmpx_gt_i64_e64 s[14:15], v[15:16]
	s_cbranch_execz .LBB89_9
; %bb.11:                               ;   in Loop: Header=BB89_10 Depth=1
	global_load_b32 v15, v[10:11], off
	s_waitcnt vmcnt(0)
	v_subrev_nc_u32_e32 v17, s12, v15
	s_delay_alu instid0(VALU_DEP_1) | instskip(NEXT) | instid1(VALU_DEP_1)
	v_mad_u64_u32 v[15:16], null, v17, 26, v[7:8]
	v_ashrrev_i32_e32 v16, 31, v15
	s_delay_alu instid0(VALU_DEP_1) | instskip(NEXT) | instid1(VALU_DEP_1)
	v_lshlrev_b64 v[15:16], 3, v[15:16]
	v_add_co_u32 v15, vcc_lo, s0, v15
	s_delay_alu instid0(VALU_DEP_2)
	v_add_co_ci_u32_e32 v16, vcc_lo, s1, v16, vcc_lo
	global_load_b64 v[17:18], v[8:9], off
	global_load_b64 v[15:16], v[15:16], off
	v_add_co_u32 v8, vcc_lo, 0x1520, v8
	v_add_co_ci_u32_e32 v9, vcc_lo, 0, v9, vcc_lo
	s_waitcnt vmcnt(0)
	v_fma_f64 v[5:6], v[17:18], v[15:16], v[5:6]
	s_branch .LBB89_9
.LBB89_12:
	s_set_inst_prefetch_distance 0x2
	s_and_b32 vcc_lo, exec_lo, s3
	ds_store_b64 v12, v[5:6]
	s_waitcnt lgkmcnt(0)
	s_barrier
	buffer_gl0_inv
	s_cbranch_vccz .LBB89_24
; %bb.13:
	s_mov_b32 s0, exec_lo
	v_cmpx_gt_u16_e32 10, v13
	s_cbranch_execz .LBB89_15
; %bb.14:
	ds_load_2addr_b64 v[7:10], v12 offset1:16
	s_waitcnt lgkmcnt(0)
	v_add_f64 v[7:8], v[9:10], v[7:8]
	ds_store_b64 v12, v[7:8]
.LBB89_15:
	s_or_b32 exec_lo, exec_lo, s0
	s_delay_alu instid0(SALU_CYCLE_1)
	s_mov_b32 s0, exec_lo
	s_waitcnt lgkmcnt(0)
	s_barrier
	buffer_gl0_inv
	v_cmpx_gt_u16_e32 8, v13
	s_cbranch_execz .LBB89_17
; %bb.16:
	ds_load_2addr_b64 v[7:10], v12 offset1:8
	s_waitcnt lgkmcnt(0)
	v_add_f64 v[7:8], v[9:10], v[7:8]
	ds_store_b64 v12, v[7:8]
.LBB89_17:
	s_or_b32 exec_lo, exec_lo, s0
	s_delay_alu instid0(SALU_CYCLE_1)
	s_mov_b32 s0, exec_lo
	s_waitcnt lgkmcnt(0)
	s_barrier
	buffer_gl0_inv
	v_cmpx_gt_u16_e32 4, v13
	s_cbranch_execz .LBB89_19
; %bb.18:
	ds_load_2addr_b64 v[7:10], v12 offset1:4
	s_waitcnt lgkmcnt(0)
	v_add_f64 v[7:8], v[9:10], v[7:8]
	ds_store_b64 v12, v[7:8]
.LBB89_19:
	s_or_b32 exec_lo, exec_lo, s0
	s_delay_alu instid0(SALU_CYCLE_1)
	s_mov_b32 s0, exec_lo
	s_waitcnt lgkmcnt(0)
	s_barrier
	buffer_gl0_inv
	v_cmpx_gt_u16_e32 2, v13
	s_cbranch_execz .LBB89_21
; %bb.20:
	ds_load_2addr_b64 v[7:10], v12 offset1:2
	s_waitcnt lgkmcnt(0)
	v_add_f64 v[7:8], v[9:10], v[7:8]
	ds_store_b64 v12, v[7:8]
.LBB89_21:
	s_or_b32 exec_lo, exec_lo, s0
	s_mov_b32 s1, 0
	s_mov_b32 s0, 0
	s_mov_b32 s2, exec_lo
	s_waitcnt lgkmcnt(0)
	s_barrier
	buffer_gl0_inv
                                        ; implicit-def: $vgpr7
                                        ; implicit-def: $vgpr8
	v_cmpx_gt_u32_e32 26, v0
	s_xor_b32 s2, exec_lo, s2
; %bb.22:
	v_mul_u32_u24_e32 v7, 26, v0
	v_mad_u32_u24 v8, 0xc8, v0, v12
	s_mov_b32 s0, exec_lo
	s_delay_alu instid0(VALU_DEP_2)
	v_or_b32_e32 v7, 1, v7
; %bb.23:
	s_or_b32 exec_lo, exec_lo, s2
	s_delay_alu instid0(SALU_CYCLE_1)
	s_and_b32 vcc_lo, exec_lo, s1
	s_cbranch_vccnz .LBB89_25
	s_branch .LBB89_36
.LBB89_24:
	s_mov_b32 s0, 0
                                        ; implicit-def: $vgpr7
                                        ; implicit-def: $vgpr8
	s_cbranch_execz .LBB89_36
.LBB89_25:
	s_mov_b32 s1, exec_lo
	v_cmpx_gt_u32_e32 0x104, v0
	s_cbranch_execz .LBB89_27
; %bb.26:
	ds_load_b64 v[7:8], v12 offset:3328
	ds_load_b64 v[9:10], v12
	s_waitcnt lgkmcnt(0)
	v_add_f64 v[7:8], v[7:8], v[9:10]
	ds_store_b64 v12, v[7:8]
.LBB89_27:
	s_or_b32 exec_lo, exec_lo, s1
	s_delay_alu instid0(SALU_CYCLE_1)
	s_mov_b32 s1, exec_lo
	s_waitcnt lgkmcnt(0)
	s_barrier
	buffer_gl0_inv
	v_cmpx_gt_u32_e32 0xd0, v0
	s_cbranch_execz .LBB89_29
; %bb.28:
	ds_load_2addr_b64 v[7:10], v12 offset1:208
	s_waitcnt lgkmcnt(0)
	v_add_f64 v[7:8], v[9:10], v[7:8]
	ds_store_b64 v12, v[7:8]
.LBB89_29:
	s_or_b32 exec_lo, exec_lo, s1
	s_delay_alu instid0(SALU_CYCLE_1)
	s_mov_b32 s1, exec_lo
	s_waitcnt lgkmcnt(0)
	s_barrier
	buffer_gl0_inv
	v_cmpx_gt_u32_e32 0x68, v0
	s_cbranch_execz .LBB89_31
; %bb.30:
	ds_load_2addr_b64 v[7:10], v12 offset1:104
	s_waitcnt lgkmcnt(0)
	v_add_f64 v[7:8], v[9:10], v[7:8]
	ds_store_b64 v12, v[7:8]
.LBB89_31:
	;; [unrolled: 14-line block ×3, first 2 shown]
	s_or_b32 exec_lo, exec_lo, s1
	s_delay_alu instid0(SALU_CYCLE_1)
	s_mov_b32 s1, exec_lo
	s_waitcnt lgkmcnt(0)
	buffer_gl0_inv
                                        ; implicit-def: $vgpr7
	v_cmpx_gt_u32_e32 26, v0
; %bb.34:
	v_add_nc_u32_e32 v7, 26, v0
	s_or_b32 s0, s0, exec_lo
                                        ; implicit-def: $vgpr5_vgpr6
; %bb.35:
	s_or_b32 exec_lo, exec_lo, s1
	v_mov_b32_e32 v8, v12
.LBB89_36:
	s_and_saveexec_b32 s1, s0
	s_cbranch_execnz .LBB89_39
; %bb.37:
	s_or_b32 exec_lo, exec_lo, s1
	v_cmp_gt_u32_e32 vcc_lo, 26, v0
	s_and_b32 exec_lo, exec_lo, vcc_lo
	s_cbranch_execnz .LBB89_40
.LBB89_38:
	s_nop 0
	s_sendmsg sendmsg(MSG_DEALLOC_VGPRS)
	s_endpgm
.LBB89_39:
	v_lshlrev_b32_e32 v7, 3, v7
	ds_load_b64 v[5:6], v8
	ds_load_b64 v[7:8], v7
	s_waitcnt lgkmcnt(0)
	v_add_f64 v[5:6], v[5:6], v[7:8]
	s_or_b32 exec_lo, exec_lo, s1
	v_cmp_gt_u32_e32 vcc_lo, 26, v0
	s_and_b32 exec_lo, exec_lo, vcc_lo
	s_cbranch_execz .LBB89_38
.LBB89_40:
	s_delay_alu instid0(VALU_DEP_2)
	v_mul_f64 v[3:4], v[3:4], v[5:6]
	s_mov_b32 s0, exec_lo
	v_cmpx_eq_f64_e32 0, v[1:2]
	s_xor_b32 s0, exec_lo, s0
	s_cbranch_execz .LBB89_42
; %bb.41:
	v_mad_u64_u32 v[1:2], null, s8, 26, v[0:1]
	v_mov_b32_e32 v2, 0
	s_delay_alu instid0(VALU_DEP_1) | instskip(NEXT) | instid1(VALU_DEP_1)
	v_lshlrev_b64 v[0:1], 3, v[1:2]
	v_add_co_u32 v0, vcc_lo, s10, v0
	s_delay_alu instid0(VALU_DEP_2)
	v_add_co_ci_u32_e32 v1, vcc_lo, s11, v1, vcc_lo
	global_store_b64 v[0:1], v[3:4], off
                                        ; implicit-def: $vgpr0
                                        ; implicit-def: $vgpr1_vgpr2
                                        ; implicit-def: $vgpr3_vgpr4
.LBB89_42:
	s_and_not1_saveexec_b32 s0, s0
	s_cbranch_execz .LBB89_38
; %bb.43:
	v_mad_u64_u32 v[5:6], null, s8, 26, v[0:1]
	v_mov_b32_e32 v6, 0
	s_delay_alu instid0(VALU_DEP_1) | instskip(NEXT) | instid1(VALU_DEP_1)
	v_lshlrev_b64 v[5:6], 3, v[5:6]
	v_add_co_u32 v5, vcc_lo, s10, v5
	s_delay_alu instid0(VALU_DEP_2)
	v_add_co_ci_u32_e32 v6, vcc_lo, s11, v6, vcc_lo
	global_load_b64 v[7:8], v[5:6], off
	s_waitcnt vmcnt(0)
	v_fma_f64 v[0:1], v[1:2], v[7:8], v[3:4]
	global_store_b64 v[5:6], v[0:1], off
	s_nop 0
	s_sendmsg sendmsg(MSG_DEALLOC_VGPRS)
	s_endpgm
	.section	.rodata,"a",@progbits
	.p2align	6, 0x0
	.amdhsa_kernel _ZN9rocsparseL20bsrxmvn_17_32_kernelILj26EdlidddEEvT2_20rocsparse_direction_NS_24const_host_device_scalarIT0_EES1_PKS1_PKT1_SA_S7_PKT3_PKT4_S5_PT5_21rocsparse_index_base_b
		.amdhsa_group_segment_fixed_size 5408
		.amdhsa_private_segment_fixed_size 0
		.amdhsa_kernarg_size 96
		.amdhsa_user_sgpr_count 15
		.amdhsa_user_sgpr_dispatch_ptr 0
		.amdhsa_user_sgpr_queue_ptr 0
		.amdhsa_user_sgpr_kernarg_segment_ptr 1
		.amdhsa_user_sgpr_dispatch_id 0
		.amdhsa_user_sgpr_private_segment_size 0
		.amdhsa_wavefront_size32 1
		.amdhsa_uses_dynamic_stack 0
		.amdhsa_enable_private_segment 0
		.amdhsa_system_sgpr_workgroup_id_x 1
		.amdhsa_system_sgpr_workgroup_id_y 0
		.amdhsa_system_sgpr_workgroup_id_z 0
		.amdhsa_system_sgpr_workgroup_info 0
		.amdhsa_system_vgpr_workitem_id 0
		.amdhsa_next_free_vgpr 19
		.amdhsa_next_free_sgpr 20
		.amdhsa_reserve_vcc 1
		.amdhsa_float_round_mode_32 0
		.amdhsa_float_round_mode_16_64 0
		.amdhsa_float_denorm_mode_32 3
		.amdhsa_float_denorm_mode_16_64 3
		.amdhsa_dx10_clamp 1
		.amdhsa_ieee_mode 1
		.amdhsa_fp16_overflow 0
		.amdhsa_workgroup_processor_mode 1
		.amdhsa_memory_ordered 1
		.amdhsa_forward_progress 0
		.amdhsa_shared_vgpr_count 0
		.amdhsa_exception_fp_ieee_invalid_op 0
		.amdhsa_exception_fp_denorm_src 0
		.amdhsa_exception_fp_ieee_div_zero 0
		.amdhsa_exception_fp_ieee_overflow 0
		.amdhsa_exception_fp_ieee_underflow 0
		.amdhsa_exception_fp_ieee_inexact 0
		.amdhsa_exception_int_div_zero 0
	.end_amdhsa_kernel
	.section	.text._ZN9rocsparseL20bsrxmvn_17_32_kernelILj26EdlidddEEvT2_20rocsparse_direction_NS_24const_host_device_scalarIT0_EES1_PKS1_PKT1_SA_S7_PKT3_PKT4_S5_PT5_21rocsparse_index_base_b,"axG",@progbits,_ZN9rocsparseL20bsrxmvn_17_32_kernelILj26EdlidddEEvT2_20rocsparse_direction_NS_24const_host_device_scalarIT0_EES1_PKS1_PKT1_SA_S7_PKT3_PKT4_S5_PT5_21rocsparse_index_base_b,comdat
.Lfunc_end89:
	.size	_ZN9rocsparseL20bsrxmvn_17_32_kernelILj26EdlidddEEvT2_20rocsparse_direction_NS_24const_host_device_scalarIT0_EES1_PKS1_PKT1_SA_S7_PKT3_PKT4_S5_PT5_21rocsparse_index_base_b, .Lfunc_end89-_ZN9rocsparseL20bsrxmvn_17_32_kernelILj26EdlidddEEvT2_20rocsparse_direction_NS_24const_host_device_scalarIT0_EES1_PKS1_PKT1_SA_S7_PKT3_PKT4_S5_PT5_21rocsparse_index_base_b
                                        ; -- End function
	.section	.AMDGPU.csdata,"",@progbits
; Kernel info:
; codeLenInByte = 1716
; NumSgprs: 22
; NumVgprs: 19
; ScratchSize: 0
; MemoryBound: 0
; FloatMode: 240
; IeeeMode: 1
; LDSByteSize: 5408 bytes/workgroup (compile time only)
; SGPRBlocks: 2
; VGPRBlocks: 2
; NumSGPRsForWavesPerEU: 22
; NumVGPRsForWavesPerEU: 19
; Occupancy: 11
; WaveLimiterHint : 1
; COMPUTE_PGM_RSRC2:SCRATCH_EN: 0
; COMPUTE_PGM_RSRC2:USER_SGPR: 15
; COMPUTE_PGM_RSRC2:TRAP_HANDLER: 0
; COMPUTE_PGM_RSRC2:TGID_X_EN: 1
; COMPUTE_PGM_RSRC2:TGID_Y_EN: 0
; COMPUTE_PGM_RSRC2:TGID_Z_EN: 0
; COMPUTE_PGM_RSRC2:TIDIG_COMP_CNT: 0
	.section	.text._ZN9rocsparseL20bsrxmvn_17_32_kernelILj27EdlidddEEvT2_20rocsparse_direction_NS_24const_host_device_scalarIT0_EES1_PKS1_PKT1_SA_S7_PKT3_PKT4_S5_PT5_21rocsparse_index_base_b,"axG",@progbits,_ZN9rocsparseL20bsrxmvn_17_32_kernelILj27EdlidddEEvT2_20rocsparse_direction_NS_24const_host_device_scalarIT0_EES1_PKS1_PKT1_SA_S7_PKT3_PKT4_S5_PT5_21rocsparse_index_base_b,comdat
	.globl	_ZN9rocsparseL20bsrxmvn_17_32_kernelILj27EdlidddEEvT2_20rocsparse_direction_NS_24const_host_device_scalarIT0_EES1_PKS1_PKT1_SA_S7_PKT3_PKT4_S5_PT5_21rocsparse_index_base_b ; -- Begin function _ZN9rocsparseL20bsrxmvn_17_32_kernelILj27EdlidddEEvT2_20rocsparse_direction_NS_24const_host_device_scalarIT0_EES1_PKS1_PKT1_SA_S7_PKT3_PKT4_S5_PT5_21rocsparse_index_base_b
	.p2align	8
	.type	_ZN9rocsparseL20bsrxmvn_17_32_kernelILj27EdlidddEEvT2_20rocsparse_direction_NS_24const_host_device_scalarIT0_EES1_PKS1_PKT1_SA_S7_PKT3_PKT4_S5_PT5_21rocsparse_index_base_b,@function
_ZN9rocsparseL20bsrxmvn_17_32_kernelILj27EdlidddEEvT2_20rocsparse_direction_NS_24const_host_device_scalarIT0_EES1_PKS1_PKT1_SA_S7_PKT3_PKT4_S5_PT5_21rocsparse_index_base_b: ; @_ZN9rocsparseL20bsrxmvn_17_32_kernelILj27EdlidddEEvT2_20rocsparse_direction_NS_24const_host_device_scalarIT0_EES1_PKS1_PKT1_SA_S7_PKT3_PKT4_S5_PT5_21rocsparse_index_base_b
; %bb.0:
	s_clause 0x2
	s_load_b64 s[12:13], s[0:1], 0x58
	s_load_b64 s[4:5], s[0:1], 0x8
	;; [unrolled: 1-line block ×3, first 2 shown]
	s_mov_b32 s8, s15
	s_waitcnt lgkmcnt(0)
	s_bitcmp1_b32 s13, 0
	v_dual_mov_b32 v3, s4 :: v_dual_mov_b32 v4, s5
	s_cselect_b32 s6, -1, 0
	s_delay_alu instid0(SALU_CYCLE_1)
	s_and_b32 vcc_lo, exec_lo, s6
	s_xor_b32 s6, s6, -1
	s_cbranch_vccnz .LBB90_2
; %bb.1:
	v_dual_mov_b32 v1, s4 :: v_dual_mov_b32 v2, s5
	flat_load_b64 v[3:4], v[1:2]
.LBB90_2:
	v_dual_mov_b32 v1, s2 :: v_dual_mov_b32 v2, s3
	s_and_not1_b32 vcc_lo, exec_lo, s6
	s_cbranch_vccnz .LBB90_4
; %bb.3:
	v_dual_mov_b32 v1, s2 :: v_dual_mov_b32 v2, s3
	flat_load_b64 v[1:2], v[1:2]
.LBB90_4:
	s_waitcnt vmcnt(0) lgkmcnt(0)
	v_cmp_neq_f64_e32 vcc_lo, 0, v[3:4]
	v_cmp_neq_f64_e64 s2, 1.0, v[1:2]
	s_delay_alu instid0(VALU_DEP_1) | instskip(NEXT) | instid1(SALU_CYCLE_1)
	s_or_b32 s2, vcc_lo, s2
	s_and_saveexec_b32 s3, s2
	s_cbranch_execz .LBB90_38
; %bb.5:
	s_clause 0x1
	s_load_b128 s[4:7], s[0:1], 0x18
	s_load_b64 s[10:11], s[0:1], 0x28
	s_waitcnt lgkmcnt(0)
	s_cmp_eq_u64 s[4:5], 0
	s_cbranch_scc1 .LBB90_7
; %bb.6:
	s_ashr_i32 s9, s8, 31
	s_delay_alu instid0(SALU_CYCLE_1) | instskip(NEXT) | instid1(SALU_CYCLE_1)
	s_lshl_b64 s[2:3], s[8:9], 2
	s_add_u32 s2, s4, s2
	s_addc_u32 s3, s5, s3
	s_load_b32 s2, s[2:3], 0x0
	s_waitcnt lgkmcnt(0)
	s_sub_i32 s8, s2, s12
.LBB90_7:
	s_load_b32 s3, s[0:1], 0x4
	v_mul_u32_u24_e32 v5, 0x97c, v0
	v_lshlrev_b32_e32 v12, 3, v0
	s_delay_alu instid0(VALU_DEP_2) | instskip(SKIP_2) | instid1(VALU_DEP_3)
	v_lshrrev_b32_e32 v7, 16, v5
	v_mov_b32_e32 v5, 0
	v_mov_b32_e32 v6, 0
	v_mul_lo_u16 v8, v7, 27
	s_delay_alu instid0(VALU_DEP_1)
	v_sub_nc_u16 v13, v0, v8
	s_waitcnt lgkmcnt(0)
	s_cmp_eq_u32 s3, 1
	s_cselect_b32 s2, -1, 0
	s_cmp_lg_u32 s3, 1
	s_cselect_b32 s3, -1, 0
	s_ashr_i32 s9, s8, 31
	s_delay_alu instid0(SALU_CYCLE_1) | instskip(NEXT) | instid1(SALU_CYCLE_1)
	s_lshl_b64 s[4:5], s[8:9], 3
	s_add_u32 s6, s6, s4
	s_addc_u32 s7, s7, s5
	s_add_u32 s9, s6, 8
	s_addc_u32 s13, s7, 0
	;; [unrolled: 2-line block ×3, first 2 shown]
	s_cmp_eq_u64 s[10:11], 0
	s_load_b64 s[10:11], s[0:1], 0x50
	s_cselect_b32 s5, s13, s5
	s_cselect_b32 s4, s9, s4
	s_load_b64 s[18:19], s[6:7], 0x0
	s_load_b64 s[14:15], s[4:5], 0x0
	s_waitcnt lgkmcnt(0)
	v_cmp_ge_i64_e64 s4, s[18:19], s[14:15]
	s_delay_alu instid0(VALU_DEP_1)
	s_and_b32 vcc_lo, exec_lo, s4
	s_cbranch_vccnz .LBB90_12
; %bb.8:
	v_and_b32_e32 v5, 0xffff, v7
	v_cmp_lt_u32_e32 vcc_lo, 0x2d8, v0
	v_and_b32_e32 v6, 0xffff, v13
	s_clause 0x1
	s_load_b128 s[4:7], s[0:1], 0x30
	s_load_b64 s[0:1], s[0:1], 0x40
	s_sub_u32 s14, s14, s12
	v_subrev_nc_u32_e32 v7, 27, v5
	v_cndmask_b32_e64 v14, 0, 1, vcc_lo
	v_cmp_gt_u32_e32 vcc_lo, 0x2d9, v0
	s_subb_u32 s15, s15, 0
	s_sub_u32 s16, s18, s12
	v_lshlrev_b32_e32 v8, 3, v0
	s_subb_u32 s17, s19, 0
	v_cndmask_b32_e32 v5, v7, v5, vcc_lo
	s_mul_hi_u32 s9, s16, 0x16c8
	s_mul_i32 s13, s17, 0x16c8
	s_delay_alu instid0(SALU_CYCLE_1) | instskip(NEXT) | instid1(VALU_DEP_1)
	s_add_i32 s9, s9, s13
	v_cndmask_b32_e64 v7, v6, v5, s2
	v_add_co_u32 v5, s2, s18, v14
	s_delay_alu instid0(VALU_DEP_1) | instskip(SKIP_1) | instid1(VALU_DEP_2)
	v_add_co_ci_u32_e64 v6, null, s19, 0, s2
	s_mul_i32 s2, s16, 0x16c8
	v_sub_co_u32 v5, vcc_lo, v5, s12
	s_delay_alu instid0(VALU_DEP_2)
	v_subrev_co_ci_u32_e32 v6, vcc_lo, 0, v6, vcc_lo
	s_waitcnt lgkmcnt(0)
	s_add_u32 s2, s6, s2
	s_addc_u32 s6, s7, s9
	v_add_co_u32 v8, s2, s2, v8
	v_lshlrev_b64 v[10:11], 2, v[5:6]
	v_mov_b32_e32 v5, 0
	v_add_co_ci_u32_e64 v9, null, s6, 0, s2
	v_mov_b32_e32 v6, 0
	s_delay_alu instid0(VALU_DEP_4)
	v_add_co_u32 v10, vcc_lo, s4, v10
	v_add_co_ci_u32_e32 v11, vcc_lo, s5, v11, vcc_lo
	s_set_inst_prefetch_distance 0x1
	s_branch .LBB90_10
	.p2align	6
.LBB90_9:                               ;   in Loop: Header=BB90_10 Depth=1
	s_or_b32 exec_lo, exec_lo, s2
	s_add_u32 s16, s16, 1
	s_addc_u32 s17, s17, 0
	v_add_co_u32 v10, vcc_lo, v10, 4
	v_cmp_lt_i64_e64 s2, s[16:17], s[14:15]
	v_add_co_ci_u32_e32 v11, vcc_lo, 0, v11, vcc_lo
	s_delay_alu instid0(VALU_DEP_2)
	s_and_b32 vcc_lo, exec_lo, s2
	s_cbranch_vccz .LBB90_12
.LBB90_10:                              ; =>This Inner Loop Header: Depth=1
	v_add_co_u32 v15, s2, v14, s16
	s_delay_alu instid0(VALU_DEP_1) | instskip(SKIP_1) | instid1(VALU_DEP_1)
	v_add_co_ci_u32_e64 v16, null, 0, s17, s2
	s_mov_b32 s2, exec_lo
	v_cmpx_gt_i64_e64 s[14:15], v[15:16]
	s_cbranch_execz .LBB90_9
; %bb.11:                               ;   in Loop: Header=BB90_10 Depth=1
	global_load_b32 v15, v[10:11], off
	s_waitcnt vmcnt(0)
	v_subrev_nc_u32_e32 v17, s12, v15
	s_delay_alu instid0(VALU_DEP_1) | instskip(NEXT) | instid1(VALU_DEP_1)
	v_mad_u64_u32 v[15:16], null, v17, 27, v[7:8]
	v_ashrrev_i32_e32 v16, 31, v15
	s_delay_alu instid0(VALU_DEP_1) | instskip(NEXT) | instid1(VALU_DEP_1)
	v_lshlrev_b64 v[15:16], 3, v[15:16]
	v_add_co_u32 v15, vcc_lo, s0, v15
	s_delay_alu instid0(VALU_DEP_2)
	v_add_co_ci_u32_e32 v16, vcc_lo, s1, v16, vcc_lo
	global_load_b64 v[17:18], v[8:9], off
	global_load_b64 v[15:16], v[15:16], off
	v_add_co_u32 v8, vcc_lo, 0x16c8, v8
	v_add_co_ci_u32_e32 v9, vcc_lo, 0, v9, vcc_lo
	s_waitcnt vmcnt(0)
	v_fma_f64 v[5:6], v[17:18], v[15:16], v[5:6]
	s_branch .LBB90_9
.LBB90_12:
	s_set_inst_prefetch_distance 0x2
	s_and_b32 vcc_lo, exec_lo, s3
	ds_store_b64 v12, v[5:6]
	s_waitcnt lgkmcnt(0)
	s_barrier
	buffer_gl0_inv
	s_cbranch_vccz .LBB90_24
; %bb.13:
	s_mov_b32 s0, exec_lo
	v_cmpx_gt_u16_e32 11, v13
	s_cbranch_execz .LBB90_15
; %bb.14:
	ds_load_2addr_b64 v[7:10], v12 offset1:16
	s_waitcnt lgkmcnt(0)
	v_add_f64 v[7:8], v[9:10], v[7:8]
	ds_store_b64 v12, v[7:8]
.LBB90_15:
	s_or_b32 exec_lo, exec_lo, s0
	s_delay_alu instid0(SALU_CYCLE_1)
	s_mov_b32 s0, exec_lo
	s_waitcnt lgkmcnt(0)
	s_barrier
	buffer_gl0_inv
	v_cmpx_gt_u16_e32 8, v13
	s_cbranch_execz .LBB90_17
; %bb.16:
	ds_load_2addr_b64 v[7:10], v12 offset1:8
	s_waitcnt lgkmcnt(0)
	v_add_f64 v[7:8], v[9:10], v[7:8]
	ds_store_b64 v12, v[7:8]
.LBB90_17:
	s_or_b32 exec_lo, exec_lo, s0
	s_delay_alu instid0(SALU_CYCLE_1)
	s_mov_b32 s0, exec_lo
	s_waitcnt lgkmcnt(0)
	s_barrier
	buffer_gl0_inv
	;; [unrolled: 14-line block ×3, first 2 shown]
	v_cmpx_gt_u16_e32 2, v13
	s_cbranch_execz .LBB90_21
; %bb.20:
	ds_load_2addr_b64 v[7:10], v12 offset1:2
	s_waitcnt lgkmcnt(0)
	v_add_f64 v[7:8], v[9:10], v[7:8]
	ds_store_b64 v12, v[7:8]
.LBB90_21:
	s_or_b32 exec_lo, exec_lo, s0
	s_mov_b32 s1, 0
	s_mov_b32 s0, 0
	s_mov_b32 s2, exec_lo
	s_waitcnt lgkmcnt(0)
	s_barrier
	buffer_gl0_inv
                                        ; implicit-def: $vgpr7
                                        ; implicit-def: $vgpr8
	v_cmpx_gt_u32_e32 27, v0
	s_xor_b32 s2, exec_lo, s2
; %bb.22:
	v_mad_u32_u24 v7, v0, 27, 1
	v_mad_u32_u24 v8, 0xd0, v0, v12
	s_mov_b32 s0, exec_lo
; %bb.23:
	s_or_b32 exec_lo, exec_lo, s2
	s_delay_alu instid0(SALU_CYCLE_1)
	s_and_b32 vcc_lo, exec_lo, s1
	s_cbranch_vccnz .LBB90_25
	s_branch .LBB90_36
.LBB90_24:
	s_mov_b32 s0, 0
                                        ; implicit-def: $vgpr7
                                        ; implicit-def: $vgpr8
	s_cbranch_execz .LBB90_36
.LBB90_25:
	s_mov_b32 s1, exec_lo
	v_cmpx_gt_u32_e32 0x129, v0
	s_cbranch_execz .LBB90_27
; %bb.26:
	ds_load_b64 v[7:8], v12 offset:3456
	ds_load_b64 v[9:10], v12
	s_waitcnt lgkmcnt(0)
	v_add_f64 v[7:8], v[7:8], v[9:10]
	ds_store_b64 v12, v[7:8]
.LBB90_27:
	s_or_b32 exec_lo, exec_lo, s1
	s_delay_alu instid0(SALU_CYCLE_1)
	s_mov_b32 s1, exec_lo
	s_waitcnt lgkmcnt(0)
	s_barrier
	buffer_gl0_inv
	v_cmpx_gt_u32_e32 0xd8, v0
	s_cbranch_execz .LBB90_29
; %bb.28:
	ds_load_2addr_b64 v[7:10], v12 offset1:216
	s_waitcnt lgkmcnt(0)
	v_add_f64 v[7:8], v[9:10], v[7:8]
	ds_store_b64 v12, v[7:8]
.LBB90_29:
	s_or_b32 exec_lo, exec_lo, s1
	s_delay_alu instid0(SALU_CYCLE_1)
	s_mov_b32 s1, exec_lo
	s_waitcnt lgkmcnt(0)
	s_barrier
	buffer_gl0_inv
	v_cmpx_gt_u32_e32 0x6c, v0
	s_cbranch_execz .LBB90_31
; %bb.30:
	ds_load_2addr_b64 v[7:10], v12 offset1:108
	s_waitcnt lgkmcnt(0)
	v_add_f64 v[7:8], v[9:10], v[7:8]
	ds_store_b64 v12, v[7:8]
.LBB90_31:
	;; [unrolled: 14-line block ×3, first 2 shown]
	s_or_b32 exec_lo, exec_lo, s1
	s_delay_alu instid0(SALU_CYCLE_1)
	s_mov_b32 s1, exec_lo
	s_waitcnt lgkmcnt(0)
	buffer_gl0_inv
                                        ; implicit-def: $vgpr7
	v_cmpx_gt_u32_e32 27, v0
; %bb.34:
	v_add_nc_u32_e32 v7, 27, v0
	s_or_b32 s0, s0, exec_lo
                                        ; implicit-def: $vgpr5_vgpr6
; %bb.35:
	s_or_b32 exec_lo, exec_lo, s1
	v_mov_b32_e32 v8, v12
.LBB90_36:
	s_and_saveexec_b32 s1, s0
	s_cbranch_execnz .LBB90_39
; %bb.37:
	s_or_b32 exec_lo, exec_lo, s1
	v_cmp_gt_u32_e32 vcc_lo, 27, v0
	s_and_b32 exec_lo, exec_lo, vcc_lo
	s_cbranch_execnz .LBB90_40
.LBB90_38:
	s_nop 0
	s_sendmsg sendmsg(MSG_DEALLOC_VGPRS)
	s_endpgm
.LBB90_39:
	v_lshlrev_b32_e32 v7, 3, v7
	ds_load_b64 v[5:6], v8
	ds_load_b64 v[7:8], v7
	s_waitcnt lgkmcnt(0)
	v_add_f64 v[5:6], v[5:6], v[7:8]
	s_or_b32 exec_lo, exec_lo, s1
	v_cmp_gt_u32_e32 vcc_lo, 27, v0
	s_and_b32 exec_lo, exec_lo, vcc_lo
	s_cbranch_execz .LBB90_38
.LBB90_40:
	s_delay_alu instid0(VALU_DEP_2)
	v_mul_f64 v[3:4], v[3:4], v[5:6]
	s_mov_b32 s0, exec_lo
	v_cmpx_eq_f64_e32 0, v[1:2]
	s_xor_b32 s0, exec_lo, s0
	s_cbranch_execz .LBB90_42
; %bb.41:
	v_mad_u64_u32 v[1:2], null, s8, 27, v[0:1]
	v_mov_b32_e32 v2, 0
	s_delay_alu instid0(VALU_DEP_1) | instskip(NEXT) | instid1(VALU_DEP_1)
	v_lshlrev_b64 v[0:1], 3, v[1:2]
	v_add_co_u32 v0, vcc_lo, s10, v0
	s_delay_alu instid0(VALU_DEP_2)
	v_add_co_ci_u32_e32 v1, vcc_lo, s11, v1, vcc_lo
	global_store_b64 v[0:1], v[3:4], off
                                        ; implicit-def: $vgpr0
                                        ; implicit-def: $vgpr1_vgpr2
                                        ; implicit-def: $vgpr3_vgpr4
.LBB90_42:
	s_and_not1_saveexec_b32 s0, s0
	s_cbranch_execz .LBB90_38
; %bb.43:
	v_mad_u64_u32 v[5:6], null, s8, 27, v[0:1]
	v_mov_b32_e32 v6, 0
	s_delay_alu instid0(VALU_DEP_1) | instskip(NEXT) | instid1(VALU_DEP_1)
	v_lshlrev_b64 v[5:6], 3, v[5:6]
	v_add_co_u32 v5, vcc_lo, s10, v5
	s_delay_alu instid0(VALU_DEP_2)
	v_add_co_ci_u32_e32 v6, vcc_lo, s11, v6, vcc_lo
	global_load_b64 v[7:8], v[5:6], off
	s_waitcnt vmcnt(0)
	v_fma_f64 v[0:1], v[1:2], v[7:8], v[3:4]
	global_store_b64 v[5:6], v[0:1], off
	s_nop 0
	s_sendmsg sendmsg(MSG_DEALLOC_VGPRS)
	s_endpgm
	.section	.rodata,"a",@progbits
	.p2align	6, 0x0
	.amdhsa_kernel _ZN9rocsparseL20bsrxmvn_17_32_kernelILj27EdlidddEEvT2_20rocsparse_direction_NS_24const_host_device_scalarIT0_EES1_PKS1_PKT1_SA_S7_PKT3_PKT4_S5_PT5_21rocsparse_index_base_b
		.amdhsa_group_segment_fixed_size 5832
		.amdhsa_private_segment_fixed_size 0
		.amdhsa_kernarg_size 96
		.amdhsa_user_sgpr_count 15
		.amdhsa_user_sgpr_dispatch_ptr 0
		.amdhsa_user_sgpr_queue_ptr 0
		.amdhsa_user_sgpr_kernarg_segment_ptr 1
		.amdhsa_user_sgpr_dispatch_id 0
		.amdhsa_user_sgpr_private_segment_size 0
		.amdhsa_wavefront_size32 1
		.amdhsa_uses_dynamic_stack 0
		.amdhsa_enable_private_segment 0
		.amdhsa_system_sgpr_workgroup_id_x 1
		.amdhsa_system_sgpr_workgroup_id_y 0
		.amdhsa_system_sgpr_workgroup_id_z 0
		.amdhsa_system_sgpr_workgroup_info 0
		.amdhsa_system_vgpr_workitem_id 0
		.amdhsa_next_free_vgpr 19
		.amdhsa_next_free_sgpr 20
		.amdhsa_reserve_vcc 1
		.amdhsa_float_round_mode_32 0
		.amdhsa_float_round_mode_16_64 0
		.amdhsa_float_denorm_mode_32 3
		.amdhsa_float_denorm_mode_16_64 3
		.amdhsa_dx10_clamp 1
		.amdhsa_ieee_mode 1
		.amdhsa_fp16_overflow 0
		.amdhsa_workgroup_processor_mode 1
		.amdhsa_memory_ordered 1
		.amdhsa_forward_progress 0
		.amdhsa_shared_vgpr_count 0
		.amdhsa_exception_fp_ieee_invalid_op 0
		.amdhsa_exception_fp_denorm_src 0
		.amdhsa_exception_fp_ieee_div_zero 0
		.amdhsa_exception_fp_ieee_overflow 0
		.amdhsa_exception_fp_ieee_underflow 0
		.amdhsa_exception_fp_ieee_inexact 0
		.amdhsa_exception_int_div_zero 0
	.end_amdhsa_kernel
	.section	.text._ZN9rocsparseL20bsrxmvn_17_32_kernelILj27EdlidddEEvT2_20rocsparse_direction_NS_24const_host_device_scalarIT0_EES1_PKS1_PKT1_SA_S7_PKT3_PKT4_S5_PT5_21rocsparse_index_base_b,"axG",@progbits,_ZN9rocsparseL20bsrxmvn_17_32_kernelILj27EdlidddEEvT2_20rocsparse_direction_NS_24const_host_device_scalarIT0_EES1_PKS1_PKT1_SA_S7_PKT3_PKT4_S5_PT5_21rocsparse_index_base_b,comdat
.Lfunc_end90:
	.size	_ZN9rocsparseL20bsrxmvn_17_32_kernelILj27EdlidddEEvT2_20rocsparse_direction_NS_24const_host_device_scalarIT0_EES1_PKS1_PKT1_SA_S7_PKT3_PKT4_S5_PT5_21rocsparse_index_base_b, .Lfunc_end90-_ZN9rocsparseL20bsrxmvn_17_32_kernelILj27EdlidddEEvT2_20rocsparse_direction_NS_24const_host_device_scalarIT0_EES1_PKS1_PKT1_SA_S7_PKT3_PKT4_S5_PT5_21rocsparse_index_base_b
                                        ; -- End function
	.section	.AMDGPU.csdata,"",@progbits
; Kernel info:
; codeLenInByte = 1712
; NumSgprs: 22
; NumVgprs: 19
; ScratchSize: 0
; MemoryBound: 0
; FloatMode: 240
; IeeeMode: 1
; LDSByteSize: 5832 bytes/workgroup (compile time only)
; SGPRBlocks: 2
; VGPRBlocks: 2
; NumSGPRsForWavesPerEU: 22
; NumVGPRsForWavesPerEU: 19
; Occupancy: 12
; WaveLimiterHint : 1
; COMPUTE_PGM_RSRC2:SCRATCH_EN: 0
; COMPUTE_PGM_RSRC2:USER_SGPR: 15
; COMPUTE_PGM_RSRC2:TRAP_HANDLER: 0
; COMPUTE_PGM_RSRC2:TGID_X_EN: 1
; COMPUTE_PGM_RSRC2:TGID_Y_EN: 0
; COMPUTE_PGM_RSRC2:TGID_Z_EN: 0
; COMPUTE_PGM_RSRC2:TIDIG_COMP_CNT: 0
	.section	.text._ZN9rocsparseL20bsrxmvn_17_32_kernelILj28EdlidddEEvT2_20rocsparse_direction_NS_24const_host_device_scalarIT0_EES1_PKS1_PKT1_SA_S7_PKT3_PKT4_S5_PT5_21rocsparse_index_base_b,"axG",@progbits,_ZN9rocsparseL20bsrxmvn_17_32_kernelILj28EdlidddEEvT2_20rocsparse_direction_NS_24const_host_device_scalarIT0_EES1_PKS1_PKT1_SA_S7_PKT3_PKT4_S5_PT5_21rocsparse_index_base_b,comdat
	.globl	_ZN9rocsparseL20bsrxmvn_17_32_kernelILj28EdlidddEEvT2_20rocsparse_direction_NS_24const_host_device_scalarIT0_EES1_PKS1_PKT1_SA_S7_PKT3_PKT4_S5_PT5_21rocsparse_index_base_b ; -- Begin function _ZN9rocsparseL20bsrxmvn_17_32_kernelILj28EdlidddEEvT2_20rocsparse_direction_NS_24const_host_device_scalarIT0_EES1_PKS1_PKT1_SA_S7_PKT3_PKT4_S5_PT5_21rocsparse_index_base_b
	.p2align	8
	.type	_ZN9rocsparseL20bsrxmvn_17_32_kernelILj28EdlidddEEvT2_20rocsparse_direction_NS_24const_host_device_scalarIT0_EES1_PKS1_PKT1_SA_S7_PKT3_PKT4_S5_PT5_21rocsparse_index_base_b,@function
_ZN9rocsparseL20bsrxmvn_17_32_kernelILj28EdlidddEEvT2_20rocsparse_direction_NS_24const_host_device_scalarIT0_EES1_PKS1_PKT1_SA_S7_PKT3_PKT4_S5_PT5_21rocsparse_index_base_b: ; @_ZN9rocsparseL20bsrxmvn_17_32_kernelILj28EdlidddEEvT2_20rocsparse_direction_NS_24const_host_device_scalarIT0_EES1_PKS1_PKT1_SA_S7_PKT3_PKT4_S5_PT5_21rocsparse_index_base_b
; %bb.0:
	s_clause 0x2
	s_load_b64 s[12:13], s[0:1], 0x58
	s_load_b64 s[4:5], s[0:1], 0x8
	;; [unrolled: 1-line block ×3, first 2 shown]
	s_mov_b32 s8, s15
	s_waitcnt lgkmcnt(0)
	s_bitcmp1_b32 s13, 0
	v_dual_mov_b32 v3, s4 :: v_dual_mov_b32 v4, s5
	s_cselect_b32 s6, -1, 0
	s_delay_alu instid0(SALU_CYCLE_1)
	s_and_b32 vcc_lo, exec_lo, s6
	s_xor_b32 s6, s6, -1
	s_cbranch_vccnz .LBB91_2
; %bb.1:
	v_dual_mov_b32 v1, s4 :: v_dual_mov_b32 v2, s5
	flat_load_b64 v[3:4], v[1:2]
.LBB91_2:
	v_dual_mov_b32 v1, s2 :: v_dual_mov_b32 v2, s3
	s_and_not1_b32 vcc_lo, exec_lo, s6
	s_cbranch_vccnz .LBB91_4
; %bb.3:
	v_dual_mov_b32 v1, s2 :: v_dual_mov_b32 v2, s3
	flat_load_b64 v[1:2], v[1:2]
.LBB91_4:
	s_waitcnt vmcnt(0) lgkmcnt(0)
	v_cmp_neq_f64_e32 vcc_lo, 0, v[3:4]
	v_cmp_neq_f64_e64 s2, 1.0, v[1:2]
	s_delay_alu instid0(VALU_DEP_1) | instskip(NEXT) | instid1(SALU_CYCLE_1)
	s_or_b32 s2, vcc_lo, s2
	s_and_saveexec_b32 s3, s2
	s_cbranch_execz .LBB91_38
; %bb.5:
	s_clause 0x1
	s_load_b128 s[4:7], s[0:1], 0x18
	s_load_b64 s[10:11], s[0:1], 0x28
	s_waitcnt lgkmcnt(0)
	s_cmp_eq_u64 s[4:5], 0
	s_cbranch_scc1 .LBB91_7
; %bb.6:
	s_ashr_i32 s9, s8, 31
	s_delay_alu instid0(SALU_CYCLE_1) | instskip(NEXT) | instid1(SALU_CYCLE_1)
	s_lshl_b64 s[2:3], s[8:9], 2
	s_add_u32 s2, s4, s2
	s_addc_u32 s3, s5, s3
	s_load_b32 s2, s[2:3], 0x0
	s_waitcnt lgkmcnt(0)
	s_sub_i32 s8, s2, s12
.LBB91_7:
	s_load_b32 s3, s[0:1], 0x4
	v_mul_u32_u24_e32 v5, 0x925, v0
	v_lshlrev_b32_e32 v12, 3, v0
	s_delay_alu instid0(VALU_DEP_2) | instskip(SKIP_2) | instid1(VALU_DEP_3)
	v_lshrrev_b32_e32 v7, 16, v5
	v_mov_b32_e32 v5, 0
	v_mov_b32_e32 v6, 0
	v_mul_lo_u16 v8, v7, 28
	s_delay_alu instid0(VALU_DEP_1)
	v_sub_nc_u16 v13, v0, v8
	s_waitcnt lgkmcnt(0)
	s_cmp_eq_u32 s3, 1
	s_cselect_b32 s2, -1, 0
	s_cmp_lg_u32 s3, 1
	s_cselect_b32 s3, -1, 0
	s_ashr_i32 s9, s8, 31
	s_delay_alu instid0(SALU_CYCLE_1) | instskip(NEXT) | instid1(SALU_CYCLE_1)
	s_lshl_b64 s[4:5], s[8:9], 3
	s_add_u32 s6, s6, s4
	s_addc_u32 s7, s7, s5
	s_add_u32 s9, s6, 8
	s_addc_u32 s13, s7, 0
	;; [unrolled: 2-line block ×3, first 2 shown]
	s_cmp_eq_u64 s[10:11], 0
	s_load_b64 s[10:11], s[0:1], 0x50
	s_cselect_b32 s5, s13, s5
	s_cselect_b32 s4, s9, s4
	s_load_b64 s[18:19], s[6:7], 0x0
	s_load_b64 s[14:15], s[4:5], 0x0
	s_waitcnt lgkmcnt(0)
	v_cmp_ge_i64_e64 s4, s[18:19], s[14:15]
	s_delay_alu instid0(VALU_DEP_1)
	s_and_b32 vcc_lo, exec_lo, s4
	s_cbranch_vccnz .LBB91_12
; %bb.8:
	v_and_b32_e32 v5, 0xffff, v7
	v_cmp_lt_u32_e32 vcc_lo, 0x30f, v0
	v_and_b32_e32 v6, 0xffff, v13
	s_clause 0x1
	s_load_b128 s[4:7], s[0:1], 0x30
	s_load_b64 s[0:1], s[0:1], 0x40
	s_sub_u32 s14, s14, s12
	v_subrev_nc_u32_e32 v7, 28, v5
	v_cndmask_b32_e64 v14, 0, 1, vcc_lo
	v_cmp_gt_u32_e32 vcc_lo, 0x310, v0
	s_subb_u32 s15, s15, 0
	s_sub_u32 s16, s18, s12
	v_lshlrev_b32_e32 v8, 3, v0
	s_subb_u32 s17, s19, 0
	v_cndmask_b32_e32 v5, v7, v5, vcc_lo
	s_mul_hi_u32 s9, s16, 0x1880
	s_mul_i32 s13, s17, 0x1880
	s_delay_alu instid0(SALU_CYCLE_1) | instskip(NEXT) | instid1(VALU_DEP_1)
	s_add_i32 s9, s9, s13
	v_cndmask_b32_e64 v7, v6, v5, s2
	v_add_co_u32 v5, s2, s18, v14
	s_delay_alu instid0(VALU_DEP_1) | instskip(SKIP_1) | instid1(VALU_DEP_2)
	v_add_co_ci_u32_e64 v6, null, s19, 0, s2
	s_mul_i32 s2, s16, 0x1880
	v_sub_co_u32 v5, vcc_lo, v5, s12
	s_delay_alu instid0(VALU_DEP_2)
	v_subrev_co_ci_u32_e32 v6, vcc_lo, 0, v6, vcc_lo
	s_waitcnt lgkmcnt(0)
	s_add_u32 s2, s6, s2
	s_addc_u32 s6, s7, s9
	v_add_co_u32 v8, s2, s2, v8
	v_lshlrev_b64 v[10:11], 2, v[5:6]
	v_mov_b32_e32 v5, 0
	v_add_co_ci_u32_e64 v9, null, s6, 0, s2
	v_mov_b32_e32 v6, 0
	s_delay_alu instid0(VALU_DEP_4)
	v_add_co_u32 v10, vcc_lo, s4, v10
	v_add_co_ci_u32_e32 v11, vcc_lo, s5, v11, vcc_lo
	s_set_inst_prefetch_distance 0x1
	s_branch .LBB91_10
	.p2align	6
.LBB91_9:                               ;   in Loop: Header=BB91_10 Depth=1
	s_or_b32 exec_lo, exec_lo, s2
	s_add_u32 s16, s16, 1
	s_addc_u32 s17, s17, 0
	v_add_co_u32 v10, vcc_lo, v10, 4
	v_cmp_lt_i64_e64 s2, s[16:17], s[14:15]
	v_add_co_ci_u32_e32 v11, vcc_lo, 0, v11, vcc_lo
	s_delay_alu instid0(VALU_DEP_2)
	s_and_b32 vcc_lo, exec_lo, s2
	s_cbranch_vccz .LBB91_12
.LBB91_10:                              ; =>This Inner Loop Header: Depth=1
	v_add_co_u32 v15, s2, v14, s16
	s_delay_alu instid0(VALU_DEP_1) | instskip(SKIP_1) | instid1(VALU_DEP_1)
	v_add_co_ci_u32_e64 v16, null, 0, s17, s2
	s_mov_b32 s2, exec_lo
	v_cmpx_gt_i64_e64 s[14:15], v[15:16]
	s_cbranch_execz .LBB91_9
; %bb.11:                               ;   in Loop: Header=BB91_10 Depth=1
	global_load_b32 v15, v[10:11], off
	s_waitcnt vmcnt(0)
	v_subrev_nc_u32_e32 v17, s12, v15
	s_delay_alu instid0(VALU_DEP_1) | instskip(NEXT) | instid1(VALU_DEP_1)
	v_mad_u64_u32 v[15:16], null, v17, 28, v[7:8]
	v_ashrrev_i32_e32 v16, 31, v15
	s_delay_alu instid0(VALU_DEP_1) | instskip(NEXT) | instid1(VALU_DEP_1)
	v_lshlrev_b64 v[15:16], 3, v[15:16]
	v_add_co_u32 v15, vcc_lo, s0, v15
	s_delay_alu instid0(VALU_DEP_2)
	v_add_co_ci_u32_e32 v16, vcc_lo, s1, v16, vcc_lo
	global_load_b64 v[17:18], v[8:9], off
	global_load_b64 v[15:16], v[15:16], off
	v_add_co_u32 v8, vcc_lo, 0x1880, v8
	v_add_co_ci_u32_e32 v9, vcc_lo, 0, v9, vcc_lo
	s_waitcnt vmcnt(0)
	v_fma_f64 v[5:6], v[17:18], v[15:16], v[5:6]
	s_branch .LBB91_9
.LBB91_12:
	s_set_inst_prefetch_distance 0x2
	s_and_b32 vcc_lo, exec_lo, s3
	ds_store_b64 v12, v[5:6]
	s_waitcnt lgkmcnt(0)
	s_barrier
	buffer_gl0_inv
	s_cbranch_vccz .LBB91_24
; %bb.13:
	s_mov_b32 s0, exec_lo
	v_cmpx_gt_u16_e32 12, v13
	s_cbranch_execz .LBB91_15
; %bb.14:
	ds_load_2addr_b64 v[7:10], v12 offset1:16
	s_waitcnt lgkmcnt(0)
	v_add_f64 v[7:8], v[9:10], v[7:8]
	ds_store_b64 v12, v[7:8]
.LBB91_15:
	s_or_b32 exec_lo, exec_lo, s0
	s_delay_alu instid0(SALU_CYCLE_1)
	s_mov_b32 s0, exec_lo
	s_waitcnt lgkmcnt(0)
	s_barrier
	buffer_gl0_inv
	v_cmpx_gt_u16_e32 8, v13
	s_cbranch_execz .LBB91_17
; %bb.16:
	ds_load_2addr_b64 v[7:10], v12 offset1:8
	s_waitcnt lgkmcnt(0)
	v_add_f64 v[7:8], v[9:10], v[7:8]
	ds_store_b64 v12, v[7:8]
.LBB91_17:
	s_or_b32 exec_lo, exec_lo, s0
	s_delay_alu instid0(SALU_CYCLE_1)
	s_mov_b32 s0, exec_lo
	s_waitcnt lgkmcnt(0)
	s_barrier
	buffer_gl0_inv
	;; [unrolled: 14-line block ×3, first 2 shown]
	v_cmpx_gt_u16_e32 2, v13
	s_cbranch_execz .LBB91_21
; %bb.20:
	ds_load_2addr_b64 v[7:10], v12 offset1:2
	s_waitcnt lgkmcnt(0)
	v_add_f64 v[7:8], v[9:10], v[7:8]
	ds_store_b64 v12, v[7:8]
.LBB91_21:
	s_or_b32 exec_lo, exec_lo, s0
	s_mov_b32 s1, 0
	s_mov_b32 s0, 0
	s_mov_b32 s2, exec_lo
	s_waitcnt lgkmcnt(0)
	s_barrier
	buffer_gl0_inv
                                        ; implicit-def: $vgpr7
                                        ; implicit-def: $vgpr8
	v_cmpx_gt_u32_e32 28, v0
	s_xor_b32 s2, exec_lo, s2
; %bb.22:
	v_mul_u32_u24_e32 v7, 28, v0
	v_mad_u32_u24 v8, 0xd8, v0, v12
	s_mov_b32 s0, exec_lo
	s_delay_alu instid0(VALU_DEP_2)
	v_or_b32_e32 v7, 1, v7
; %bb.23:
	s_or_b32 exec_lo, exec_lo, s2
	s_delay_alu instid0(SALU_CYCLE_1)
	s_and_b32 vcc_lo, exec_lo, s1
	s_cbranch_vccnz .LBB91_25
	s_branch .LBB91_36
.LBB91_24:
	s_mov_b32 s0, 0
                                        ; implicit-def: $vgpr7
                                        ; implicit-def: $vgpr8
	s_cbranch_execz .LBB91_36
.LBB91_25:
	s_mov_b32 s1, exec_lo
	v_cmpx_gt_u32_e32 0x150, v0
	s_cbranch_execz .LBB91_27
; %bb.26:
	ds_load_2addr_stride64_b64 v[7:10], v12 offset1:7
	s_waitcnt lgkmcnt(0)
	v_add_f64 v[7:8], v[9:10], v[7:8]
	ds_store_b64 v12, v[7:8]
.LBB91_27:
	s_or_b32 exec_lo, exec_lo, s1
	s_delay_alu instid0(SALU_CYCLE_1)
	s_mov_b32 s1, exec_lo
	s_waitcnt lgkmcnt(0)
	s_barrier
	buffer_gl0_inv
	v_cmpx_gt_u32_e32 0xe0, v0
	s_cbranch_execz .LBB91_29
; %bb.28:
	ds_load_2addr_b64 v[7:10], v12 offset1:224
	s_waitcnt lgkmcnt(0)
	v_add_f64 v[7:8], v[9:10], v[7:8]
	ds_store_b64 v12, v[7:8]
.LBB91_29:
	s_or_b32 exec_lo, exec_lo, s1
	s_delay_alu instid0(SALU_CYCLE_1)
	s_mov_b32 s1, exec_lo
	s_waitcnt lgkmcnt(0)
	s_barrier
	buffer_gl0_inv
	v_cmpx_gt_u32_e32 0x70, v0
	s_cbranch_execz .LBB91_31
; %bb.30:
	ds_load_2addr_b64 v[7:10], v12 offset1:112
	s_waitcnt lgkmcnt(0)
	v_add_f64 v[7:8], v[9:10], v[7:8]
	ds_store_b64 v12, v[7:8]
.LBB91_31:
	;; [unrolled: 14-line block ×3, first 2 shown]
	s_or_b32 exec_lo, exec_lo, s1
	s_delay_alu instid0(SALU_CYCLE_1)
	s_mov_b32 s1, exec_lo
	s_waitcnt lgkmcnt(0)
	buffer_gl0_inv
                                        ; implicit-def: $vgpr7
	v_cmpx_gt_u32_e32 28, v0
; %bb.34:
	v_add_nc_u32_e32 v7, 28, v0
	s_or_b32 s0, s0, exec_lo
                                        ; implicit-def: $vgpr5_vgpr6
; %bb.35:
	s_or_b32 exec_lo, exec_lo, s1
	v_mov_b32_e32 v8, v12
.LBB91_36:
	s_and_saveexec_b32 s1, s0
	s_cbranch_execnz .LBB91_39
; %bb.37:
	s_or_b32 exec_lo, exec_lo, s1
	v_cmp_gt_u32_e32 vcc_lo, 28, v0
	s_and_b32 exec_lo, exec_lo, vcc_lo
	s_cbranch_execnz .LBB91_40
.LBB91_38:
	s_nop 0
	s_sendmsg sendmsg(MSG_DEALLOC_VGPRS)
	s_endpgm
.LBB91_39:
	v_lshlrev_b32_e32 v7, 3, v7
	ds_load_b64 v[5:6], v8
	ds_load_b64 v[7:8], v7
	s_waitcnt lgkmcnt(0)
	v_add_f64 v[5:6], v[5:6], v[7:8]
	s_or_b32 exec_lo, exec_lo, s1
	v_cmp_gt_u32_e32 vcc_lo, 28, v0
	s_and_b32 exec_lo, exec_lo, vcc_lo
	s_cbranch_execz .LBB91_38
.LBB91_40:
	s_delay_alu instid0(VALU_DEP_2)
	v_mul_f64 v[3:4], v[3:4], v[5:6]
	s_mov_b32 s0, exec_lo
	v_cmpx_eq_f64_e32 0, v[1:2]
	s_xor_b32 s0, exec_lo, s0
	s_cbranch_execz .LBB91_42
; %bb.41:
	v_mad_u64_u32 v[1:2], null, s8, 28, v[0:1]
	v_mov_b32_e32 v2, 0
	s_delay_alu instid0(VALU_DEP_1) | instskip(NEXT) | instid1(VALU_DEP_1)
	v_lshlrev_b64 v[0:1], 3, v[1:2]
	v_add_co_u32 v0, vcc_lo, s10, v0
	s_delay_alu instid0(VALU_DEP_2)
	v_add_co_ci_u32_e32 v1, vcc_lo, s11, v1, vcc_lo
	global_store_b64 v[0:1], v[3:4], off
                                        ; implicit-def: $vgpr0
                                        ; implicit-def: $vgpr1_vgpr2
                                        ; implicit-def: $vgpr3_vgpr4
.LBB91_42:
	s_and_not1_saveexec_b32 s0, s0
	s_cbranch_execz .LBB91_38
; %bb.43:
	v_mad_u64_u32 v[5:6], null, s8, 28, v[0:1]
	v_mov_b32_e32 v6, 0
	s_delay_alu instid0(VALU_DEP_1) | instskip(NEXT) | instid1(VALU_DEP_1)
	v_lshlrev_b64 v[5:6], 3, v[5:6]
	v_add_co_u32 v5, vcc_lo, s10, v5
	s_delay_alu instid0(VALU_DEP_2)
	v_add_co_ci_u32_e32 v6, vcc_lo, s11, v6, vcc_lo
	global_load_b64 v[7:8], v[5:6], off
	s_waitcnt vmcnt(0)
	v_fma_f64 v[0:1], v[1:2], v[7:8], v[3:4]
	global_store_b64 v[5:6], v[0:1], off
	s_nop 0
	s_sendmsg sendmsg(MSG_DEALLOC_VGPRS)
	s_endpgm
	.section	.rodata,"a",@progbits
	.p2align	6, 0x0
	.amdhsa_kernel _ZN9rocsparseL20bsrxmvn_17_32_kernelILj28EdlidddEEvT2_20rocsparse_direction_NS_24const_host_device_scalarIT0_EES1_PKS1_PKT1_SA_S7_PKT3_PKT4_S5_PT5_21rocsparse_index_base_b
		.amdhsa_group_segment_fixed_size 6272
		.amdhsa_private_segment_fixed_size 0
		.amdhsa_kernarg_size 96
		.amdhsa_user_sgpr_count 15
		.amdhsa_user_sgpr_dispatch_ptr 0
		.amdhsa_user_sgpr_queue_ptr 0
		.amdhsa_user_sgpr_kernarg_segment_ptr 1
		.amdhsa_user_sgpr_dispatch_id 0
		.amdhsa_user_sgpr_private_segment_size 0
		.amdhsa_wavefront_size32 1
		.amdhsa_uses_dynamic_stack 0
		.amdhsa_enable_private_segment 0
		.amdhsa_system_sgpr_workgroup_id_x 1
		.amdhsa_system_sgpr_workgroup_id_y 0
		.amdhsa_system_sgpr_workgroup_id_z 0
		.amdhsa_system_sgpr_workgroup_info 0
		.amdhsa_system_vgpr_workitem_id 0
		.amdhsa_next_free_vgpr 19
		.amdhsa_next_free_sgpr 20
		.amdhsa_reserve_vcc 1
		.amdhsa_float_round_mode_32 0
		.amdhsa_float_round_mode_16_64 0
		.amdhsa_float_denorm_mode_32 3
		.amdhsa_float_denorm_mode_16_64 3
		.amdhsa_dx10_clamp 1
		.amdhsa_ieee_mode 1
		.amdhsa_fp16_overflow 0
		.amdhsa_workgroup_processor_mode 1
		.amdhsa_memory_ordered 1
		.amdhsa_forward_progress 0
		.amdhsa_shared_vgpr_count 0
		.amdhsa_exception_fp_ieee_invalid_op 0
		.amdhsa_exception_fp_denorm_src 0
		.amdhsa_exception_fp_ieee_div_zero 0
		.amdhsa_exception_fp_ieee_overflow 0
		.amdhsa_exception_fp_ieee_underflow 0
		.amdhsa_exception_fp_ieee_inexact 0
		.amdhsa_exception_int_div_zero 0
	.end_amdhsa_kernel
	.section	.text._ZN9rocsparseL20bsrxmvn_17_32_kernelILj28EdlidddEEvT2_20rocsparse_direction_NS_24const_host_device_scalarIT0_EES1_PKS1_PKT1_SA_S7_PKT3_PKT4_S5_PT5_21rocsparse_index_base_b,"axG",@progbits,_ZN9rocsparseL20bsrxmvn_17_32_kernelILj28EdlidddEEvT2_20rocsparse_direction_NS_24const_host_device_scalarIT0_EES1_PKS1_PKT1_SA_S7_PKT3_PKT4_S5_PT5_21rocsparse_index_base_b,comdat
.Lfunc_end91:
	.size	_ZN9rocsparseL20bsrxmvn_17_32_kernelILj28EdlidddEEvT2_20rocsparse_direction_NS_24const_host_device_scalarIT0_EES1_PKS1_PKT1_SA_S7_PKT3_PKT4_S5_PT5_21rocsparse_index_base_b, .Lfunc_end91-_ZN9rocsparseL20bsrxmvn_17_32_kernelILj28EdlidddEEvT2_20rocsparse_direction_NS_24const_host_device_scalarIT0_EES1_PKS1_PKT1_SA_S7_PKT3_PKT4_S5_PT5_21rocsparse_index_base_b
                                        ; -- End function
	.section	.AMDGPU.csdata,"",@progbits
; Kernel info:
; codeLenInByte = 1708
; NumSgprs: 22
; NumVgprs: 19
; ScratchSize: 0
; MemoryBound: 0
; FloatMode: 240
; IeeeMode: 1
; LDSByteSize: 6272 bytes/workgroup (compile time only)
; SGPRBlocks: 2
; VGPRBlocks: 2
; NumSGPRsForWavesPerEU: 22
; NumVGPRsForWavesPerEU: 19
; Occupancy: 13
; WaveLimiterHint : 1
; COMPUTE_PGM_RSRC2:SCRATCH_EN: 0
; COMPUTE_PGM_RSRC2:USER_SGPR: 15
; COMPUTE_PGM_RSRC2:TRAP_HANDLER: 0
; COMPUTE_PGM_RSRC2:TGID_X_EN: 1
; COMPUTE_PGM_RSRC2:TGID_Y_EN: 0
; COMPUTE_PGM_RSRC2:TGID_Z_EN: 0
; COMPUTE_PGM_RSRC2:TIDIG_COMP_CNT: 0
	.section	.text._ZN9rocsparseL20bsrxmvn_17_32_kernelILj29EdlidddEEvT2_20rocsparse_direction_NS_24const_host_device_scalarIT0_EES1_PKS1_PKT1_SA_S7_PKT3_PKT4_S5_PT5_21rocsparse_index_base_b,"axG",@progbits,_ZN9rocsparseL20bsrxmvn_17_32_kernelILj29EdlidddEEvT2_20rocsparse_direction_NS_24const_host_device_scalarIT0_EES1_PKS1_PKT1_SA_S7_PKT3_PKT4_S5_PT5_21rocsparse_index_base_b,comdat
	.globl	_ZN9rocsparseL20bsrxmvn_17_32_kernelILj29EdlidddEEvT2_20rocsparse_direction_NS_24const_host_device_scalarIT0_EES1_PKS1_PKT1_SA_S7_PKT3_PKT4_S5_PT5_21rocsparse_index_base_b ; -- Begin function _ZN9rocsparseL20bsrxmvn_17_32_kernelILj29EdlidddEEvT2_20rocsparse_direction_NS_24const_host_device_scalarIT0_EES1_PKS1_PKT1_SA_S7_PKT3_PKT4_S5_PT5_21rocsparse_index_base_b
	.p2align	8
	.type	_ZN9rocsparseL20bsrxmvn_17_32_kernelILj29EdlidddEEvT2_20rocsparse_direction_NS_24const_host_device_scalarIT0_EES1_PKS1_PKT1_SA_S7_PKT3_PKT4_S5_PT5_21rocsparse_index_base_b,@function
_ZN9rocsparseL20bsrxmvn_17_32_kernelILj29EdlidddEEvT2_20rocsparse_direction_NS_24const_host_device_scalarIT0_EES1_PKS1_PKT1_SA_S7_PKT3_PKT4_S5_PT5_21rocsparse_index_base_b: ; @_ZN9rocsparseL20bsrxmvn_17_32_kernelILj29EdlidddEEvT2_20rocsparse_direction_NS_24const_host_device_scalarIT0_EES1_PKS1_PKT1_SA_S7_PKT3_PKT4_S5_PT5_21rocsparse_index_base_b
; %bb.0:
	s_clause 0x2
	s_load_b64 s[12:13], s[0:1], 0x58
	s_load_b64 s[4:5], s[0:1], 0x8
	;; [unrolled: 1-line block ×3, first 2 shown]
	s_mov_b32 s8, s15
	s_waitcnt lgkmcnt(0)
	s_bitcmp1_b32 s13, 0
	v_dual_mov_b32 v3, s4 :: v_dual_mov_b32 v4, s5
	s_cselect_b32 s6, -1, 0
	s_delay_alu instid0(SALU_CYCLE_1)
	s_and_b32 vcc_lo, exec_lo, s6
	s_xor_b32 s6, s6, -1
	s_cbranch_vccnz .LBB92_2
; %bb.1:
	v_dual_mov_b32 v1, s4 :: v_dual_mov_b32 v2, s5
	flat_load_b64 v[3:4], v[1:2]
.LBB92_2:
	v_dual_mov_b32 v1, s2 :: v_dual_mov_b32 v2, s3
	s_and_not1_b32 vcc_lo, exec_lo, s6
	s_cbranch_vccnz .LBB92_4
; %bb.3:
	v_dual_mov_b32 v1, s2 :: v_dual_mov_b32 v2, s3
	flat_load_b64 v[1:2], v[1:2]
.LBB92_4:
	s_waitcnt vmcnt(0) lgkmcnt(0)
	v_cmp_neq_f64_e32 vcc_lo, 0, v[3:4]
	v_cmp_neq_f64_e64 s2, 1.0, v[1:2]
	s_delay_alu instid0(VALU_DEP_1) | instskip(NEXT) | instid1(SALU_CYCLE_1)
	s_or_b32 s2, vcc_lo, s2
	s_and_saveexec_b32 s3, s2
	s_cbranch_execz .LBB92_38
; %bb.5:
	s_clause 0x1
	s_load_b128 s[4:7], s[0:1], 0x18
	s_load_b64 s[10:11], s[0:1], 0x28
	s_waitcnt lgkmcnt(0)
	s_cmp_eq_u64 s[4:5], 0
	s_cbranch_scc1 .LBB92_7
; %bb.6:
	s_ashr_i32 s9, s8, 31
	s_delay_alu instid0(SALU_CYCLE_1) | instskip(NEXT) | instid1(SALU_CYCLE_1)
	s_lshl_b64 s[2:3], s[8:9], 2
	s_add_u32 s2, s4, s2
	s_addc_u32 s3, s5, s3
	s_load_b32 s2, s[2:3], 0x0
	s_waitcnt lgkmcnt(0)
	s_sub_i32 s8, s2, s12
.LBB92_7:
	s_load_b32 s3, s[0:1], 0x4
	v_mul_u32_u24_e32 v5, 0x8d4, v0
	v_lshlrev_b32_e32 v12, 3, v0
	s_delay_alu instid0(VALU_DEP_2) | instskip(SKIP_2) | instid1(VALU_DEP_3)
	v_lshrrev_b32_e32 v7, 16, v5
	v_mov_b32_e32 v5, 0
	v_mov_b32_e32 v6, 0
	v_mul_lo_u16 v8, v7, 29
	s_delay_alu instid0(VALU_DEP_1)
	v_sub_nc_u16 v13, v0, v8
	s_waitcnt lgkmcnt(0)
	s_cmp_eq_u32 s3, 1
	s_cselect_b32 s2, -1, 0
	s_cmp_lg_u32 s3, 1
	s_cselect_b32 s3, -1, 0
	s_ashr_i32 s9, s8, 31
	s_delay_alu instid0(SALU_CYCLE_1) | instskip(NEXT) | instid1(SALU_CYCLE_1)
	s_lshl_b64 s[4:5], s[8:9], 3
	s_add_u32 s6, s6, s4
	s_addc_u32 s7, s7, s5
	s_add_u32 s9, s6, 8
	s_addc_u32 s13, s7, 0
	;; [unrolled: 2-line block ×3, first 2 shown]
	s_cmp_eq_u64 s[10:11], 0
	s_load_b64 s[10:11], s[0:1], 0x50
	s_cselect_b32 s5, s13, s5
	s_cselect_b32 s4, s9, s4
	s_load_b64 s[18:19], s[6:7], 0x0
	s_load_b64 s[14:15], s[4:5], 0x0
	s_waitcnt lgkmcnt(0)
	v_cmp_ge_i64_e64 s4, s[18:19], s[14:15]
	s_delay_alu instid0(VALU_DEP_1)
	s_and_b32 vcc_lo, exec_lo, s4
	s_cbranch_vccnz .LBB92_12
; %bb.8:
	v_and_b32_e32 v5, 0xffff, v7
	v_cmp_lt_u32_e32 vcc_lo, 0x348, v0
	v_and_b32_e32 v6, 0xffff, v13
	s_clause 0x1
	s_load_b128 s[4:7], s[0:1], 0x30
	s_load_b64 s[0:1], s[0:1], 0x40
	s_sub_u32 s14, s14, s12
	v_subrev_nc_u32_e32 v7, 29, v5
	v_cndmask_b32_e64 v14, 0, 1, vcc_lo
	v_cmp_gt_u32_e32 vcc_lo, 0x349, v0
	s_subb_u32 s15, s15, 0
	s_sub_u32 s16, s18, s12
	v_lshlrev_b32_e32 v8, 3, v0
	s_subb_u32 s17, s19, 0
	v_cndmask_b32_e32 v5, v7, v5, vcc_lo
	s_mul_hi_u32 s9, s16, 0x1a48
	s_mul_i32 s13, s17, 0x1a48
	s_delay_alu instid0(SALU_CYCLE_1) | instskip(NEXT) | instid1(VALU_DEP_1)
	s_add_i32 s9, s9, s13
	v_cndmask_b32_e64 v7, v6, v5, s2
	v_add_co_u32 v5, s2, s18, v14
	s_delay_alu instid0(VALU_DEP_1) | instskip(SKIP_1) | instid1(VALU_DEP_2)
	v_add_co_ci_u32_e64 v6, null, s19, 0, s2
	s_mul_i32 s2, s16, 0x1a48
	v_sub_co_u32 v5, vcc_lo, v5, s12
	s_delay_alu instid0(VALU_DEP_2)
	v_subrev_co_ci_u32_e32 v6, vcc_lo, 0, v6, vcc_lo
	s_waitcnt lgkmcnt(0)
	s_add_u32 s2, s6, s2
	s_addc_u32 s6, s7, s9
	v_add_co_u32 v8, s2, s2, v8
	v_lshlrev_b64 v[10:11], 2, v[5:6]
	v_mov_b32_e32 v5, 0
	v_add_co_ci_u32_e64 v9, null, s6, 0, s2
	v_mov_b32_e32 v6, 0
	s_delay_alu instid0(VALU_DEP_4)
	v_add_co_u32 v10, vcc_lo, s4, v10
	v_add_co_ci_u32_e32 v11, vcc_lo, s5, v11, vcc_lo
	s_set_inst_prefetch_distance 0x1
	s_branch .LBB92_10
	.p2align	6
.LBB92_9:                               ;   in Loop: Header=BB92_10 Depth=1
	s_or_b32 exec_lo, exec_lo, s2
	s_add_u32 s16, s16, 1
	s_addc_u32 s17, s17, 0
	v_add_co_u32 v10, vcc_lo, v10, 4
	v_cmp_lt_i64_e64 s2, s[16:17], s[14:15]
	v_add_co_ci_u32_e32 v11, vcc_lo, 0, v11, vcc_lo
	s_delay_alu instid0(VALU_DEP_2)
	s_and_b32 vcc_lo, exec_lo, s2
	s_cbranch_vccz .LBB92_12
.LBB92_10:                              ; =>This Inner Loop Header: Depth=1
	v_add_co_u32 v15, s2, v14, s16
	s_delay_alu instid0(VALU_DEP_1) | instskip(SKIP_1) | instid1(VALU_DEP_1)
	v_add_co_ci_u32_e64 v16, null, 0, s17, s2
	s_mov_b32 s2, exec_lo
	v_cmpx_gt_i64_e64 s[14:15], v[15:16]
	s_cbranch_execz .LBB92_9
; %bb.11:                               ;   in Loop: Header=BB92_10 Depth=1
	global_load_b32 v15, v[10:11], off
	s_waitcnt vmcnt(0)
	v_subrev_nc_u32_e32 v17, s12, v15
	s_delay_alu instid0(VALU_DEP_1) | instskip(NEXT) | instid1(VALU_DEP_1)
	v_mad_u64_u32 v[15:16], null, v17, 29, v[7:8]
	v_ashrrev_i32_e32 v16, 31, v15
	s_delay_alu instid0(VALU_DEP_1) | instskip(NEXT) | instid1(VALU_DEP_1)
	v_lshlrev_b64 v[15:16], 3, v[15:16]
	v_add_co_u32 v15, vcc_lo, s0, v15
	s_delay_alu instid0(VALU_DEP_2)
	v_add_co_ci_u32_e32 v16, vcc_lo, s1, v16, vcc_lo
	global_load_b64 v[17:18], v[8:9], off
	global_load_b64 v[15:16], v[15:16], off
	v_add_co_u32 v8, vcc_lo, 0x1a48, v8
	v_add_co_ci_u32_e32 v9, vcc_lo, 0, v9, vcc_lo
	s_waitcnt vmcnt(0)
	v_fma_f64 v[5:6], v[17:18], v[15:16], v[5:6]
	s_branch .LBB92_9
.LBB92_12:
	s_set_inst_prefetch_distance 0x2
	s_and_b32 vcc_lo, exec_lo, s3
	ds_store_b64 v12, v[5:6]
	s_waitcnt lgkmcnt(0)
	s_barrier
	buffer_gl0_inv
	s_cbranch_vccz .LBB92_24
; %bb.13:
	s_mov_b32 s0, exec_lo
	v_cmpx_gt_u16_e32 13, v13
	s_cbranch_execz .LBB92_15
; %bb.14:
	ds_load_2addr_b64 v[7:10], v12 offset1:16
	s_waitcnt lgkmcnt(0)
	v_add_f64 v[7:8], v[9:10], v[7:8]
	ds_store_b64 v12, v[7:8]
.LBB92_15:
	s_or_b32 exec_lo, exec_lo, s0
	s_delay_alu instid0(SALU_CYCLE_1)
	s_mov_b32 s0, exec_lo
	s_waitcnt lgkmcnt(0)
	s_barrier
	buffer_gl0_inv
	v_cmpx_gt_u16_e32 8, v13
	s_cbranch_execz .LBB92_17
; %bb.16:
	ds_load_2addr_b64 v[7:10], v12 offset1:8
	s_waitcnt lgkmcnt(0)
	v_add_f64 v[7:8], v[9:10], v[7:8]
	ds_store_b64 v12, v[7:8]
.LBB92_17:
	s_or_b32 exec_lo, exec_lo, s0
	s_delay_alu instid0(SALU_CYCLE_1)
	s_mov_b32 s0, exec_lo
	s_waitcnt lgkmcnt(0)
	s_barrier
	buffer_gl0_inv
	;; [unrolled: 14-line block ×3, first 2 shown]
	v_cmpx_gt_u16_e32 2, v13
	s_cbranch_execz .LBB92_21
; %bb.20:
	ds_load_2addr_b64 v[7:10], v12 offset1:2
	s_waitcnt lgkmcnt(0)
	v_add_f64 v[7:8], v[9:10], v[7:8]
	ds_store_b64 v12, v[7:8]
.LBB92_21:
	s_or_b32 exec_lo, exec_lo, s0
	s_mov_b32 s1, 0
	s_mov_b32 s0, 0
	s_mov_b32 s2, exec_lo
	s_waitcnt lgkmcnt(0)
	s_barrier
	buffer_gl0_inv
                                        ; implicit-def: $vgpr7
                                        ; implicit-def: $vgpr8
	v_cmpx_gt_u32_e32 29, v0
	s_xor_b32 s2, exec_lo, s2
; %bb.22:
	v_mad_u32_u24 v7, v0, 29, 1
	v_mad_u32_u24 v8, 0xe0, v0, v12
	s_mov_b32 s0, exec_lo
; %bb.23:
	s_or_b32 exec_lo, exec_lo, s2
	s_delay_alu instid0(SALU_CYCLE_1)
	s_and_b32 vcc_lo, exec_lo, s1
	s_cbranch_vccnz .LBB92_25
	s_branch .LBB92_36
.LBB92_24:
	s_mov_b32 s0, 0
                                        ; implicit-def: $vgpr7
                                        ; implicit-def: $vgpr8
	s_cbranch_execz .LBB92_36
.LBB92_25:
	s_mov_b32 s1, exec_lo
	v_cmpx_gt_u32_e32 0x179, v0
	s_cbranch_execz .LBB92_27
; %bb.26:
	ds_load_b64 v[7:8], v12 offset:3712
	ds_load_b64 v[9:10], v12
	s_waitcnt lgkmcnt(0)
	v_add_f64 v[7:8], v[7:8], v[9:10]
	ds_store_b64 v12, v[7:8]
.LBB92_27:
	s_or_b32 exec_lo, exec_lo, s1
	s_delay_alu instid0(SALU_CYCLE_1)
	s_mov_b32 s1, exec_lo
	s_waitcnt lgkmcnt(0)
	s_barrier
	buffer_gl0_inv
	v_cmpx_gt_u32_e32 0xe8, v0
	s_cbranch_execz .LBB92_29
; %bb.28:
	ds_load_2addr_b64 v[7:10], v12 offset1:232
	s_waitcnt lgkmcnt(0)
	v_add_f64 v[7:8], v[9:10], v[7:8]
	ds_store_b64 v12, v[7:8]
.LBB92_29:
	s_or_b32 exec_lo, exec_lo, s1
	s_delay_alu instid0(SALU_CYCLE_1)
	s_mov_b32 s1, exec_lo
	s_waitcnt lgkmcnt(0)
	s_barrier
	buffer_gl0_inv
	v_cmpx_gt_u32_e32 0x74, v0
	s_cbranch_execz .LBB92_31
; %bb.30:
	ds_load_2addr_b64 v[7:10], v12 offset1:116
	s_waitcnt lgkmcnt(0)
	v_add_f64 v[7:8], v[9:10], v[7:8]
	ds_store_b64 v12, v[7:8]
.LBB92_31:
	;; [unrolled: 14-line block ×3, first 2 shown]
	s_or_b32 exec_lo, exec_lo, s1
	s_delay_alu instid0(SALU_CYCLE_1)
	s_mov_b32 s1, exec_lo
	s_waitcnt lgkmcnt(0)
	buffer_gl0_inv
                                        ; implicit-def: $vgpr7
	v_cmpx_gt_u32_e32 29, v0
; %bb.34:
	v_add_nc_u32_e32 v7, 29, v0
	s_or_b32 s0, s0, exec_lo
                                        ; implicit-def: $vgpr5_vgpr6
; %bb.35:
	s_or_b32 exec_lo, exec_lo, s1
	v_mov_b32_e32 v8, v12
.LBB92_36:
	s_and_saveexec_b32 s1, s0
	s_cbranch_execnz .LBB92_39
; %bb.37:
	s_or_b32 exec_lo, exec_lo, s1
	v_cmp_gt_u32_e32 vcc_lo, 29, v0
	s_and_b32 exec_lo, exec_lo, vcc_lo
	s_cbranch_execnz .LBB92_40
.LBB92_38:
	s_nop 0
	s_sendmsg sendmsg(MSG_DEALLOC_VGPRS)
	s_endpgm
.LBB92_39:
	v_lshlrev_b32_e32 v7, 3, v7
	ds_load_b64 v[5:6], v8
	ds_load_b64 v[7:8], v7
	s_waitcnt lgkmcnt(0)
	v_add_f64 v[5:6], v[5:6], v[7:8]
	s_or_b32 exec_lo, exec_lo, s1
	v_cmp_gt_u32_e32 vcc_lo, 29, v0
	s_and_b32 exec_lo, exec_lo, vcc_lo
	s_cbranch_execz .LBB92_38
.LBB92_40:
	s_delay_alu instid0(VALU_DEP_2)
	v_mul_f64 v[3:4], v[3:4], v[5:6]
	s_mov_b32 s0, exec_lo
	v_cmpx_eq_f64_e32 0, v[1:2]
	s_xor_b32 s0, exec_lo, s0
	s_cbranch_execz .LBB92_42
; %bb.41:
	v_mad_u64_u32 v[1:2], null, s8, 29, v[0:1]
	v_mov_b32_e32 v2, 0
	s_delay_alu instid0(VALU_DEP_1) | instskip(NEXT) | instid1(VALU_DEP_1)
	v_lshlrev_b64 v[0:1], 3, v[1:2]
	v_add_co_u32 v0, vcc_lo, s10, v0
	s_delay_alu instid0(VALU_DEP_2)
	v_add_co_ci_u32_e32 v1, vcc_lo, s11, v1, vcc_lo
	global_store_b64 v[0:1], v[3:4], off
                                        ; implicit-def: $vgpr0
                                        ; implicit-def: $vgpr1_vgpr2
                                        ; implicit-def: $vgpr3_vgpr4
.LBB92_42:
	s_and_not1_saveexec_b32 s0, s0
	s_cbranch_execz .LBB92_38
; %bb.43:
	v_mad_u64_u32 v[5:6], null, s8, 29, v[0:1]
	v_mov_b32_e32 v6, 0
	s_delay_alu instid0(VALU_DEP_1) | instskip(NEXT) | instid1(VALU_DEP_1)
	v_lshlrev_b64 v[5:6], 3, v[5:6]
	v_add_co_u32 v5, vcc_lo, s10, v5
	s_delay_alu instid0(VALU_DEP_2)
	v_add_co_ci_u32_e32 v6, vcc_lo, s11, v6, vcc_lo
	global_load_b64 v[7:8], v[5:6], off
	s_waitcnt vmcnt(0)
	v_fma_f64 v[0:1], v[1:2], v[7:8], v[3:4]
	global_store_b64 v[5:6], v[0:1], off
	s_nop 0
	s_sendmsg sendmsg(MSG_DEALLOC_VGPRS)
	s_endpgm
	.section	.rodata,"a",@progbits
	.p2align	6, 0x0
	.amdhsa_kernel _ZN9rocsparseL20bsrxmvn_17_32_kernelILj29EdlidddEEvT2_20rocsparse_direction_NS_24const_host_device_scalarIT0_EES1_PKS1_PKT1_SA_S7_PKT3_PKT4_S5_PT5_21rocsparse_index_base_b
		.amdhsa_group_segment_fixed_size 6728
		.amdhsa_private_segment_fixed_size 0
		.amdhsa_kernarg_size 96
		.amdhsa_user_sgpr_count 15
		.amdhsa_user_sgpr_dispatch_ptr 0
		.amdhsa_user_sgpr_queue_ptr 0
		.amdhsa_user_sgpr_kernarg_segment_ptr 1
		.amdhsa_user_sgpr_dispatch_id 0
		.amdhsa_user_sgpr_private_segment_size 0
		.amdhsa_wavefront_size32 1
		.amdhsa_uses_dynamic_stack 0
		.amdhsa_enable_private_segment 0
		.amdhsa_system_sgpr_workgroup_id_x 1
		.amdhsa_system_sgpr_workgroup_id_y 0
		.amdhsa_system_sgpr_workgroup_id_z 0
		.amdhsa_system_sgpr_workgroup_info 0
		.amdhsa_system_vgpr_workitem_id 0
		.amdhsa_next_free_vgpr 19
		.amdhsa_next_free_sgpr 20
		.amdhsa_reserve_vcc 1
		.amdhsa_float_round_mode_32 0
		.amdhsa_float_round_mode_16_64 0
		.amdhsa_float_denorm_mode_32 3
		.amdhsa_float_denorm_mode_16_64 3
		.amdhsa_dx10_clamp 1
		.amdhsa_ieee_mode 1
		.amdhsa_fp16_overflow 0
		.amdhsa_workgroup_processor_mode 1
		.amdhsa_memory_ordered 1
		.amdhsa_forward_progress 0
		.amdhsa_shared_vgpr_count 0
		.amdhsa_exception_fp_ieee_invalid_op 0
		.amdhsa_exception_fp_denorm_src 0
		.amdhsa_exception_fp_ieee_div_zero 0
		.amdhsa_exception_fp_ieee_overflow 0
		.amdhsa_exception_fp_ieee_underflow 0
		.amdhsa_exception_fp_ieee_inexact 0
		.amdhsa_exception_int_div_zero 0
	.end_amdhsa_kernel
	.section	.text._ZN9rocsparseL20bsrxmvn_17_32_kernelILj29EdlidddEEvT2_20rocsparse_direction_NS_24const_host_device_scalarIT0_EES1_PKS1_PKT1_SA_S7_PKT3_PKT4_S5_PT5_21rocsparse_index_base_b,"axG",@progbits,_ZN9rocsparseL20bsrxmvn_17_32_kernelILj29EdlidddEEvT2_20rocsparse_direction_NS_24const_host_device_scalarIT0_EES1_PKS1_PKT1_SA_S7_PKT3_PKT4_S5_PT5_21rocsparse_index_base_b,comdat
.Lfunc_end92:
	.size	_ZN9rocsparseL20bsrxmvn_17_32_kernelILj29EdlidddEEvT2_20rocsparse_direction_NS_24const_host_device_scalarIT0_EES1_PKS1_PKT1_SA_S7_PKT3_PKT4_S5_PT5_21rocsparse_index_base_b, .Lfunc_end92-_ZN9rocsparseL20bsrxmvn_17_32_kernelILj29EdlidddEEvT2_20rocsparse_direction_NS_24const_host_device_scalarIT0_EES1_PKS1_PKT1_SA_S7_PKT3_PKT4_S5_PT5_21rocsparse_index_base_b
                                        ; -- End function
	.section	.AMDGPU.csdata,"",@progbits
; Kernel info:
; codeLenInByte = 1712
; NumSgprs: 22
; NumVgprs: 19
; ScratchSize: 0
; MemoryBound: 0
; FloatMode: 240
; IeeeMode: 1
; LDSByteSize: 6728 bytes/workgroup (compile time only)
; SGPRBlocks: 2
; VGPRBlocks: 2
; NumSGPRsForWavesPerEU: 22
; NumVGPRsForWavesPerEU: 19
; Occupancy: 14
; WaveLimiterHint : 1
; COMPUTE_PGM_RSRC2:SCRATCH_EN: 0
; COMPUTE_PGM_RSRC2:USER_SGPR: 15
; COMPUTE_PGM_RSRC2:TRAP_HANDLER: 0
; COMPUTE_PGM_RSRC2:TGID_X_EN: 1
; COMPUTE_PGM_RSRC2:TGID_Y_EN: 0
; COMPUTE_PGM_RSRC2:TGID_Z_EN: 0
; COMPUTE_PGM_RSRC2:TIDIG_COMP_CNT: 0
	.section	.text._ZN9rocsparseL20bsrxmvn_17_32_kernelILj30EdlidddEEvT2_20rocsparse_direction_NS_24const_host_device_scalarIT0_EES1_PKS1_PKT1_SA_S7_PKT3_PKT4_S5_PT5_21rocsparse_index_base_b,"axG",@progbits,_ZN9rocsparseL20bsrxmvn_17_32_kernelILj30EdlidddEEvT2_20rocsparse_direction_NS_24const_host_device_scalarIT0_EES1_PKS1_PKT1_SA_S7_PKT3_PKT4_S5_PT5_21rocsparse_index_base_b,comdat
	.globl	_ZN9rocsparseL20bsrxmvn_17_32_kernelILj30EdlidddEEvT2_20rocsparse_direction_NS_24const_host_device_scalarIT0_EES1_PKS1_PKT1_SA_S7_PKT3_PKT4_S5_PT5_21rocsparse_index_base_b ; -- Begin function _ZN9rocsparseL20bsrxmvn_17_32_kernelILj30EdlidddEEvT2_20rocsparse_direction_NS_24const_host_device_scalarIT0_EES1_PKS1_PKT1_SA_S7_PKT3_PKT4_S5_PT5_21rocsparse_index_base_b
	.p2align	8
	.type	_ZN9rocsparseL20bsrxmvn_17_32_kernelILj30EdlidddEEvT2_20rocsparse_direction_NS_24const_host_device_scalarIT0_EES1_PKS1_PKT1_SA_S7_PKT3_PKT4_S5_PT5_21rocsparse_index_base_b,@function
_ZN9rocsparseL20bsrxmvn_17_32_kernelILj30EdlidddEEvT2_20rocsparse_direction_NS_24const_host_device_scalarIT0_EES1_PKS1_PKT1_SA_S7_PKT3_PKT4_S5_PT5_21rocsparse_index_base_b: ; @_ZN9rocsparseL20bsrxmvn_17_32_kernelILj30EdlidddEEvT2_20rocsparse_direction_NS_24const_host_device_scalarIT0_EES1_PKS1_PKT1_SA_S7_PKT3_PKT4_S5_PT5_21rocsparse_index_base_b
; %bb.0:
	s_clause 0x2
	s_load_b64 s[12:13], s[0:1], 0x58
	s_load_b64 s[4:5], s[0:1], 0x8
	s_load_b64 s[2:3], s[0:1], 0x48
	s_mov_b32 s8, s15
	s_waitcnt lgkmcnt(0)
	s_bitcmp1_b32 s13, 0
	v_dual_mov_b32 v3, s4 :: v_dual_mov_b32 v4, s5
	s_cselect_b32 s6, -1, 0
	s_delay_alu instid0(SALU_CYCLE_1)
	s_and_b32 vcc_lo, exec_lo, s6
	s_xor_b32 s6, s6, -1
	s_cbranch_vccnz .LBB93_2
; %bb.1:
	v_dual_mov_b32 v1, s4 :: v_dual_mov_b32 v2, s5
	flat_load_b64 v[3:4], v[1:2]
.LBB93_2:
	v_dual_mov_b32 v1, s2 :: v_dual_mov_b32 v2, s3
	s_and_not1_b32 vcc_lo, exec_lo, s6
	s_cbranch_vccnz .LBB93_4
; %bb.3:
	v_dual_mov_b32 v1, s2 :: v_dual_mov_b32 v2, s3
	flat_load_b64 v[1:2], v[1:2]
.LBB93_4:
	s_waitcnt vmcnt(0) lgkmcnt(0)
	v_cmp_neq_f64_e32 vcc_lo, 0, v[3:4]
	v_cmp_neq_f64_e64 s2, 1.0, v[1:2]
	s_delay_alu instid0(VALU_DEP_1) | instskip(NEXT) | instid1(SALU_CYCLE_1)
	s_or_b32 s2, vcc_lo, s2
	s_and_saveexec_b32 s3, s2
	s_cbranch_execz .LBB93_38
; %bb.5:
	s_clause 0x1
	s_load_b128 s[4:7], s[0:1], 0x18
	s_load_b64 s[10:11], s[0:1], 0x28
	s_waitcnt lgkmcnt(0)
	s_cmp_eq_u64 s[4:5], 0
	s_cbranch_scc1 .LBB93_7
; %bb.6:
	s_ashr_i32 s9, s8, 31
	s_delay_alu instid0(SALU_CYCLE_1) | instskip(NEXT) | instid1(SALU_CYCLE_1)
	s_lshl_b64 s[2:3], s[8:9], 2
	s_add_u32 s2, s4, s2
	s_addc_u32 s3, s5, s3
	s_load_b32 s2, s[2:3], 0x0
	s_waitcnt lgkmcnt(0)
	s_sub_i32 s8, s2, s12
.LBB93_7:
	s_load_b32 s3, s[0:1], 0x4
	v_mul_u32_u24_e32 v5, 0x889, v0
	v_lshlrev_b32_e32 v12, 3, v0
	s_delay_alu instid0(VALU_DEP_2) | instskip(SKIP_2) | instid1(VALU_DEP_3)
	v_lshrrev_b32_e32 v7, 16, v5
	v_mov_b32_e32 v5, 0
	v_mov_b32_e32 v6, 0
	v_mul_lo_u16 v8, v7, 30
	s_delay_alu instid0(VALU_DEP_1)
	v_sub_nc_u16 v13, v0, v8
	s_waitcnt lgkmcnt(0)
	s_cmp_eq_u32 s3, 1
	s_cselect_b32 s2, -1, 0
	s_cmp_lg_u32 s3, 1
	s_cselect_b32 s3, -1, 0
	s_ashr_i32 s9, s8, 31
	s_delay_alu instid0(SALU_CYCLE_1) | instskip(NEXT) | instid1(SALU_CYCLE_1)
	s_lshl_b64 s[4:5], s[8:9], 3
	s_add_u32 s6, s6, s4
	s_addc_u32 s7, s7, s5
	s_add_u32 s9, s6, 8
	s_addc_u32 s13, s7, 0
	;; [unrolled: 2-line block ×3, first 2 shown]
	s_cmp_eq_u64 s[10:11], 0
	s_load_b64 s[10:11], s[0:1], 0x50
	s_cselect_b32 s5, s13, s5
	s_cselect_b32 s4, s9, s4
	s_load_b64 s[18:19], s[6:7], 0x0
	s_load_b64 s[14:15], s[4:5], 0x0
	s_waitcnt lgkmcnt(0)
	v_cmp_ge_i64_e64 s4, s[18:19], s[14:15]
	s_delay_alu instid0(VALU_DEP_1)
	s_and_b32 vcc_lo, exec_lo, s4
	s_cbranch_vccnz .LBB93_12
; %bb.8:
	v_and_b32_e32 v5, 0xffff, v7
	v_cmp_lt_u32_e32 vcc_lo, 0x383, v0
	v_and_b32_e32 v6, 0xffff, v13
	s_clause 0x1
	s_load_b128 s[4:7], s[0:1], 0x30
	s_load_b64 s[0:1], s[0:1], 0x40
	s_sub_u32 s14, s14, s12
	v_subrev_nc_u32_e32 v7, 30, v5
	v_cndmask_b32_e64 v14, 0, 1, vcc_lo
	v_cmp_gt_u32_e32 vcc_lo, 0x384, v0
	s_subb_u32 s15, s15, 0
	s_sub_u32 s16, s18, s12
	v_lshlrev_b32_e32 v8, 3, v0
	s_subb_u32 s17, s19, 0
	v_cndmask_b32_e32 v5, v7, v5, vcc_lo
	s_mul_hi_u32 s9, s16, 0x1c20
	s_mul_i32 s13, s17, 0x1c20
	s_delay_alu instid0(SALU_CYCLE_1) | instskip(NEXT) | instid1(VALU_DEP_1)
	s_add_i32 s9, s9, s13
	v_cndmask_b32_e64 v7, v6, v5, s2
	v_add_co_u32 v5, s2, s18, v14
	s_delay_alu instid0(VALU_DEP_1) | instskip(SKIP_1) | instid1(VALU_DEP_2)
	v_add_co_ci_u32_e64 v6, null, s19, 0, s2
	s_mul_i32 s2, s16, 0x1c20
	v_sub_co_u32 v5, vcc_lo, v5, s12
	s_delay_alu instid0(VALU_DEP_2)
	v_subrev_co_ci_u32_e32 v6, vcc_lo, 0, v6, vcc_lo
	s_waitcnt lgkmcnt(0)
	s_add_u32 s2, s6, s2
	s_addc_u32 s6, s7, s9
	v_add_co_u32 v8, s2, s2, v8
	v_lshlrev_b64 v[10:11], 2, v[5:6]
	v_mov_b32_e32 v5, 0
	v_add_co_ci_u32_e64 v9, null, s6, 0, s2
	v_mov_b32_e32 v6, 0
	s_delay_alu instid0(VALU_DEP_4)
	v_add_co_u32 v10, vcc_lo, s4, v10
	v_add_co_ci_u32_e32 v11, vcc_lo, s5, v11, vcc_lo
	s_set_inst_prefetch_distance 0x1
	s_branch .LBB93_10
	.p2align	6
.LBB93_9:                               ;   in Loop: Header=BB93_10 Depth=1
	s_or_b32 exec_lo, exec_lo, s2
	s_add_u32 s16, s16, 1
	s_addc_u32 s17, s17, 0
	v_add_co_u32 v10, vcc_lo, v10, 4
	v_cmp_lt_i64_e64 s2, s[16:17], s[14:15]
	v_add_co_ci_u32_e32 v11, vcc_lo, 0, v11, vcc_lo
	s_delay_alu instid0(VALU_DEP_2)
	s_and_b32 vcc_lo, exec_lo, s2
	s_cbranch_vccz .LBB93_12
.LBB93_10:                              ; =>This Inner Loop Header: Depth=1
	v_add_co_u32 v15, s2, v14, s16
	s_delay_alu instid0(VALU_DEP_1) | instskip(SKIP_1) | instid1(VALU_DEP_1)
	v_add_co_ci_u32_e64 v16, null, 0, s17, s2
	s_mov_b32 s2, exec_lo
	v_cmpx_gt_i64_e64 s[14:15], v[15:16]
	s_cbranch_execz .LBB93_9
; %bb.11:                               ;   in Loop: Header=BB93_10 Depth=1
	global_load_b32 v15, v[10:11], off
	s_waitcnt vmcnt(0)
	v_subrev_nc_u32_e32 v17, s12, v15
	s_delay_alu instid0(VALU_DEP_1) | instskip(NEXT) | instid1(VALU_DEP_1)
	v_mad_u64_u32 v[15:16], null, v17, 30, v[7:8]
	v_ashrrev_i32_e32 v16, 31, v15
	s_delay_alu instid0(VALU_DEP_1) | instskip(NEXT) | instid1(VALU_DEP_1)
	v_lshlrev_b64 v[15:16], 3, v[15:16]
	v_add_co_u32 v15, vcc_lo, s0, v15
	s_delay_alu instid0(VALU_DEP_2)
	v_add_co_ci_u32_e32 v16, vcc_lo, s1, v16, vcc_lo
	global_load_b64 v[17:18], v[8:9], off
	global_load_b64 v[15:16], v[15:16], off
	v_add_co_u32 v8, vcc_lo, 0x1c20, v8
	v_add_co_ci_u32_e32 v9, vcc_lo, 0, v9, vcc_lo
	s_waitcnt vmcnt(0)
	v_fma_f64 v[5:6], v[17:18], v[15:16], v[5:6]
	s_branch .LBB93_9
.LBB93_12:
	s_set_inst_prefetch_distance 0x2
	s_and_b32 vcc_lo, exec_lo, s3
	ds_store_b64 v12, v[5:6]
	s_waitcnt lgkmcnt(0)
	s_barrier
	buffer_gl0_inv
	s_cbranch_vccz .LBB93_24
; %bb.13:
	s_mov_b32 s0, exec_lo
	v_cmpx_gt_u16_e32 14, v13
	s_cbranch_execz .LBB93_15
; %bb.14:
	ds_load_2addr_b64 v[7:10], v12 offset1:16
	s_waitcnt lgkmcnt(0)
	v_add_f64 v[7:8], v[9:10], v[7:8]
	ds_store_b64 v12, v[7:8]
.LBB93_15:
	s_or_b32 exec_lo, exec_lo, s0
	s_delay_alu instid0(SALU_CYCLE_1)
	s_mov_b32 s0, exec_lo
	s_waitcnt lgkmcnt(0)
	s_barrier
	buffer_gl0_inv
	v_cmpx_gt_u16_e32 8, v13
	s_cbranch_execz .LBB93_17
; %bb.16:
	ds_load_2addr_b64 v[7:10], v12 offset1:8
	s_waitcnt lgkmcnt(0)
	v_add_f64 v[7:8], v[9:10], v[7:8]
	ds_store_b64 v12, v[7:8]
.LBB93_17:
	s_or_b32 exec_lo, exec_lo, s0
	s_delay_alu instid0(SALU_CYCLE_1)
	s_mov_b32 s0, exec_lo
	s_waitcnt lgkmcnt(0)
	s_barrier
	buffer_gl0_inv
	v_cmpx_gt_u16_e32 4, v13
	s_cbranch_execz .LBB93_19
; %bb.18:
	ds_load_2addr_b64 v[7:10], v12 offset1:4
	s_waitcnt lgkmcnt(0)
	v_add_f64 v[7:8], v[9:10], v[7:8]
	ds_store_b64 v12, v[7:8]
.LBB93_19:
	s_or_b32 exec_lo, exec_lo, s0
	s_delay_alu instid0(SALU_CYCLE_1)
	s_mov_b32 s0, exec_lo
	s_waitcnt lgkmcnt(0)
	s_barrier
	buffer_gl0_inv
	v_cmpx_gt_u16_e32 2, v13
	s_cbranch_execz .LBB93_21
; %bb.20:
	ds_load_2addr_b64 v[7:10], v12 offset1:2
	s_waitcnt lgkmcnt(0)
	v_add_f64 v[7:8], v[9:10], v[7:8]
	ds_store_b64 v12, v[7:8]
.LBB93_21:
	s_or_b32 exec_lo, exec_lo, s0
	s_mov_b32 s1, 0
	s_mov_b32 s0, 0
	s_mov_b32 s2, exec_lo
	s_waitcnt lgkmcnt(0)
	s_barrier
	buffer_gl0_inv
                                        ; implicit-def: $vgpr7
                                        ; implicit-def: $vgpr8
	v_cmpx_gt_u32_e32 30, v0
	s_xor_b32 s2, exec_lo, s2
; %bb.22:
	v_mul_u32_u24_e32 v7, 30, v0
	v_mad_u32_u24 v8, 0xe8, v0, v12
	s_mov_b32 s0, exec_lo
	s_delay_alu instid0(VALU_DEP_2)
	v_or_b32_e32 v7, 1, v7
; %bb.23:
	s_or_b32 exec_lo, exec_lo, s2
	s_delay_alu instid0(SALU_CYCLE_1)
	s_and_b32 vcc_lo, exec_lo, s1
	s_cbranch_vccnz .LBB93_25
	s_branch .LBB93_36
.LBB93_24:
	s_mov_b32 s0, 0
                                        ; implicit-def: $vgpr7
                                        ; implicit-def: $vgpr8
	s_cbranch_execz .LBB93_36
.LBB93_25:
	s_mov_b32 s1, exec_lo
	v_cmpx_gt_u32_e32 0x1a4, v0
	s_cbranch_execz .LBB93_27
; %bb.26:
	ds_load_b64 v[7:8], v12 offset:3840
	ds_load_b64 v[9:10], v12
	s_waitcnt lgkmcnt(0)
	v_add_f64 v[7:8], v[7:8], v[9:10]
	ds_store_b64 v12, v[7:8]
.LBB93_27:
	s_or_b32 exec_lo, exec_lo, s1
	s_delay_alu instid0(SALU_CYCLE_1)
	s_mov_b32 s1, exec_lo
	s_waitcnt lgkmcnt(0)
	s_barrier
	buffer_gl0_inv
	v_cmpx_gt_u32_e32 0xf0, v0
	s_cbranch_execz .LBB93_29
; %bb.28:
	ds_load_2addr_b64 v[7:10], v12 offset1:240
	s_waitcnt lgkmcnt(0)
	v_add_f64 v[7:8], v[9:10], v[7:8]
	ds_store_b64 v12, v[7:8]
.LBB93_29:
	s_or_b32 exec_lo, exec_lo, s1
	s_delay_alu instid0(SALU_CYCLE_1)
	s_mov_b32 s1, exec_lo
	s_waitcnt lgkmcnt(0)
	s_barrier
	buffer_gl0_inv
	v_cmpx_gt_u32_e32 0x78, v0
	s_cbranch_execz .LBB93_31
; %bb.30:
	ds_load_2addr_b64 v[7:10], v12 offset1:120
	s_waitcnt lgkmcnt(0)
	v_add_f64 v[7:8], v[9:10], v[7:8]
	ds_store_b64 v12, v[7:8]
.LBB93_31:
	;; [unrolled: 14-line block ×3, first 2 shown]
	s_or_b32 exec_lo, exec_lo, s1
	s_delay_alu instid0(SALU_CYCLE_1)
	s_mov_b32 s1, exec_lo
	s_waitcnt lgkmcnt(0)
	buffer_gl0_inv
                                        ; implicit-def: $vgpr7
	v_cmpx_gt_u32_e32 30, v0
; %bb.34:
	v_add_nc_u32_e32 v7, 30, v0
	s_or_b32 s0, s0, exec_lo
                                        ; implicit-def: $vgpr5_vgpr6
; %bb.35:
	s_or_b32 exec_lo, exec_lo, s1
	v_mov_b32_e32 v8, v12
.LBB93_36:
	s_and_saveexec_b32 s1, s0
	s_cbranch_execnz .LBB93_39
; %bb.37:
	s_or_b32 exec_lo, exec_lo, s1
	v_cmp_gt_u32_e32 vcc_lo, 30, v0
	s_and_b32 exec_lo, exec_lo, vcc_lo
	s_cbranch_execnz .LBB93_40
.LBB93_38:
	s_nop 0
	s_sendmsg sendmsg(MSG_DEALLOC_VGPRS)
	s_endpgm
.LBB93_39:
	v_lshlrev_b32_e32 v7, 3, v7
	ds_load_b64 v[5:6], v8
	ds_load_b64 v[7:8], v7
	s_waitcnt lgkmcnt(0)
	v_add_f64 v[5:6], v[5:6], v[7:8]
	s_or_b32 exec_lo, exec_lo, s1
	v_cmp_gt_u32_e32 vcc_lo, 30, v0
	s_and_b32 exec_lo, exec_lo, vcc_lo
	s_cbranch_execz .LBB93_38
.LBB93_40:
	s_delay_alu instid0(VALU_DEP_2)
	v_mul_f64 v[3:4], v[3:4], v[5:6]
	s_mov_b32 s0, exec_lo
	v_cmpx_eq_f64_e32 0, v[1:2]
	s_xor_b32 s0, exec_lo, s0
	s_cbranch_execz .LBB93_42
; %bb.41:
	v_mad_u64_u32 v[1:2], null, s8, 30, v[0:1]
	v_mov_b32_e32 v2, 0
	s_delay_alu instid0(VALU_DEP_1) | instskip(NEXT) | instid1(VALU_DEP_1)
	v_lshlrev_b64 v[0:1], 3, v[1:2]
	v_add_co_u32 v0, vcc_lo, s10, v0
	s_delay_alu instid0(VALU_DEP_2)
	v_add_co_ci_u32_e32 v1, vcc_lo, s11, v1, vcc_lo
	global_store_b64 v[0:1], v[3:4], off
                                        ; implicit-def: $vgpr0
                                        ; implicit-def: $vgpr1_vgpr2
                                        ; implicit-def: $vgpr3_vgpr4
.LBB93_42:
	s_and_not1_saveexec_b32 s0, s0
	s_cbranch_execz .LBB93_38
; %bb.43:
	v_mad_u64_u32 v[5:6], null, s8, 30, v[0:1]
	v_mov_b32_e32 v6, 0
	s_delay_alu instid0(VALU_DEP_1) | instskip(NEXT) | instid1(VALU_DEP_1)
	v_lshlrev_b64 v[5:6], 3, v[5:6]
	v_add_co_u32 v5, vcc_lo, s10, v5
	s_delay_alu instid0(VALU_DEP_2)
	v_add_co_ci_u32_e32 v6, vcc_lo, s11, v6, vcc_lo
	global_load_b64 v[7:8], v[5:6], off
	s_waitcnt vmcnt(0)
	v_fma_f64 v[0:1], v[1:2], v[7:8], v[3:4]
	global_store_b64 v[5:6], v[0:1], off
	s_nop 0
	s_sendmsg sendmsg(MSG_DEALLOC_VGPRS)
	s_endpgm
	.section	.rodata,"a",@progbits
	.p2align	6, 0x0
	.amdhsa_kernel _ZN9rocsparseL20bsrxmvn_17_32_kernelILj30EdlidddEEvT2_20rocsparse_direction_NS_24const_host_device_scalarIT0_EES1_PKS1_PKT1_SA_S7_PKT3_PKT4_S5_PT5_21rocsparse_index_base_b
		.amdhsa_group_segment_fixed_size 7200
		.amdhsa_private_segment_fixed_size 0
		.amdhsa_kernarg_size 96
		.amdhsa_user_sgpr_count 15
		.amdhsa_user_sgpr_dispatch_ptr 0
		.amdhsa_user_sgpr_queue_ptr 0
		.amdhsa_user_sgpr_kernarg_segment_ptr 1
		.amdhsa_user_sgpr_dispatch_id 0
		.amdhsa_user_sgpr_private_segment_size 0
		.amdhsa_wavefront_size32 1
		.amdhsa_uses_dynamic_stack 0
		.amdhsa_enable_private_segment 0
		.amdhsa_system_sgpr_workgroup_id_x 1
		.amdhsa_system_sgpr_workgroup_id_y 0
		.amdhsa_system_sgpr_workgroup_id_z 0
		.amdhsa_system_sgpr_workgroup_info 0
		.amdhsa_system_vgpr_workitem_id 0
		.amdhsa_next_free_vgpr 19
		.amdhsa_next_free_sgpr 20
		.amdhsa_reserve_vcc 1
		.amdhsa_float_round_mode_32 0
		.amdhsa_float_round_mode_16_64 0
		.amdhsa_float_denorm_mode_32 3
		.amdhsa_float_denorm_mode_16_64 3
		.amdhsa_dx10_clamp 1
		.amdhsa_ieee_mode 1
		.amdhsa_fp16_overflow 0
		.amdhsa_workgroup_processor_mode 1
		.amdhsa_memory_ordered 1
		.amdhsa_forward_progress 0
		.amdhsa_shared_vgpr_count 0
		.amdhsa_exception_fp_ieee_invalid_op 0
		.amdhsa_exception_fp_denorm_src 0
		.amdhsa_exception_fp_ieee_div_zero 0
		.amdhsa_exception_fp_ieee_overflow 0
		.amdhsa_exception_fp_ieee_underflow 0
		.amdhsa_exception_fp_ieee_inexact 0
		.amdhsa_exception_int_div_zero 0
	.end_amdhsa_kernel
	.section	.text._ZN9rocsparseL20bsrxmvn_17_32_kernelILj30EdlidddEEvT2_20rocsparse_direction_NS_24const_host_device_scalarIT0_EES1_PKS1_PKT1_SA_S7_PKT3_PKT4_S5_PT5_21rocsparse_index_base_b,"axG",@progbits,_ZN9rocsparseL20bsrxmvn_17_32_kernelILj30EdlidddEEvT2_20rocsparse_direction_NS_24const_host_device_scalarIT0_EES1_PKS1_PKT1_SA_S7_PKT3_PKT4_S5_PT5_21rocsparse_index_base_b,comdat
.Lfunc_end93:
	.size	_ZN9rocsparseL20bsrxmvn_17_32_kernelILj30EdlidddEEvT2_20rocsparse_direction_NS_24const_host_device_scalarIT0_EES1_PKS1_PKT1_SA_S7_PKT3_PKT4_S5_PT5_21rocsparse_index_base_b, .Lfunc_end93-_ZN9rocsparseL20bsrxmvn_17_32_kernelILj30EdlidddEEvT2_20rocsparse_direction_NS_24const_host_device_scalarIT0_EES1_PKS1_PKT1_SA_S7_PKT3_PKT4_S5_PT5_21rocsparse_index_base_b
                                        ; -- End function
	.section	.AMDGPU.csdata,"",@progbits
; Kernel info:
; codeLenInByte = 1716
; NumSgprs: 22
; NumVgprs: 19
; ScratchSize: 0
; MemoryBound: 0
; FloatMode: 240
; IeeeMode: 1
; LDSByteSize: 7200 bytes/workgroup (compile time only)
; SGPRBlocks: 2
; VGPRBlocks: 2
; NumSGPRsForWavesPerEU: 22
; NumVGPRsForWavesPerEU: 19
; Occupancy: 15
; WaveLimiterHint : 1
; COMPUTE_PGM_RSRC2:SCRATCH_EN: 0
; COMPUTE_PGM_RSRC2:USER_SGPR: 15
; COMPUTE_PGM_RSRC2:TRAP_HANDLER: 0
; COMPUTE_PGM_RSRC2:TGID_X_EN: 1
; COMPUTE_PGM_RSRC2:TGID_Y_EN: 0
; COMPUTE_PGM_RSRC2:TGID_Z_EN: 0
; COMPUTE_PGM_RSRC2:TIDIG_COMP_CNT: 0
	.section	.text._ZN9rocsparseL20bsrxmvn_17_32_kernelILj31EdlidddEEvT2_20rocsparse_direction_NS_24const_host_device_scalarIT0_EES1_PKS1_PKT1_SA_S7_PKT3_PKT4_S5_PT5_21rocsparse_index_base_b,"axG",@progbits,_ZN9rocsparseL20bsrxmvn_17_32_kernelILj31EdlidddEEvT2_20rocsparse_direction_NS_24const_host_device_scalarIT0_EES1_PKS1_PKT1_SA_S7_PKT3_PKT4_S5_PT5_21rocsparse_index_base_b,comdat
	.globl	_ZN9rocsparseL20bsrxmvn_17_32_kernelILj31EdlidddEEvT2_20rocsparse_direction_NS_24const_host_device_scalarIT0_EES1_PKS1_PKT1_SA_S7_PKT3_PKT4_S5_PT5_21rocsparse_index_base_b ; -- Begin function _ZN9rocsparseL20bsrxmvn_17_32_kernelILj31EdlidddEEvT2_20rocsparse_direction_NS_24const_host_device_scalarIT0_EES1_PKS1_PKT1_SA_S7_PKT3_PKT4_S5_PT5_21rocsparse_index_base_b
	.p2align	8
	.type	_ZN9rocsparseL20bsrxmvn_17_32_kernelILj31EdlidddEEvT2_20rocsparse_direction_NS_24const_host_device_scalarIT0_EES1_PKS1_PKT1_SA_S7_PKT3_PKT4_S5_PT5_21rocsparse_index_base_b,@function
_ZN9rocsparseL20bsrxmvn_17_32_kernelILj31EdlidddEEvT2_20rocsparse_direction_NS_24const_host_device_scalarIT0_EES1_PKS1_PKT1_SA_S7_PKT3_PKT4_S5_PT5_21rocsparse_index_base_b: ; @_ZN9rocsparseL20bsrxmvn_17_32_kernelILj31EdlidddEEvT2_20rocsparse_direction_NS_24const_host_device_scalarIT0_EES1_PKS1_PKT1_SA_S7_PKT3_PKT4_S5_PT5_21rocsparse_index_base_b
; %bb.0:
	s_clause 0x2
	s_load_b64 s[12:13], s[0:1], 0x58
	s_load_b64 s[4:5], s[0:1], 0x8
	;; [unrolled: 1-line block ×3, first 2 shown]
	s_mov_b32 s8, s15
	s_waitcnt lgkmcnt(0)
	s_bitcmp1_b32 s13, 0
	v_dual_mov_b32 v3, s4 :: v_dual_mov_b32 v4, s5
	s_cselect_b32 s6, -1, 0
	s_delay_alu instid0(SALU_CYCLE_1)
	s_and_b32 vcc_lo, exec_lo, s6
	s_xor_b32 s6, s6, -1
	s_cbranch_vccnz .LBB94_2
; %bb.1:
	v_dual_mov_b32 v1, s4 :: v_dual_mov_b32 v2, s5
	flat_load_b64 v[3:4], v[1:2]
.LBB94_2:
	v_dual_mov_b32 v1, s2 :: v_dual_mov_b32 v2, s3
	s_and_not1_b32 vcc_lo, exec_lo, s6
	s_cbranch_vccnz .LBB94_4
; %bb.3:
	v_dual_mov_b32 v1, s2 :: v_dual_mov_b32 v2, s3
	flat_load_b64 v[1:2], v[1:2]
.LBB94_4:
	s_waitcnt vmcnt(0) lgkmcnt(0)
	v_cmp_neq_f64_e32 vcc_lo, 0, v[3:4]
	v_cmp_neq_f64_e64 s2, 1.0, v[1:2]
	s_delay_alu instid0(VALU_DEP_1) | instskip(NEXT) | instid1(SALU_CYCLE_1)
	s_or_b32 s2, vcc_lo, s2
	s_and_saveexec_b32 s3, s2
	s_cbranch_execz .LBB94_38
; %bb.5:
	s_clause 0x1
	s_load_b128 s[4:7], s[0:1], 0x18
	s_load_b64 s[10:11], s[0:1], 0x28
	s_waitcnt lgkmcnt(0)
	s_cmp_eq_u64 s[4:5], 0
	s_cbranch_scc1 .LBB94_7
; %bb.6:
	s_ashr_i32 s9, s8, 31
	s_delay_alu instid0(SALU_CYCLE_1) | instskip(NEXT) | instid1(SALU_CYCLE_1)
	s_lshl_b64 s[2:3], s[8:9], 2
	s_add_u32 s2, s4, s2
	s_addc_u32 s3, s5, s3
	s_load_b32 s2, s[2:3], 0x0
	s_waitcnt lgkmcnt(0)
	s_sub_i32 s8, s2, s12
.LBB94_7:
	s_load_b32 s3, s[0:1], 0x4
	v_mul_u32_u24_e32 v5, 0x843, v0
	v_lshlrev_b32_e32 v12, 3, v0
	s_delay_alu instid0(VALU_DEP_2) | instskip(SKIP_2) | instid1(VALU_DEP_3)
	v_lshrrev_b32_e32 v7, 16, v5
	v_mov_b32_e32 v5, 0
	v_mov_b32_e32 v6, 0
	v_mul_lo_u16 v8, v7, 31
	s_delay_alu instid0(VALU_DEP_1)
	v_sub_nc_u16 v13, v0, v8
	s_waitcnt lgkmcnt(0)
	s_cmp_eq_u32 s3, 1
	s_cselect_b32 s2, -1, 0
	s_cmp_lg_u32 s3, 1
	s_cselect_b32 s3, -1, 0
	s_ashr_i32 s9, s8, 31
	s_delay_alu instid0(SALU_CYCLE_1) | instskip(NEXT) | instid1(SALU_CYCLE_1)
	s_lshl_b64 s[4:5], s[8:9], 3
	s_add_u32 s6, s6, s4
	s_addc_u32 s7, s7, s5
	s_add_u32 s9, s6, 8
	s_addc_u32 s13, s7, 0
	;; [unrolled: 2-line block ×3, first 2 shown]
	s_cmp_eq_u64 s[10:11], 0
	s_load_b64 s[10:11], s[0:1], 0x50
	s_cselect_b32 s5, s13, s5
	s_cselect_b32 s4, s9, s4
	s_load_b64 s[18:19], s[6:7], 0x0
	s_load_b64 s[14:15], s[4:5], 0x0
	s_waitcnt lgkmcnt(0)
	v_cmp_ge_i64_e64 s4, s[18:19], s[14:15]
	s_delay_alu instid0(VALU_DEP_1)
	s_and_b32 vcc_lo, exec_lo, s4
	s_cbranch_vccnz .LBB94_12
; %bb.8:
	v_and_b32_e32 v5, 0xffff, v7
	v_cmp_lt_u32_e32 vcc_lo, 0x3c0, v0
	v_and_b32_e32 v6, 0xffff, v13
	s_clause 0x1
	s_load_b128 s[4:7], s[0:1], 0x30
	s_load_b64 s[0:1], s[0:1], 0x40
	s_sub_u32 s14, s14, s12
	v_subrev_nc_u32_e32 v7, 31, v5
	v_cndmask_b32_e64 v14, 0, 1, vcc_lo
	v_cmp_gt_u32_e32 vcc_lo, 0x3c1, v0
	s_subb_u32 s15, s15, 0
	s_sub_u32 s16, s18, s12
	v_lshlrev_b32_e32 v8, 3, v0
	s_subb_u32 s17, s19, 0
	v_cndmask_b32_e32 v5, v7, v5, vcc_lo
	s_mul_hi_u32 s9, s16, 0x1e08
	s_mul_i32 s13, s17, 0x1e08
	s_delay_alu instid0(SALU_CYCLE_1) | instskip(NEXT) | instid1(VALU_DEP_1)
	s_add_i32 s9, s9, s13
	v_cndmask_b32_e64 v7, v6, v5, s2
	v_add_co_u32 v5, s2, s18, v14
	s_delay_alu instid0(VALU_DEP_1) | instskip(SKIP_1) | instid1(VALU_DEP_2)
	v_add_co_ci_u32_e64 v6, null, s19, 0, s2
	s_mul_i32 s2, s16, 0x1e08
	v_sub_co_u32 v5, vcc_lo, v5, s12
	s_delay_alu instid0(VALU_DEP_2)
	v_subrev_co_ci_u32_e32 v6, vcc_lo, 0, v6, vcc_lo
	s_waitcnt lgkmcnt(0)
	s_add_u32 s2, s6, s2
	s_addc_u32 s6, s7, s9
	v_add_co_u32 v8, s2, s2, v8
	v_lshlrev_b64 v[10:11], 2, v[5:6]
	v_mov_b32_e32 v5, 0
	v_add_co_ci_u32_e64 v9, null, s6, 0, s2
	v_mov_b32_e32 v6, 0
	s_delay_alu instid0(VALU_DEP_4)
	v_add_co_u32 v10, vcc_lo, s4, v10
	v_add_co_ci_u32_e32 v11, vcc_lo, s5, v11, vcc_lo
	s_set_inst_prefetch_distance 0x1
	s_branch .LBB94_10
	.p2align	6
.LBB94_9:                               ;   in Loop: Header=BB94_10 Depth=1
	s_or_b32 exec_lo, exec_lo, s2
	s_add_u32 s16, s16, 1
	s_addc_u32 s17, s17, 0
	v_add_co_u32 v10, vcc_lo, v10, 4
	v_cmp_lt_i64_e64 s2, s[16:17], s[14:15]
	v_add_co_ci_u32_e32 v11, vcc_lo, 0, v11, vcc_lo
	s_delay_alu instid0(VALU_DEP_2)
	s_and_b32 vcc_lo, exec_lo, s2
	s_cbranch_vccz .LBB94_12
.LBB94_10:                              ; =>This Inner Loop Header: Depth=1
	v_add_co_u32 v15, s2, v14, s16
	s_delay_alu instid0(VALU_DEP_1) | instskip(SKIP_1) | instid1(VALU_DEP_1)
	v_add_co_ci_u32_e64 v16, null, 0, s17, s2
	s_mov_b32 s2, exec_lo
	v_cmpx_gt_i64_e64 s[14:15], v[15:16]
	s_cbranch_execz .LBB94_9
; %bb.11:                               ;   in Loop: Header=BB94_10 Depth=1
	global_load_b32 v15, v[10:11], off
	s_waitcnt vmcnt(0)
	v_subrev_nc_u32_e32 v17, s12, v15
	s_delay_alu instid0(VALU_DEP_1) | instskip(NEXT) | instid1(VALU_DEP_1)
	v_mad_u64_u32 v[15:16], null, v17, 31, v[7:8]
	v_ashrrev_i32_e32 v16, 31, v15
	s_delay_alu instid0(VALU_DEP_1) | instskip(NEXT) | instid1(VALU_DEP_1)
	v_lshlrev_b64 v[15:16], 3, v[15:16]
	v_add_co_u32 v15, vcc_lo, s0, v15
	s_delay_alu instid0(VALU_DEP_2)
	v_add_co_ci_u32_e32 v16, vcc_lo, s1, v16, vcc_lo
	global_load_b64 v[17:18], v[8:9], off
	global_load_b64 v[15:16], v[15:16], off
	v_add_co_u32 v8, vcc_lo, 0x1e08, v8
	v_add_co_ci_u32_e32 v9, vcc_lo, 0, v9, vcc_lo
	s_waitcnt vmcnt(0)
	v_fma_f64 v[5:6], v[17:18], v[15:16], v[5:6]
	s_branch .LBB94_9
.LBB94_12:
	s_set_inst_prefetch_distance 0x2
	s_and_b32 vcc_lo, exec_lo, s3
	ds_store_b64 v12, v[5:6]
	s_waitcnt lgkmcnt(0)
	s_barrier
	buffer_gl0_inv
	s_cbranch_vccz .LBB94_24
; %bb.13:
	s_mov_b32 s0, exec_lo
	v_cmpx_gt_u16_e32 15, v13
	s_cbranch_execz .LBB94_15
; %bb.14:
	ds_load_2addr_b64 v[7:10], v12 offset1:16
	s_waitcnt lgkmcnt(0)
	v_add_f64 v[7:8], v[9:10], v[7:8]
	ds_store_b64 v12, v[7:8]
.LBB94_15:
	s_or_b32 exec_lo, exec_lo, s0
	s_delay_alu instid0(SALU_CYCLE_1)
	s_mov_b32 s0, exec_lo
	s_waitcnt lgkmcnt(0)
	s_barrier
	buffer_gl0_inv
	v_cmpx_gt_u16_e32 8, v13
	s_cbranch_execz .LBB94_17
; %bb.16:
	ds_load_2addr_b64 v[7:10], v12 offset1:8
	s_waitcnt lgkmcnt(0)
	v_add_f64 v[7:8], v[9:10], v[7:8]
	ds_store_b64 v12, v[7:8]
.LBB94_17:
	s_or_b32 exec_lo, exec_lo, s0
	s_delay_alu instid0(SALU_CYCLE_1)
	s_mov_b32 s0, exec_lo
	s_waitcnt lgkmcnt(0)
	s_barrier
	buffer_gl0_inv
	;; [unrolled: 14-line block ×3, first 2 shown]
	v_cmpx_gt_u16_e32 2, v13
	s_cbranch_execz .LBB94_21
; %bb.20:
	ds_load_2addr_b64 v[7:10], v12 offset1:2
	s_waitcnt lgkmcnt(0)
	v_add_f64 v[7:8], v[9:10], v[7:8]
	ds_store_b64 v12, v[7:8]
.LBB94_21:
	s_or_b32 exec_lo, exec_lo, s0
	s_mov_b32 s1, 0
	s_mov_b32 s0, 0
	s_mov_b32 s2, exec_lo
	s_waitcnt lgkmcnt(0)
	s_barrier
	buffer_gl0_inv
                                        ; implicit-def: $vgpr7
                                        ; implicit-def: $vgpr8
	v_cmpx_gt_u32_e32 31, v0
	s_xor_b32 s2, exec_lo, s2
; %bb.22:
	v_mad_u32_u24 v7, v0, 31, 1
	v_mad_u32_u24 v8, 0xf0, v0, v12
	s_mov_b32 s0, exec_lo
; %bb.23:
	s_or_b32 exec_lo, exec_lo, s2
	s_delay_alu instid0(SALU_CYCLE_1)
	s_and_b32 vcc_lo, exec_lo, s1
	s_cbranch_vccnz .LBB94_25
	s_branch .LBB94_36
.LBB94_24:
	s_mov_b32 s0, 0
                                        ; implicit-def: $vgpr7
                                        ; implicit-def: $vgpr8
	s_cbranch_execz .LBB94_36
.LBB94_25:
	s_mov_b32 s1, exec_lo
	v_cmpx_gt_u32_e32 0x1d1, v0
	s_cbranch_execz .LBB94_27
; %bb.26:
	ds_load_b64 v[7:8], v12 offset:3968
	ds_load_b64 v[9:10], v12
	s_waitcnt lgkmcnt(0)
	v_add_f64 v[7:8], v[7:8], v[9:10]
	ds_store_b64 v12, v[7:8]
.LBB94_27:
	s_or_b32 exec_lo, exec_lo, s1
	s_delay_alu instid0(SALU_CYCLE_1)
	s_mov_b32 s1, exec_lo
	s_waitcnt lgkmcnt(0)
	s_barrier
	buffer_gl0_inv
	v_cmpx_gt_u32_e32 0xf8, v0
	s_cbranch_execz .LBB94_29
; %bb.28:
	ds_load_2addr_b64 v[7:10], v12 offset1:248
	s_waitcnt lgkmcnt(0)
	v_add_f64 v[7:8], v[9:10], v[7:8]
	ds_store_b64 v12, v[7:8]
.LBB94_29:
	s_or_b32 exec_lo, exec_lo, s1
	s_delay_alu instid0(SALU_CYCLE_1)
	s_mov_b32 s1, exec_lo
	s_waitcnt lgkmcnt(0)
	s_barrier
	buffer_gl0_inv
	v_cmpx_gt_u32_e32 0x7c, v0
	s_cbranch_execz .LBB94_31
; %bb.30:
	ds_load_2addr_b64 v[7:10], v12 offset1:124
	s_waitcnt lgkmcnt(0)
	v_add_f64 v[7:8], v[9:10], v[7:8]
	ds_store_b64 v12, v[7:8]
.LBB94_31:
	;; [unrolled: 14-line block ×3, first 2 shown]
	s_or_b32 exec_lo, exec_lo, s1
	s_delay_alu instid0(SALU_CYCLE_1)
	s_mov_b32 s1, exec_lo
	s_waitcnt lgkmcnt(0)
	buffer_gl0_inv
                                        ; implicit-def: $vgpr7
	v_cmpx_gt_u32_e32 31, v0
; %bb.34:
	v_add_nc_u32_e32 v7, 31, v0
	s_or_b32 s0, s0, exec_lo
                                        ; implicit-def: $vgpr5_vgpr6
; %bb.35:
	s_or_b32 exec_lo, exec_lo, s1
	v_mov_b32_e32 v8, v12
.LBB94_36:
	s_and_saveexec_b32 s1, s0
	s_cbranch_execnz .LBB94_39
; %bb.37:
	s_or_b32 exec_lo, exec_lo, s1
	v_cmp_gt_u32_e32 vcc_lo, 31, v0
	s_and_b32 exec_lo, exec_lo, vcc_lo
	s_cbranch_execnz .LBB94_40
.LBB94_38:
	s_nop 0
	s_sendmsg sendmsg(MSG_DEALLOC_VGPRS)
	s_endpgm
.LBB94_39:
	v_lshlrev_b32_e32 v7, 3, v7
	ds_load_b64 v[5:6], v8
	ds_load_b64 v[7:8], v7
	s_waitcnt lgkmcnt(0)
	v_add_f64 v[5:6], v[5:6], v[7:8]
	s_or_b32 exec_lo, exec_lo, s1
	v_cmp_gt_u32_e32 vcc_lo, 31, v0
	s_and_b32 exec_lo, exec_lo, vcc_lo
	s_cbranch_execz .LBB94_38
.LBB94_40:
	s_delay_alu instid0(VALU_DEP_2)
	v_mul_f64 v[3:4], v[3:4], v[5:6]
	s_mov_b32 s0, exec_lo
	v_cmpx_eq_f64_e32 0, v[1:2]
	s_xor_b32 s0, exec_lo, s0
	s_cbranch_execz .LBB94_42
; %bb.41:
	v_mad_u64_u32 v[1:2], null, s8, 31, v[0:1]
	v_mov_b32_e32 v2, 0
	s_delay_alu instid0(VALU_DEP_1) | instskip(NEXT) | instid1(VALU_DEP_1)
	v_lshlrev_b64 v[0:1], 3, v[1:2]
	v_add_co_u32 v0, vcc_lo, s10, v0
	s_delay_alu instid0(VALU_DEP_2)
	v_add_co_ci_u32_e32 v1, vcc_lo, s11, v1, vcc_lo
	global_store_b64 v[0:1], v[3:4], off
                                        ; implicit-def: $vgpr0
                                        ; implicit-def: $vgpr1_vgpr2
                                        ; implicit-def: $vgpr3_vgpr4
.LBB94_42:
	s_and_not1_saveexec_b32 s0, s0
	s_cbranch_execz .LBB94_38
; %bb.43:
	v_mad_u64_u32 v[5:6], null, s8, 31, v[0:1]
	v_mov_b32_e32 v6, 0
	s_delay_alu instid0(VALU_DEP_1) | instskip(NEXT) | instid1(VALU_DEP_1)
	v_lshlrev_b64 v[5:6], 3, v[5:6]
	v_add_co_u32 v5, vcc_lo, s10, v5
	s_delay_alu instid0(VALU_DEP_2)
	v_add_co_ci_u32_e32 v6, vcc_lo, s11, v6, vcc_lo
	global_load_b64 v[7:8], v[5:6], off
	s_waitcnt vmcnt(0)
	v_fma_f64 v[0:1], v[1:2], v[7:8], v[3:4]
	global_store_b64 v[5:6], v[0:1], off
	s_nop 0
	s_sendmsg sendmsg(MSG_DEALLOC_VGPRS)
	s_endpgm
	.section	.rodata,"a",@progbits
	.p2align	6, 0x0
	.amdhsa_kernel _ZN9rocsparseL20bsrxmvn_17_32_kernelILj31EdlidddEEvT2_20rocsparse_direction_NS_24const_host_device_scalarIT0_EES1_PKS1_PKT1_SA_S7_PKT3_PKT4_S5_PT5_21rocsparse_index_base_b
		.amdhsa_group_segment_fixed_size 7688
		.amdhsa_private_segment_fixed_size 0
		.amdhsa_kernarg_size 96
		.amdhsa_user_sgpr_count 15
		.amdhsa_user_sgpr_dispatch_ptr 0
		.amdhsa_user_sgpr_queue_ptr 0
		.amdhsa_user_sgpr_kernarg_segment_ptr 1
		.amdhsa_user_sgpr_dispatch_id 0
		.amdhsa_user_sgpr_private_segment_size 0
		.amdhsa_wavefront_size32 1
		.amdhsa_uses_dynamic_stack 0
		.amdhsa_enable_private_segment 0
		.amdhsa_system_sgpr_workgroup_id_x 1
		.amdhsa_system_sgpr_workgroup_id_y 0
		.amdhsa_system_sgpr_workgroup_id_z 0
		.amdhsa_system_sgpr_workgroup_info 0
		.amdhsa_system_vgpr_workitem_id 0
		.amdhsa_next_free_vgpr 19
		.amdhsa_next_free_sgpr 20
		.amdhsa_reserve_vcc 1
		.amdhsa_float_round_mode_32 0
		.amdhsa_float_round_mode_16_64 0
		.amdhsa_float_denorm_mode_32 3
		.amdhsa_float_denorm_mode_16_64 3
		.amdhsa_dx10_clamp 1
		.amdhsa_ieee_mode 1
		.amdhsa_fp16_overflow 0
		.amdhsa_workgroup_processor_mode 1
		.amdhsa_memory_ordered 1
		.amdhsa_forward_progress 0
		.amdhsa_shared_vgpr_count 0
		.amdhsa_exception_fp_ieee_invalid_op 0
		.amdhsa_exception_fp_denorm_src 0
		.amdhsa_exception_fp_ieee_div_zero 0
		.amdhsa_exception_fp_ieee_overflow 0
		.amdhsa_exception_fp_ieee_underflow 0
		.amdhsa_exception_fp_ieee_inexact 0
		.amdhsa_exception_int_div_zero 0
	.end_amdhsa_kernel
	.section	.text._ZN9rocsparseL20bsrxmvn_17_32_kernelILj31EdlidddEEvT2_20rocsparse_direction_NS_24const_host_device_scalarIT0_EES1_PKS1_PKT1_SA_S7_PKT3_PKT4_S5_PT5_21rocsparse_index_base_b,"axG",@progbits,_ZN9rocsparseL20bsrxmvn_17_32_kernelILj31EdlidddEEvT2_20rocsparse_direction_NS_24const_host_device_scalarIT0_EES1_PKS1_PKT1_SA_S7_PKT3_PKT4_S5_PT5_21rocsparse_index_base_b,comdat
.Lfunc_end94:
	.size	_ZN9rocsparseL20bsrxmvn_17_32_kernelILj31EdlidddEEvT2_20rocsparse_direction_NS_24const_host_device_scalarIT0_EES1_PKS1_PKT1_SA_S7_PKT3_PKT4_S5_PT5_21rocsparse_index_base_b, .Lfunc_end94-_ZN9rocsparseL20bsrxmvn_17_32_kernelILj31EdlidddEEvT2_20rocsparse_direction_NS_24const_host_device_scalarIT0_EES1_PKS1_PKT1_SA_S7_PKT3_PKT4_S5_PT5_21rocsparse_index_base_b
                                        ; -- End function
	.section	.AMDGPU.csdata,"",@progbits
; Kernel info:
; codeLenInByte = 1712
; NumSgprs: 22
; NumVgprs: 19
; ScratchSize: 0
; MemoryBound: 0
; FloatMode: 240
; IeeeMode: 1
; LDSByteSize: 7688 bytes/workgroup (compile time only)
; SGPRBlocks: 2
; VGPRBlocks: 2
; NumSGPRsForWavesPerEU: 22
; NumVGPRsForWavesPerEU: 19
; Occupancy: 16
; WaveLimiterHint : 1
; COMPUTE_PGM_RSRC2:SCRATCH_EN: 0
; COMPUTE_PGM_RSRC2:USER_SGPR: 15
; COMPUTE_PGM_RSRC2:TRAP_HANDLER: 0
; COMPUTE_PGM_RSRC2:TGID_X_EN: 1
; COMPUTE_PGM_RSRC2:TGID_Y_EN: 0
; COMPUTE_PGM_RSRC2:TGID_Z_EN: 0
; COMPUTE_PGM_RSRC2:TIDIG_COMP_CNT: 0
	.section	.text._ZN9rocsparseL20bsrxmvn_17_32_kernelILj32EdlidddEEvT2_20rocsparse_direction_NS_24const_host_device_scalarIT0_EES1_PKS1_PKT1_SA_S7_PKT3_PKT4_S5_PT5_21rocsparse_index_base_b,"axG",@progbits,_ZN9rocsparseL20bsrxmvn_17_32_kernelILj32EdlidddEEvT2_20rocsparse_direction_NS_24const_host_device_scalarIT0_EES1_PKS1_PKT1_SA_S7_PKT3_PKT4_S5_PT5_21rocsparse_index_base_b,comdat
	.globl	_ZN9rocsparseL20bsrxmvn_17_32_kernelILj32EdlidddEEvT2_20rocsparse_direction_NS_24const_host_device_scalarIT0_EES1_PKS1_PKT1_SA_S7_PKT3_PKT4_S5_PT5_21rocsparse_index_base_b ; -- Begin function _ZN9rocsparseL20bsrxmvn_17_32_kernelILj32EdlidddEEvT2_20rocsparse_direction_NS_24const_host_device_scalarIT0_EES1_PKS1_PKT1_SA_S7_PKT3_PKT4_S5_PT5_21rocsparse_index_base_b
	.p2align	8
	.type	_ZN9rocsparseL20bsrxmvn_17_32_kernelILj32EdlidddEEvT2_20rocsparse_direction_NS_24const_host_device_scalarIT0_EES1_PKS1_PKT1_SA_S7_PKT3_PKT4_S5_PT5_21rocsparse_index_base_b,@function
_ZN9rocsparseL20bsrxmvn_17_32_kernelILj32EdlidddEEvT2_20rocsparse_direction_NS_24const_host_device_scalarIT0_EES1_PKS1_PKT1_SA_S7_PKT3_PKT4_S5_PT5_21rocsparse_index_base_b: ; @_ZN9rocsparseL20bsrxmvn_17_32_kernelILj32EdlidddEEvT2_20rocsparse_direction_NS_24const_host_device_scalarIT0_EES1_PKS1_PKT1_SA_S7_PKT3_PKT4_S5_PT5_21rocsparse_index_base_b
; %bb.0:
	s_clause 0x2
	s_load_b64 s[10:11], s[0:1], 0x58
	s_load_b64 s[4:5], s[0:1], 0x8
	;; [unrolled: 1-line block ×3, first 2 shown]
	s_mov_b32 s8, s15
	s_waitcnt lgkmcnt(0)
	s_bitcmp1_b32 s11, 0
	v_dual_mov_b32 v3, s4 :: v_dual_mov_b32 v4, s5
	s_cselect_b32 s6, -1, 0
	s_delay_alu instid0(SALU_CYCLE_1)
	s_and_b32 vcc_lo, exec_lo, s6
	s_xor_b32 s6, s6, -1
	s_cbranch_vccnz .LBB95_2
; %bb.1:
	v_dual_mov_b32 v1, s4 :: v_dual_mov_b32 v2, s5
	flat_load_b64 v[3:4], v[1:2]
.LBB95_2:
	v_dual_mov_b32 v1, s2 :: v_dual_mov_b32 v2, s3
	s_and_not1_b32 vcc_lo, exec_lo, s6
	s_cbranch_vccnz .LBB95_4
; %bb.3:
	v_dual_mov_b32 v1, s2 :: v_dual_mov_b32 v2, s3
	flat_load_b64 v[1:2], v[1:2]
.LBB95_4:
	s_waitcnt vmcnt(0) lgkmcnt(0)
	v_cmp_neq_f64_e32 vcc_lo, 0, v[3:4]
	v_cmp_neq_f64_e64 s2, 1.0, v[1:2]
	s_delay_alu instid0(VALU_DEP_1) | instskip(NEXT) | instid1(SALU_CYCLE_1)
	s_or_b32 s2, vcc_lo, s2
	s_and_saveexec_b32 s3, s2
	s_cbranch_execz .LBB95_36
; %bb.5:
	s_clause 0x1
	s_load_b128 s[4:7], s[0:1], 0x18
	s_load_b64 s[12:13], s[0:1], 0x28
	s_waitcnt lgkmcnt(0)
	s_cmp_eq_u64 s[4:5], 0
	s_cbranch_scc1 .LBB95_7
; %bb.6:
	s_ashr_i32 s9, s8, 31
	s_delay_alu instid0(SALU_CYCLE_1) | instskip(NEXT) | instid1(SALU_CYCLE_1)
	s_lshl_b64 s[2:3], s[8:9], 2
	s_add_u32 s2, s4, s2
	s_addc_u32 s3, s5, s3
	s_load_b32 s2, s[2:3], 0x0
	s_waitcnt lgkmcnt(0)
	s_sub_i32 s8, s2, s10
.LBB95_7:
	s_load_b32 s3, s[0:1], 0x4
	v_mov_b32_e32 v5, 0
	v_dual_mov_b32 v6, 0 :: v_dual_and_b32 v9, 31, v0
	s_waitcnt lgkmcnt(0)
	s_cmp_eq_u32 s3, 1
	s_cselect_b32 s2, -1, 0
	s_cmp_lg_u32 s3, 1
	s_cselect_b32 s16, -1, 0
	s_ashr_i32 s9, s8, 31
	s_delay_alu instid0(SALU_CYCLE_1) | instskip(NEXT) | instid1(SALU_CYCLE_1)
	s_lshl_b64 s[4:5], s[8:9], 3
	s_add_u32 s6, s6, s4
	s_addc_u32 s7, s7, s5
	s_add_u32 s3, s6, 8
	s_addc_u32 s9, s7, 0
	s_add_u32 s4, s12, s4
	s_addc_u32 s5, s13, s5
	s_cmp_eq_u64 s[12:13], 0
	s_cselect_b32 s5, s9, s5
	s_cselect_b32 s4, s3, s4
	s_load_b64 s[14:15], s[6:7], 0x0
	s_load_b64 s[6:7], s[4:5], 0x0
	;; [unrolled: 1-line block ×3, first 2 shown]
	s_waitcnt lgkmcnt(0)
	v_cmp_ge_i64_e64 s3, s[14:15], s[6:7]
	s_delay_alu instid0(VALU_DEP_1)
	s_and_b32 vcc_lo, exec_lo, s3
	s_cbranch_vccnz .LBB95_10
; %bb.8:
	s_clause 0x1
	s_load_b128 s[20:23], s[0:1], 0x30
	s_load_b64 s[0:1], s[0:1], 0x40
	s_sub_u32 s6, s6, s10
	s_subb_u32 s7, s7, 0
	s_sub_u32 s12, s14, s10
	s_subb_u32 s13, s15, 0
	v_lshrrev_b32_e32 v7, 5, v0
	s_lshl_b64 s[18:19], s[12:13], 13
	v_mov_b32_e32 v5, 0
	v_lshl_or_b32 v8, v0, 3, s18
	v_dual_mov_b32 v6, 0 :: v_dual_mov_b32 v11, s19
	s_mov_b32 s11, 0
	s_lshl_b64 s[14:15], s[14:15], 2
	s_lshl_b64 s[24:25], s[10:11], 2
	v_cndmask_b32_e64 v10, v9, v7, s2
	s_sub_u32 s2, s14, s24
	s_subb_u32 s3, s15, s25
	s_waitcnt lgkmcnt(0)
	v_add_co_u32 v7, vcc_lo, s22, v8
	v_add_co_ci_u32_e32 v8, vcc_lo, s23, v11, vcc_lo
	s_add_u32 s2, s20, s2
	s_addc_u32 s3, s21, s3
	.p2align	6
.LBB95_9:                               ; =>This Inner Loop Header: Depth=1
	s_load_b32 s9, s[2:3], 0x0
	s_waitcnt lgkmcnt(0)
	s_sub_i32 s9, s9, s10
	s_add_u32 s12, s12, 1
	v_lshl_or_b32 v11, s9, 5, v10
	s_addc_u32 s13, s13, 0
	s_add_u32 s2, s2, 4
	v_cmp_lt_i64_e64 s9, s[12:13], s[6:7]
	s_addc_u32 s3, s3, 0
	v_ashrrev_i32_e32 v12, 31, v11
	s_delay_alu instid0(VALU_DEP_1) | instskip(NEXT) | instid1(VALU_DEP_1)
	v_lshlrev_b64 v[11:12], 3, v[11:12]
	v_add_co_u32 v11, vcc_lo, s0, v11
	s_delay_alu instid0(VALU_DEP_2)
	v_add_co_ci_u32_e32 v12, vcc_lo, s1, v12, vcc_lo
	global_load_b64 v[13:14], v[7:8], off
	global_load_b64 v[11:12], v[11:12], off
	v_add_co_u32 v7, vcc_lo, 0x2000, v7
	v_add_co_ci_u32_e32 v8, vcc_lo, 0, v8, vcc_lo
	s_and_b32 vcc_lo, exec_lo, s9
	s_waitcnt vmcnt(0)
	v_fma_f64 v[5:6], v[13:14], v[11:12], v[5:6]
	s_cbranch_vccnz .LBB95_9
.LBB95_10:
	v_lshlrev_b32_e32 v7, 3, v0
	s_and_b32 vcc_lo, exec_lo, s16
	ds_store_b64 v7, v[5:6]
	s_waitcnt lgkmcnt(0)
	s_barrier
	buffer_gl0_inv
	s_cbranch_vccz .LBB95_22
; %bb.11:
	s_mov_b32 s0, exec_lo
	v_cmpx_gt_u32_e32 16, v9
	s_cbranch_execz .LBB95_13
; %bb.12:
	ds_load_2addr_b64 v[10:13], v7 offset1:16
	s_waitcnt lgkmcnt(0)
	v_add_f64 v[10:11], v[12:13], v[10:11]
	ds_store_b64 v7, v[10:11]
.LBB95_13:
	s_or_b32 exec_lo, exec_lo, s0
	s_delay_alu instid0(SALU_CYCLE_1)
	s_mov_b32 s0, exec_lo
	s_waitcnt lgkmcnt(0)
	s_barrier
	buffer_gl0_inv
	v_cmpx_gt_u32_e32 8, v9
	s_cbranch_execz .LBB95_15
; %bb.14:
	ds_load_2addr_b64 v[10:13], v7 offset1:8
	s_waitcnt lgkmcnt(0)
	v_add_f64 v[10:11], v[12:13], v[10:11]
	ds_store_b64 v7, v[10:11]
.LBB95_15:
	s_or_b32 exec_lo, exec_lo, s0
	s_delay_alu instid0(SALU_CYCLE_1)
	s_mov_b32 s0, exec_lo
	s_waitcnt lgkmcnt(0)
	s_barrier
	buffer_gl0_inv
	;; [unrolled: 14-line block ×3, first 2 shown]
	v_cmpx_gt_u32_e32 2, v9
	s_cbranch_execz .LBB95_19
; %bb.18:
	ds_load_2addr_b64 v[8:11], v7 offset1:2
	s_waitcnt lgkmcnt(0)
	v_add_f64 v[8:9], v[10:11], v[8:9]
	ds_store_b64 v7, v[8:9]
.LBB95_19:
	s_or_b32 exec_lo, exec_lo, s0
	s_mov_b32 s1, 0
	s_mov_b32 s0, 0
	s_mov_b32 s2, exec_lo
	s_waitcnt lgkmcnt(0)
	s_barrier
	buffer_gl0_inv
                                        ; implicit-def: $vgpr8
                                        ; implicit-def: $vgpr9
	v_cmpx_gt_u32_e32 32, v0
	s_xor_b32 s2, exec_lo, s2
; %bb.20:
	v_lshl_or_b32 v8, v0, 5, 1
	v_mad_u32_u24 v9, 0xf8, v0, v7
	s_mov_b32 s0, exec_lo
; %bb.21:
	s_or_b32 exec_lo, exec_lo, s2
	s_delay_alu instid0(SALU_CYCLE_1)
	s_and_b32 vcc_lo, exec_lo, s1
	s_cbranch_vccnz .LBB95_23
	s_branch .LBB95_34
.LBB95_22:
	s_mov_b32 s0, 0
                                        ; implicit-def: $vgpr8
                                        ; implicit-def: $vgpr9
	s_cbranch_execz .LBB95_34
.LBB95_23:
	s_mov_b32 s1, exec_lo
	v_cmpx_gt_u32_e32 0x200, v0
	s_cbranch_execz .LBB95_25
; %bb.24:
	ds_load_2addr_stride64_b64 v[8:11], v7 offset1:8
	s_waitcnt lgkmcnt(0)
	v_add_f64 v[8:9], v[10:11], v[8:9]
	ds_store_b64 v7, v[8:9]
.LBB95_25:
	s_or_b32 exec_lo, exec_lo, s1
	s_delay_alu instid0(SALU_CYCLE_1)
	s_mov_b32 s1, exec_lo
	s_waitcnt lgkmcnt(0)
	s_barrier
	buffer_gl0_inv
	v_cmpx_gt_u32_e32 0x100, v0
	s_cbranch_execz .LBB95_27
; %bb.26:
	ds_load_2addr_stride64_b64 v[8:11], v7 offset1:4
	s_waitcnt lgkmcnt(0)
	v_add_f64 v[8:9], v[10:11], v[8:9]
	ds_store_b64 v7, v[8:9]
.LBB95_27:
	s_or_b32 exec_lo, exec_lo, s1
	s_delay_alu instid0(SALU_CYCLE_1)
	s_mov_b32 s1, exec_lo
	s_waitcnt lgkmcnt(0)
	s_barrier
	buffer_gl0_inv
	;; [unrolled: 14-line block ×3, first 2 shown]
	v_cmpx_gt_u32_e32 64, v0
	s_cbranch_execz .LBB95_31
; %bb.30:
	ds_load_2addr_stride64_b64 v[8:11], v7 offset1:1
	s_waitcnt lgkmcnt(0)
	v_add_f64 v[8:9], v[10:11], v[8:9]
	ds_store_b64 v7, v[8:9]
.LBB95_31:
	s_or_b32 exec_lo, exec_lo, s1
	s_delay_alu instid0(SALU_CYCLE_1)
	s_mov_b32 s1, exec_lo
	s_waitcnt lgkmcnt(0)
	buffer_gl0_inv
                                        ; implicit-def: $vgpr8
	v_cmpx_gt_u32_e32 32, v0
; %bb.32:
	v_or_b32_e32 v8, 32, v0
	s_or_b32 s0, s0, exec_lo
                                        ; implicit-def: $vgpr5_vgpr6
; %bb.33:
	s_or_b32 exec_lo, exec_lo, s1
	v_mov_b32_e32 v9, v7
.LBB95_34:
	s_and_saveexec_b32 s1, s0
	s_cbranch_execnz .LBB95_37
; %bb.35:
	s_or_b32 exec_lo, exec_lo, s1
	v_cmp_gt_u32_e32 vcc_lo, 32, v0
	s_and_b32 exec_lo, exec_lo, vcc_lo
	s_cbranch_execnz .LBB95_38
.LBB95_36:
	s_nop 0
	s_sendmsg sendmsg(MSG_DEALLOC_VGPRS)
	s_endpgm
.LBB95_37:
	v_lshlrev_b32_e32 v7, 3, v8
	ds_load_b64 v[5:6], v9
	ds_load_b64 v[7:8], v7
	s_waitcnt lgkmcnt(0)
	v_add_f64 v[5:6], v[5:6], v[7:8]
	s_or_b32 exec_lo, exec_lo, s1
	v_cmp_gt_u32_e32 vcc_lo, 32, v0
	s_and_b32 exec_lo, exec_lo, vcc_lo
	s_cbranch_execz .LBB95_36
.LBB95_38:
	s_delay_alu instid0(VALU_DEP_2)
	v_mul_f64 v[3:4], v[3:4], v[5:6]
	v_lshl_or_b32 v5, s8, 5, v0
	s_mov_b32 s0, exec_lo
	v_cmpx_eq_f64_e32 0, v[1:2]
	s_xor_b32 s0, exec_lo, s0
	s_cbranch_execz .LBB95_40
; %bb.39:
	v_mov_b32_e32 v6, 0
	s_delay_alu instid0(VALU_DEP_1) | instskip(NEXT) | instid1(VALU_DEP_1)
	v_lshlrev_b64 v[0:1], 3, v[5:6]
                                        ; implicit-def: $vgpr5
	v_add_co_u32 v0, vcc_lo, s4, v0
	s_delay_alu instid0(VALU_DEP_2)
	v_add_co_ci_u32_e32 v1, vcc_lo, s5, v1, vcc_lo
	global_store_b64 v[0:1], v[3:4], off
                                        ; implicit-def: $vgpr1_vgpr2
                                        ; implicit-def: $vgpr3_vgpr4
.LBB95_40:
	s_and_not1_saveexec_b32 s0, s0
	s_cbranch_execz .LBB95_36
; %bb.41:
	v_mov_b32_e32 v6, 0
	s_delay_alu instid0(VALU_DEP_1) | instskip(NEXT) | instid1(VALU_DEP_1)
	v_lshlrev_b64 v[5:6], 3, v[5:6]
	v_add_co_u32 v5, vcc_lo, s4, v5
	s_delay_alu instid0(VALU_DEP_2)
	v_add_co_ci_u32_e32 v6, vcc_lo, s5, v6, vcc_lo
	global_load_b64 v[7:8], v[5:6], off
	s_waitcnt vmcnt(0)
	v_fma_f64 v[0:1], v[1:2], v[7:8], v[3:4]
	global_store_b64 v[5:6], v[0:1], off
	s_nop 0
	s_sendmsg sendmsg(MSG_DEALLOC_VGPRS)
	s_endpgm
	.section	.rodata,"a",@progbits
	.p2align	6, 0x0
	.amdhsa_kernel _ZN9rocsparseL20bsrxmvn_17_32_kernelILj32EdlidddEEvT2_20rocsparse_direction_NS_24const_host_device_scalarIT0_EES1_PKS1_PKT1_SA_S7_PKT3_PKT4_S5_PT5_21rocsparse_index_base_b
		.amdhsa_group_segment_fixed_size 8192
		.amdhsa_private_segment_fixed_size 0
		.amdhsa_kernarg_size 96
		.amdhsa_user_sgpr_count 15
		.amdhsa_user_sgpr_dispatch_ptr 0
		.amdhsa_user_sgpr_queue_ptr 0
		.amdhsa_user_sgpr_kernarg_segment_ptr 1
		.amdhsa_user_sgpr_dispatch_id 0
		.amdhsa_user_sgpr_private_segment_size 0
		.amdhsa_wavefront_size32 1
		.amdhsa_uses_dynamic_stack 0
		.amdhsa_enable_private_segment 0
		.amdhsa_system_sgpr_workgroup_id_x 1
		.amdhsa_system_sgpr_workgroup_id_y 0
		.amdhsa_system_sgpr_workgroup_id_z 0
		.amdhsa_system_sgpr_workgroup_info 0
		.amdhsa_system_vgpr_workitem_id 0
		.amdhsa_next_free_vgpr 15
		.amdhsa_next_free_sgpr 26
		.amdhsa_reserve_vcc 1
		.amdhsa_float_round_mode_32 0
		.amdhsa_float_round_mode_16_64 0
		.amdhsa_float_denorm_mode_32 3
		.amdhsa_float_denorm_mode_16_64 3
		.amdhsa_dx10_clamp 1
		.amdhsa_ieee_mode 1
		.amdhsa_fp16_overflow 0
		.amdhsa_workgroup_processor_mode 1
		.amdhsa_memory_ordered 1
		.amdhsa_forward_progress 0
		.amdhsa_shared_vgpr_count 0
		.amdhsa_exception_fp_ieee_invalid_op 0
		.amdhsa_exception_fp_denorm_src 0
		.amdhsa_exception_fp_ieee_div_zero 0
		.amdhsa_exception_fp_ieee_overflow 0
		.amdhsa_exception_fp_ieee_underflow 0
		.amdhsa_exception_fp_ieee_inexact 0
		.amdhsa_exception_int_div_zero 0
	.end_amdhsa_kernel
	.section	.text._ZN9rocsparseL20bsrxmvn_17_32_kernelILj32EdlidddEEvT2_20rocsparse_direction_NS_24const_host_device_scalarIT0_EES1_PKS1_PKT1_SA_S7_PKT3_PKT4_S5_PT5_21rocsparse_index_base_b,"axG",@progbits,_ZN9rocsparseL20bsrxmvn_17_32_kernelILj32EdlidddEEvT2_20rocsparse_direction_NS_24const_host_device_scalarIT0_EES1_PKS1_PKT1_SA_S7_PKT3_PKT4_S5_PT5_21rocsparse_index_base_b,comdat
.Lfunc_end95:
	.size	_ZN9rocsparseL20bsrxmvn_17_32_kernelILj32EdlidddEEvT2_20rocsparse_direction_NS_24const_host_device_scalarIT0_EES1_PKS1_PKT1_SA_S7_PKT3_PKT4_S5_PT5_21rocsparse_index_base_b, .Lfunc_end95-_ZN9rocsparseL20bsrxmvn_17_32_kernelILj32EdlidddEEvT2_20rocsparse_direction_NS_24const_host_device_scalarIT0_EES1_PKS1_PKT1_SA_S7_PKT3_PKT4_S5_PT5_21rocsparse_index_base_b
                                        ; -- End function
	.section	.AMDGPU.csdata,"",@progbits
; Kernel info:
; codeLenInByte = 1488
; NumSgprs: 28
; NumVgprs: 15
; ScratchSize: 0
; MemoryBound: 0
; FloatMode: 240
; IeeeMode: 1
; LDSByteSize: 8192 bytes/workgroup (compile time only)
; SGPRBlocks: 3
; VGPRBlocks: 1
; NumSGPRsForWavesPerEU: 28
; NumVGPRsForWavesPerEU: 15
; Occupancy: 16
; WaveLimiterHint : 1
; COMPUTE_PGM_RSRC2:SCRATCH_EN: 0
; COMPUTE_PGM_RSRC2:USER_SGPR: 15
; COMPUTE_PGM_RSRC2:TRAP_HANDLER: 0
; COMPUTE_PGM_RSRC2:TGID_X_EN: 1
; COMPUTE_PGM_RSRC2:TGID_Y_EN: 0
; COMPUTE_PGM_RSRC2:TGID_Z_EN: 0
; COMPUTE_PGM_RSRC2:TIDIG_COMP_CNT: 0
	.section	.text._ZN9rocsparseL20bsrxmvn_17_32_kernelILj17E21rocsparse_complex_numIfEliS2_S2_S2_EEvT2_20rocsparse_direction_NS_24const_host_device_scalarIT0_EES3_PKS3_PKT1_SC_S9_PKT3_PKT4_S7_PT5_21rocsparse_index_base_b,"axG",@progbits,_ZN9rocsparseL20bsrxmvn_17_32_kernelILj17E21rocsparse_complex_numIfEliS2_S2_S2_EEvT2_20rocsparse_direction_NS_24const_host_device_scalarIT0_EES3_PKS3_PKT1_SC_S9_PKT3_PKT4_S7_PT5_21rocsparse_index_base_b,comdat
	.globl	_ZN9rocsparseL20bsrxmvn_17_32_kernelILj17E21rocsparse_complex_numIfEliS2_S2_S2_EEvT2_20rocsparse_direction_NS_24const_host_device_scalarIT0_EES3_PKS3_PKT1_SC_S9_PKT3_PKT4_S7_PT5_21rocsparse_index_base_b ; -- Begin function _ZN9rocsparseL20bsrxmvn_17_32_kernelILj17E21rocsparse_complex_numIfEliS2_S2_S2_EEvT2_20rocsparse_direction_NS_24const_host_device_scalarIT0_EES3_PKS3_PKT1_SC_S9_PKT3_PKT4_S7_PT5_21rocsparse_index_base_b
	.p2align	8
	.type	_ZN9rocsparseL20bsrxmvn_17_32_kernelILj17E21rocsparse_complex_numIfEliS2_S2_S2_EEvT2_20rocsparse_direction_NS_24const_host_device_scalarIT0_EES3_PKS3_PKT1_SC_S9_PKT3_PKT4_S7_PT5_21rocsparse_index_base_b,@function
_ZN9rocsparseL20bsrxmvn_17_32_kernelILj17E21rocsparse_complex_numIfEliS2_S2_S2_EEvT2_20rocsparse_direction_NS_24const_host_device_scalarIT0_EES3_PKS3_PKT1_SC_S9_PKT3_PKT4_S7_PT5_21rocsparse_index_base_b: ; @_ZN9rocsparseL20bsrxmvn_17_32_kernelILj17E21rocsparse_complex_numIfEliS2_S2_S2_EEvT2_20rocsparse_direction_NS_24const_host_device_scalarIT0_EES3_PKS3_PKT1_SC_S9_PKT3_PKT4_S7_PT5_21rocsparse_index_base_b
; %bb.0:
	s_clause 0x2
	s_load_b64 s[12:13], s[0:1], 0x58
	s_load_b64 s[4:5], s[0:1], 0x8
	;; [unrolled: 1-line block ×3, first 2 shown]
	s_mov_b32 s8, s15
	s_waitcnt lgkmcnt(0)
	s_bitcmp1_b32 s13, 0
	v_mov_b32_e32 v10, s4
	s_cselect_b32 s6, -1, 0
	s_delay_alu instid0(SALU_CYCLE_1)
	s_and_b32 vcc_lo, exec_lo, s6
	s_xor_b32 s6, s6, -1
	s_cbranch_vccz .LBB96_15
; %bb.1:
	v_cndmask_b32_e64 v1, 0, 1, s6
	v_mov_b32_e32 v11, s5
	s_and_not1_b32 vcc_lo, exec_lo, s6
	s_cbranch_vccz .LBB96_16
.LBB96_2:
	s_delay_alu instid0(VALU_DEP_2)
	v_cmp_ne_u32_e32 vcc_lo, 1, v1
	v_mov_b32_e32 v8, s2
	s_cbranch_vccz .LBB96_17
.LBB96_3:
	v_cmp_ne_u32_e32 vcc_lo, 1, v1
	v_mov_b32_e32 v9, s3
	s_cbranch_vccnz .LBB96_5
.LBB96_4:
	v_dual_mov_b32 v1, s2 :: v_dual_mov_b32 v2, s3
	flat_load_b32 v9, v[1:2] offset:4
.LBB96_5:
	s_waitcnt vmcnt(0) lgkmcnt(0)
	v_cmp_eq_f32_e32 vcc_lo, 0, v10
	v_cmp_eq_f32_e64 s2, 0, v11
	s_delay_alu instid0(VALU_DEP_1)
	s_and_b32 s4, vcc_lo, s2
	s_mov_b32 s2, -1
	s_and_saveexec_b32 s3, s4
; %bb.6:
	v_cmp_neq_f32_e32 vcc_lo, 1.0, v8
	v_cmp_neq_f32_e64 s2, 0, v9
	s_delay_alu instid0(VALU_DEP_1) | instskip(NEXT) | instid1(SALU_CYCLE_1)
	s_or_b32 s2, vcc_lo, s2
	s_or_not1_b32 s2, s2, exec_lo
; %bb.7:
	s_or_b32 exec_lo, exec_lo, s3
	s_and_saveexec_b32 s3, s2
	s_cbranch_execz .LBB96_44
; %bb.8:
	s_clause 0x1
	s_load_b128 s[4:7], s[0:1], 0x18
	s_load_b64 s[10:11], s[0:1], 0x28
	s_waitcnt lgkmcnt(0)
	s_cmp_eq_u64 s[4:5], 0
	s_cbranch_scc1 .LBB96_10
; %bb.9:
	s_ashr_i32 s9, s8, 31
	s_delay_alu instid0(SALU_CYCLE_1) | instskip(NEXT) | instid1(SALU_CYCLE_1)
	s_lshl_b64 s[2:3], s[8:9], 2
	s_add_u32 s2, s4, s2
	s_addc_u32 s3, s5, s3
	s_load_b32 s2, s[2:3], 0x0
	s_waitcnt lgkmcnt(0)
	s_sub_i32 s8, s2, s12
.LBB96_10:
	s_load_b32 s3, s[0:1], 0x4
	v_mul_u32_u24_e32 v1, 0xf10, v0
	v_mov_b32_e32 v2, 0
	v_lshlrev_b32_e32 v12, 3, v0
	s_delay_alu instid0(VALU_DEP_3) | instskip(NEXT) | instid1(VALU_DEP_1)
	v_lshrrev_b32_e32 v3, 16, v1
	v_mul_lo_u16 v1, v3, 17
	s_delay_alu instid0(VALU_DEP_1)
	v_sub_nc_u16 v13, v0, v1
	v_mov_b32_e32 v1, 0
	s_waitcnt lgkmcnt(0)
	s_cmp_eq_u32 s3, 1
	s_cselect_b32 s2, -1, 0
	s_cmp_lg_u32 s3, 1
	s_cselect_b32 s3, -1, 0
	s_ashr_i32 s9, s8, 31
	s_delay_alu instid0(SALU_CYCLE_1) | instskip(NEXT) | instid1(SALU_CYCLE_1)
	s_lshl_b64 s[4:5], s[8:9], 3
	s_add_u32 s6, s6, s4
	s_addc_u32 s7, s7, s5
	s_add_u32 s9, s6, 8
	s_addc_u32 s13, s7, 0
	s_add_u32 s4, s10, s4
	s_addc_u32 s5, s11, s5
	s_cmp_eq_u64 s[10:11], 0
	s_load_b64 s[10:11], s[0:1], 0x50
	s_cselect_b32 s5, s13, s5
	s_cselect_b32 s4, s9, s4
	s_load_b64 s[18:19], s[6:7], 0x0
	s_load_b64 s[14:15], s[4:5], 0x0
	s_waitcnt lgkmcnt(0)
	v_cmp_ge_i64_e64 s4, s[18:19], s[14:15]
	s_delay_alu instid0(VALU_DEP_1)
	s_and_b32 vcc_lo, exec_lo, s4
	s_cbranch_vccnz .LBB96_18
; %bb.11:
	v_mul_lo_u16 v1, v3, 31
	v_and_b32_e32 v2, 0xffff, v0
	s_sub_u32 s14, s14, s12
	s_subb_u32 s15, s15, 0
	s_sub_u32 s16, s18, s12
	v_lshrrev_b16 v1, 9, v1
	v_mul_u32_u24_e32 v2, 0xe3, v2
	s_subb_u32 s17, s19, 0
	s_clause 0x1
	s_load_b128 s[4:7], s[0:1], 0x30
	s_load_b64 s[0:1], s[0:1], 0x40
	s_mul_hi_u32 s9, s16, 0x908
	v_mul_lo_u16 v1, v1, 17
	v_lshrrev_b32_e32 v14, 16, v2
	s_mul_i32 s13, s17, 0x908
	v_and_b32_e32 v4, 0xffff, v13
	s_add_i32 s9, s9, s13
	v_sub_nc_u16 v1, v3, v1
	v_add_co_u32 v2, s13, s18, v14
	s_delay_alu instid0(VALU_DEP_1) | instskip(NEXT) | instid1(VALU_DEP_3)
	v_add_co_ci_u32_e64 v5, null, s19, 0, s13
	v_and_b32_e32 v1, 0xff, v1
	s_mul_i32 s20, s16, 0x908
	s_delay_alu instid0(VALU_DEP_1)
	v_cndmask_b32_e64 v3, v4, v1, s2
	v_sub_co_u32 v4, vcc_lo, v2, s12
	v_mov_b32_e32 v2, 0
	v_subrev_co_ci_u32_e32 v5, vcc_lo, 0, v5, vcc_lo
	v_lshlrev_b32_e32 v1, 3, v0
	s_waitcnt lgkmcnt(0)
	s_add_u32 s2, s6, s20
	s_addc_u32 s6, s7, s9
	v_lshlrev_b64 v[6:7], 2, v[4:5]
	v_add_co_u32 v4, s2, s2, v1
	s_delay_alu instid0(VALU_DEP_1) | instskip(NEXT) | instid1(VALU_DEP_3)
	v_add_co_ci_u32_e64 v5, null, s6, 0, s2
	v_add_co_u32 v6, vcc_lo, s4, v6
	s_delay_alu instid0(VALU_DEP_4)
	v_add_co_ci_u32_e32 v7, vcc_lo, s5, v7, vcc_lo
	v_mov_b32_e32 v1, v2
	s_set_inst_prefetch_distance 0x1
	s_branch .LBB96_13
	.p2align	6
.LBB96_12:                              ;   in Loop: Header=BB96_13 Depth=1
	s_or_b32 exec_lo, exec_lo, s2
	s_add_u32 s16, s16, 1
	s_addc_u32 s17, s17, 0
	v_add_co_u32 v6, vcc_lo, v6, 4
	v_cmp_lt_i64_e64 s2, s[16:17], s[14:15]
	v_add_co_ci_u32_e32 v7, vcc_lo, 0, v7, vcc_lo
	s_delay_alu instid0(VALU_DEP_2)
	s_and_b32 vcc_lo, exec_lo, s2
	s_cbranch_vccz .LBB96_18
.LBB96_13:                              ; =>This Inner Loop Header: Depth=1
	v_add_co_u32 v15, s2, v14, s16
	s_delay_alu instid0(VALU_DEP_1) | instskip(SKIP_1) | instid1(VALU_DEP_1)
	v_add_co_ci_u32_e64 v16, null, 0, s17, s2
	s_mov_b32 s2, exec_lo
	v_cmpx_gt_i64_e64 s[14:15], v[15:16]
	s_cbranch_execz .LBB96_12
; %bb.14:                               ;   in Loop: Header=BB96_13 Depth=1
	global_load_b32 v15, v[6:7], off
	s_waitcnt vmcnt(0)
	v_subrev_nc_u32_e32 v17, s12, v15
	s_delay_alu instid0(VALU_DEP_1) | instskip(NEXT) | instid1(VALU_DEP_1)
	v_mad_u64_u32 v[15:16], null, v17, 17, v[3:4]
	v_ashrrev_i32_e32 v16, 31, v15
	s_delay_alu instid0(VALU_DEP_1) | instskip(NEXT) | instid1(VALU_DEP_1)
	v_lshlrev_b64 v[15:16], 3, v[15:16]
	v_add_co_u32 v15, vcc_lo, s0, v15
	s_delay_alu instid0(VALU_DEP_2)
	v_add_co_ci_u32_e32 v16, vcc_lo, s1, v16, vcc_lo
	global_load_b64 v[17:18], v[4:5], off
	global_load_b64 v[15:16], v[15:16], off
	v_add_co_u32 v4, vcc_lo, 0x908, v4
	v_add_co_ci_u32_e32 v5, vcc_lo, 0, v5, vcc_lo
	s_waitcnt vmcnt(0)
	v_fmac_f32_e32 v1, v17, v15
	v_fmac_f32_e32 v2, v18, v15
	s_delay_alu instid0(VALU_DEP_2) | instskip(NEXT) | instid1(VALU_DEP_2)
	v_fma_f32 v1, -v18, v16, v1
	v_fmac_f32_e32 v2, v17, v16
	s_branch .LBB96_12
.LBB96_15:
	v_dual_mov_b32 v1, s4 :: v_dual_mov_b32 v2, s5
	flat_load_b32 v10, v[1:2]
	v_cndmask_b32_e64 v1, 0, 1, s6
	v_mov_b32_e32 v11, s5
	s_and_not1_b32 vcc_lo, exec_lo, s6
	s_cbranch_vccnz .LBB96_2
.LBB96_16:
	v_dual_mov_b32 v2, s4 :: v_dual_mov_b32 v3, s5
	flat_load_b32 v11, v[2:3] offset:4
	v_cmp_ne_u32_e32 vcc_lo, 1, v1
	v_mov_b32_e32 v8, s2
	s_cbranch_vccnz .LBB96_3
.LBB96_17:
	v_dual_mov_b32 v2, s2 :: v_dual_mov_b32 v3, s3
	flat_load_b32 v8, v[2:3]
	v_cmp_ne_u32_e32 vcc_lo, 1, v1
	v_mov_b32_e32 v9, s3
	s_cbranch_vccz .LBB96_4
	s_branch .LBB96_5
.LBB96_18:
	s_set_inst_prefetch_distance 0x2
	s_and_b32 vcc_lo, exec_lo, s3
	ds_store_b64 v12, v[1:2]
	s_waitcnt lgkmcnt(0)
	s_barrier
	buffer_gl0_inv
	s_cbranch_vccz .LBB96_30
; %bb.19:
	s_mov_b32 s0, exec_lo
	v_cmpx_eq_u16_e32 0, v13
	s_cbranch_execz .LBB96_21
; %bb.20:
	ds_load_2addr_b64 v[3:6], v12 offset1:16
	s_waitcnt lgkmcnt(0)
	v_dual_add_f32 v3, v5, v3 :: v_dual_add_f32 v4, v6, v4
	ds_store_b64 v12, v[3:4]
.LBB96_21:
	s_or_b32 exec_lo, exec_lo, s0
	s_delay_alu instid0(SALU_CYCLE_1)
	s_mov_b32 s0, exec_lo
	s_waitcnt lgkmcnt(0)
	s_barrier
	buffer_gl0_inv
	v_cmpx_gt_u16_e32 8, v13
	s_cbranch_execz .LBB96_23
; %bb.22:
	ds_load_2addr_b64 v[3:6], v12 offset1:8
	s_waitcnt lgkmcnt(0)
	v_dual_add_f32 v3, v5, v3 :: v_dual_add_f32 v4, v6, v4
	ds_store_b64 v12, v[3:4]
.LBB96_23:
	s_or_b32 exec_lo, exec_lo, s0
	s_delay_alu instid0(SALU_CYCLE_1)
	s_mov_b32 s0, exec_lo
	s_waitcnt lgkmcnt(0)
	s_barrier
	buffer_gl0_inv
	v_cmpx_gt_u16_e32 4, v13
	;; [unrolled: 14-line block ×3, first 2 shown]
	s_cbranch_execz .LBB96_27
; %bb.26:
	ds_load_2addr_b64 v[3:6], v12 offset1:2
	s_waitcnt lgkmcnt(0)
	v_dual_add_f32 v3, v5, v3 :: v_dual_add_f32 v4, v6, v4
	ds_store_b64 v12, v[3:4]
.LBB96_27:
	s_or_b32 exec_lo, exec_lo, s0
	s_mov_b32 s0, 0
	s_mov_b32 s1, 0
	s_mov_b32 s2, exec_lo
	s_waitcnt lgkmcnt(0)
	s_barrier
	buffer_gl0_inv
                                        ; implicit-def: $vgpr4
                                        ; implicit-def: $vgpr3
	v_cmpx_gt_u32_e32 17, v0
	s_xor_b32 s2, exec_lo, s2
; %bb.28:
	v_mul_u32_u24_e32 v3, 17, v0
	s_mov_b32 s1, exec_lo
	s_delay_alu instid0(VALU_DEP_1)
	v_lshlrev_b32_e32 v4, 3, v3
	v_mad_u32_u24 v3, v0, 17, 1
; %bb.29:
	s_or_b32 exec_lo, exec_lo, s2
	s_delay_alu instid0(SALU_CYCLE_1)
	s_and_b32 vcc_lo, exec_lo, s0
	v_cmp_gt_u32_e64 s0, 17, v0
	s_cbranch_vccnz .LBB96_31
	s_branch .LBB96_42
.LBB96_30:
	s_mov_b32 s1, 0
                                        ; implicit-def: $vgpr4
                                        ; implicit-def: $vgpr3
	v_cmp_gt_u32_e64 s0, 17, v0
	s_cbranch_execz .LBB96_42
.LBB96_31:
	s_delay_alu instid0(VALU_DEP_1)
	s_and_saveexec_b32 s2, s0
	s_cbranch_execz .LBB96_33
; %bb.32:
	ds_load_b64 v[3:4], v12 offset:2176
	ds_load_b64 v[5:6], v12
	s_waitcnt lgkmcnt(0)
	v_dual_add_f32 v3, v3, v5 :: v_dual_add_f32 v4, v4, v6
	ds_store_b64 v12, v[3:4]
.LBB96_33:
	s_or_b32 exec_lo, exec_lo, s2
	s_delay_alu instid0(SALU_CYCLE_1)
	s_mov_b32 s2, exec_lo
	s_waitcnt lgkmcnt(0)
	s_barrier
	buffer_gl0_inv
	v_cmpx_gt_u32_e32 0x88, v0
	s_cbranch_execz .LBB96_35
; %bb.34:
	ds_load_2addr_b64 v[3:6], v12 offset1:136
	s_waitcnt lgkmcnt(0)
	v_dual_add_f32 v3, v5, v3 :: v_dual_add_f32 v4, v6, v4
	ds_store_b64 v12, v[3:4]
.LBB96_35:
	s_or_b32 exec_lo, exec_lo, s2
	s_delay_alu instid0(SALU_CYCLE_1)
	s_mov_b32 s2, exec_lo
	s_waitcnt lgkmcnt(0)
	s_barrier
	buffer_gl0_inv
	v_cmpx_gt_u32_e32 0x44, v0
	s_cbranch_execz .LBB96_37
; %bb.36:
	ds_load_2addr_b64 v[3:6], v12 offset1:68
	s_waitcnt lgkmcnt(0)
	v_dual_add_f32 v3, v5, v3 :: v_dual_add_f32 v4, v6, v4
	ds_store_b64 v12, v[3:4]
.LBB96_37:
	;; [unrolled: 14-line block ×3, first 2 shown]
	s_or_b32 exec_lo, exec_lo, s2
	s_waitcnt lgkmcnt(0)
	buffer_gl0_inv
                                        ; implicit-def: $vgpr3
	s_and_saveexec_b32 s2, s0
; %bb.40:
	v_add_nc_u32_e32 v3, 17, v0
	s_or_b32 s1, s1, exec_lo
                                        ; implicit-def: $vgpr2
; %bb.41:
	s_or_b32 exec_lo, exec_lo, s2
	v_mov_b32_e32 v4, v12
.LBB96_42:
	s_and_saveexec_b32 s0, s1
	s_cbranch_execnz .LBB96_45
; %bb.43:
	s_or_b32 exec_lo, exec_lo, s0
	v_cmp_gt_u32_e32 vcc_lo, 17, v0
	s_and_b32 exec_lo, exec_lo, vcc_lo
	s_cbranch_execnz .LBB96_46
.LBB96_44:
	s_nop 0
	s_sendmsg sendmsg(MSG_DEALLOC_VGPRS)
	s_endpgm
.LBB96_45:
	v_lshlrev_b32_e32 v3, 3, v3
	ds_load_2addr_b32 v[1:2], v4 offset1:1
	ds_load_b64 v[3:4], v3
	s_waitcnt lgkmcnt(0)
	v_dual_add_f32 v2, v4, v2 :: v_dual_add_f32 v1, v3, v1
	s_or_b32 exec_lo, exec_lo, s0
	v_cmp_gt_u32_e32 vcc_lo, 17, v0
	s_and_b32 exec_lo, exec_lo, vcc_lo
	s_cbranch_execz .LBB96_44
.LBB96_46:
	v_mul_f32_e64 v3, v2, -v11
	v_mul_f32_e32 v4, v2, v10
	v_cmp_eq_f32_e32 vcc_lo, 0, v8
	v_cmp_eq_f32_e64 s0, 0, v9
	s_delay_alu instid0(VALU_DEP_4) | instskip(NEXT) | instid1(VALU_DEP_4)
	v_fmac_f32_e32 v3, v10, v1
	v_fmac_f32_e32 v4, v11, v1
	s_delay_alu instid0(VALU_DEP_3) | instskip(NEXT) | instid1(SALU_CYCLE_1)
	s_and_b32 s0, vcc_lo, s0
	s_and_saveexec_b32 s1, s0
	s_delay_alu instid0(SALU_CYCLE_1)
	s_xor_b32 s0, exec_lo, s1
	s_cbranch_execz .LBB96_48
; %bb.47:
	v_mad_u64_u32 v[1:2], null, s8, 17, v[0:1]
	v_mov_b32_e32 v2, 0
                                        ; implicit-def: $vgpr8
                                        ; implicit-def: $vgpr9
	s_delay_alu instid0(VALU_DEP_1) | instskip(NEXT) | instid1(VALU_DEP_1)
	v_lshlrev_b64 v[0:1], 3, v[1:2]
	v_add_co_u32 v0, vcc_lo, s10, v0
	s_delay_alu instid0(VALU_DEP_2)
	v_add_co_ci_u32_e32 v1, vcc_lo, s11, v1, vcc_lo
	global_store_b64 v[0:1], v[3:4], off
                                        ; implicit-def: $vgpr0
                                        ; implicit-def: $vgpr3
.LBB96_48:
	s_and_not1_saveexec_b32 s0, s0
	s_cbranch_execz .LBB96_44
; %bb.49:
	v_mad_u64_u32 v[1:2], null, s8, 17, v[0:1]
	v_mov_b32_e32 v2, 0
	s_delay_alu instid0(VALU_DEP_1) | instskip(NEXT) | instid1(VALU_DEP_1)
	v_lshlrev_b64 v[0:1], 3, v[1:2]
	v_add_co_u32 v0, vcc_lo, s10, v0
	s_delay_alu instid0(VALU_DEP_2) | instskip(SKIP_4) | instid1(VALU_DEP_2)
	v_add_co_ci_u32_e32 v1, vcc_lo, s11, v1, vcc_lo
	global_load_b64 v[5:6], v[0:1], off
	s_waitcnt vmcnt(0)
	v_fmac_f32_e32 v3, v8, v5
	v_fmac_f32_e32 v4, v9, v5
	v_fma_f32 v3, -v9, v6, v3
	s_delay_alu instid0(VALU_DEP_2)
	v_fmac_f32_e32 v4, v8, v6
	global_store_b64 v[0:1], v[3:4], off
	s_nop 0
	s_sendmsg sendmsg(MSG_DEALLOC_VGPRS)
	s_endpgm
	.section	.rodata,"a",@progbits
	.p2align	6, 0x0
	.amdhsa_kernel _ZN9rocsparseL20bsrxmvn_17_32_kernelILj17E21rocsparse_complex_numIfEliS2_S2_S2_EEvT2_20rocsparse_direction_NS_24const_host_device_scalarIT0_EES3_PKS3_PKT1_SC_S9_PKT3_PKT4_S7_PT5_21rocsparse_index_base_b
		.amdhsa_group_segment_fixed_size 2312
		.amdhsa_private_segment_fixed_size 0
		.amdhsa_kernarg_size 96
		.amdhsa_user_sgpr_count 15
		.amdhsa_user_sgpr_dispatch_ptr 0
		.amdhsa_user_sgpr_queue_ptr 0
		.amdhsa_user_sgpr_kernarg_segment_ptr 1
		.amdhsa_user_sgpr_dispatch_id 0
		.amdhsa_user_sgpr_private_segment_size 0
		.amdhsa_wavefront_size32 1
		.amdhsa_uses_dynamic_stack 0
		.amdhsa_enable_private_segment 0
		.amdhsa_system_sgpr_workgroup_id_x 1
		.amdhsa_system_sgpr_workgroup_id_y 0
		.amdhsa_system_sgpr_workgroup_id_z 0
		.amdhsa_system_sgpr_workgroup_info 0
		.amdhsa_system_vgpr_workitem_id 0
		.amdhsa_next_free_vgpr 19
		.amdhsa_next_free_sgpr 21
		.amdhsa_reserve_vcc 1
		.amdhsa_float_round_mode_32 0
		.amdhsa_float_round_mode_16_64 0
		.amdhsa_float_denorm_mode_32 3
		.amdhsa_float_denorm_mode_16_64 3
		.amdhsa_dx10_clamp 1
		.amdhsa_ieee_mode 1
		.amdhsa_fp16_overflow 0
		.amdhsa_workgroup_processor_mode 1
		.amdhsa_memory_ordered 1
		.amdhsa_forward_progress 0
		.amdhsa_shared_vgpr_count 0
		.amdhsa_exception_fp_ieee_invalid_op 0
		.amdhsa_exception_fp_denorm_src 0
		.amdhsa_exception_fp_ieee_div_zero 0
		.amdhsa_exception_fp_ieee_overflow 0
		.amdhsa_exception_fp_ieee_underflow 0
		.amdhsa_exception_fp_ieee_inexact 0
		.amdhsa_exception_int_div_zero 0
	.end_amdhsa_kernel
	.section	.text._ZN9rocsparseL20bsrxmvn_17_32_kernelILj17E21rocsparse_complex_numIfEliS2_S2_S2_EEvT2_20rocsparse_direction_NS_24const_host_device_scalarIT0_EES3_PKS3_PKT1_SC_S9_PKT3_PKT4_S7_PT5_21rocsparse_index_base_b,"axG",@progbits,_ZN9rocsparseL20bsrxmvn_17_32_kernelILj17E21rocsparse_complex_numIfEliS2_S2_S2_EEvT2_20rocsparse_direction_NS_24const_host_device_scalarIT0_EES3_PKS3_PKT1_SC_S9_PKT3_PKT4_S7_PT5_21rocsparse_index_base_b,comdat
.Lfunc_end96:
	.size	_ZN9rocsparseL20bsrxmvn_17_32_kernelILj17E21rocsparse_complex_numIfEliS2_S2_S2_EEvT2_20rocsparse_direction_NS_24const_host_device_scalarIT0_EES3_PKS3_PKT1_SC_S9_PKT3_PKT4_S7_PT5_21rocsparse_index_base_b, .Lfunc_end96-_ZN9rocsparseL20bsrxmvn_17_32_kernelILj17E21rocsparse_complex_numIfEliS2_S2_S2_EEvT2_20rocsparse_direction_NS_24const_host_device_scalarIT0_EES3_PKS3_PKT1_SC_S9_PKT3_PKT4_S7_PT5_21rocsparse_index_base_b
                                        ; -- End function
	.section	.AMDGPU.csdata,"",@progbits
; Kernel info:
; codeLenInByte = 1944
; NumSgprs: 23
; NumVgprs: 19
; ScratchSize: 0
; MemoryBound: 0
; FloatMode: 240
; IeeeMode: 1
; LDSByteSize: 2312 bytes/workgroup (compile time only)
; SGPRBlocks: 2
; VGPRBlocks: 2
; NumSGPRsForWavesPerEU: 23
; NumVGPRsForWavesPerEU: 19
; Occupancy: 15
; WaveLimiterHint : 1
; COMPUTE_PGM_RSRC2:SCRATCH_EN: 0
; COMPUTE_PGM_RSRC2:USER_SGPR: 15
; COMPUTE_PGM_RSRC2:TRAP_HANDLER: 0
; COMPUTE_PGM_RSRC2:TGID_X_EN: 1
; COMPUTE_PGM_RSRC2:TGID_Y_EN: 0
; COMPUTE_PGM_RSRC2:TGID_Z_EN: 0
; COMPUTE_PGM_RSRC2:TIDIG_COMP_CNT: 0
	.section	.text._ZN9rocsparseL20bsrxmvn_17_32_kernelILj18E21rocsparse_complex_numIfEliS2_S2_S2_EEvT2_20rocsparse_direction_NS_24const_host_device_scalarIT0_EES3_PKS3_PKT1_SC_S9_PKT3_PKT4_S7_PT5_21rocsparse_index_base_b,"axG",@progbits,_ZN9rocsparseL20bsrxmvn_17_32_kernelILj18E21rocsparse_complex_numIfEliS2_S2_S2_EEvT2_20rocsparse_direction_NS_24const_host_device_scalarIT0_EES3_PKS3_PKT1_SC_S9_PKT3_PKT4_S7_PT5_21rocsparse_index_base_b,comdat
	.globl	_ZN9rocsparseL20bsrxmvn_17_32_kernelILj18E21rocsparse_complex_numIfEliS2_S2_S2_EEvT2_20rocsparse_direction_NS_24const_host_device_scalarIT0_EES3_PKS3_PKT1_SC_S9_PKT3_PKT4_S7_PT5_21rocsparse_index_base_b ; -- Begin function _ZN9rocsparseL20bsrxmvn_17_32_kernelILj18E21rocsparse_complex_numIfEliS2_S2_S2_EEvT2_20rocsparse_direction_NS_24const_host_device_scalarIT0_EES3_PKS3_PKT1_SC_S9_PKT3_PKT4_S7_PT5_21rocsparse_index_base_b
	.p2align	8
	.type	_ZN9rocsparseL20bsrxmvn_17_32_kernelILj18E21rocsparse_complex_numIfEliS2_S2_S2_EEvT2_20rocsparse_direction_NS_24const_host_device_scalarIT0_EES3_PKS3_PKT1_SC_S9_PKT3_PKT4_S7_PT5_21rocsparse_index_base_b,@function
_ZN9rocsparseL20bsrxmvn_17_32_kernelILj18E21rocsparse_complex_numIfEliS2_S2_S2_EEvT2_20rocsparse_direction_NS_24const_host_device_scalarIT0_EES3_PKS3_PKT1_SC_S9_PKT3_PKT4_S7_PT5_21rocsparse_index_base_b: ; @_ZN9rocsparseL20bsrxmvn_17_32_kernelILj18E21rocsparse_complex_numIfEliS2_S2_S2_EEvT2_20rocsparse_direction_NS_24const_host_device_scalarIT0_EES3_PKS3_PKT1_SC_S9_PKT3_PKT4_S7_PT5_21rocsparse_index_base_b
; %bb.0:
	s_clause 0x2
	s_load_b64 s[12:13], s[0:1], 0x58
	s_load_b64 s[4:5], s[0:1], 0x8
	;; [unrolled: 1-line block ×3, first 2 shown]
	s_mov_b32 s8, s15
	s_waitcnt lgkmcnt(0)
	s_bitcmp1_b32 s13, 0
	v_mov_b32_e32 v10, s4
	s_cselect_b32 s6, -1, 0
	s_delay_alu instid0(SALU_CYCLE_1)
	s_and_b32 vcc_lo, exec_lo, s6
	s_xor_b32 s6, s6, -1
	s_cbranch_vccz .LBB97_15
; %bb.1:
	v_cndmask_b32_e64 v1, 0, 1, s6
	v_mov_b32_e32 v11, s5
	s_and_not1_b32 vcc_lo, exec_lo, s6
	s_cbranch_vccz .LBB97_16
.LBB97_2:
	s_delay_alu instid0(VALU_DEP_2)
	v_cmp_ne_u32_e32 vcc_lo, 1, v1
	v_mov_b32_e32 v8, s2
	s_cbranch_vccz .LBB97_17
.LBB97_3:
	v_cmp_ne_u32_e32 vcc_lo, 1, v1
	v_mov_b32_e32 v9, s3
	s_cbranch_vccnz .LBB97_5
.LBB97_4:
	v_dual_mov_b32 v1, s2 :: v_dual_mov_b32 v2, s3
	flat_load_b32 v9, v[1:2] offset:4
.LBB97_5:
	s_waitcnt vmcnt(0) lgkmcnt(0)
	v_cmp_eq_f32_e32 vcc_lo, 0, v10
	v_cmp_eq_f32_e64 s2, 0, v11
	s_delay_alu instid0(VALU_DEP_1)
	s_and_b32 s4, vcc_lo, s2
	s_mov_b32 s2, -1
	s_and_saveexec_b32 s3, s4
; %bb.6:
	v_cmp_neq_f32_e32 vcc_lo, 1.0, v8
	v_cmp_neq_f32_e64 s2, 0, v9
	s_delay_alu instid0(VALU_DEP_1) | instskip(NEXT) | instid1(SALU_CYCLE_1)
	s_or_b32 s2, vcc_lo, s2
	s_or_not1_b32 s2, s2, exec_lo
; %bb.7:
	s_or_b32 exec_lo, exec_lo, s3
	s_and_saveexec_b32 s3, s2
	s_cbranch_execz .LBB97_44
; %bb.8:
	s_clause 0x1
	s_load_b128 s[4:7], s[0:1], 0x18
	s_load_b64 s[10:11], s[0:1], 0x28
	s_waitcnt lgkmcnt(0)
	s_cmp_eq_u64 s[4:5], 0
	s_cbranch_scc1 .LBB97_10
; %bb.9:
	s_ashr_i32 s9, s8, 31
	s_delay_alu instid0(SALU_CYCLE_1) | instskip(NEXT) | instid1(SALU_CYCLE_1)
	s_lshl_b64 s[2:3], s[8:9], 2
	s_add_u32 s2, s4, s2
	s_addc_u32 s3, s5, s3
	s_load_b32 s2, s[2:3], 0x0
	s_waitcnt lgkmcnt(0)
	s_sub_i32 s8, s2, s12
.LBB97_10:
	s_load_b32 s3, s[0:1], 0x4
	v_mul_u32_u24_e32 v1, 0xe39, v0
	v_mov_b32_e32 v2, 0
	v_lshlrev_b32_e32 v12, 3, v0
	s_delay_alu instid0(VALU_DEP_3) | instskip(NEXT) | instid1(VALU_DEP_1)
	v_lshrrev_b32_e32 v3, 16, v1
	v_mul_lo_u16 v1, v3, 18
	s_delay_alu instid0(VALU_DEP_1)
	v_sub_nc_u16 v13, v0, v1
	v_mov_b32_e32 v1, 0
	s_waitcnt lgkmcnt(0)
	s_cmp_eq_u32 s3, 1
	s_cselect_b32 s2, -1, 0
	s_cmp_lg_u32 s3, 1
	s_cselect_b32 s3, -1, 0
	s_ashr_i32 s9, s8, 31
	s_delay_alu instid0(SALU_CYCLE_1) | instskip(NEXT) | instid1(SALU_CYCLE_1)
	s_lshl_b64 s[4:5], s[8:9], 3
	s_add_u32 s6, s6, s4
	s_addc_u32 s7, s7, s5
	s_add_u32 s9, s6, 8
	s_addc_u32 s13, s7, 0
	;; [unrolled: 2-line block ×3, first 2 shown]
	s_cmp_eq_u64 s[10:11], 0
	s_load_b64 s[10:11], s[0:1], 0x50
	s_cselect_b32 s5, s13, s5
	s_cselect_b32 s4, s9, s4
	s_load_b64 s[18:19], s[6:7], 0x0
	s_load_b64 s[14:15], s[4:5], 0x0
	s_waitcnt lgkmcnt(0)
	v_cmp_ge_i64_e64 s4, s[18:19], s[14:15]
	s_delay_alu instid0(VALU_DEP_1)
	s_and_b32 vcc_lo, exec_lo, s4
	s_cbranch_vccnz .LBB97_18
; %bb.11:
	v_mul_lo_u16 v1, v3, 15
	v_and_b32_e32 v2, 0xffff, v0
	s_sub_u32 s14, s14, s12
	s_subb_u32 s15, s15, 0
	s_sub_u32 s16, s18, s12
	v_lshrrev_b16 v1, 8, v1
	v_mul_u32_u24_e32 v2, 0x195, v2
	s_subb_u32 s17, s19, 0
	s_clause 0x1
	s_load_b128 s[4:7], s[0:1], 0x30
	s_load_b64 s[0:1], s[0:1], 0x40
	s_mul_hi_u32 s9, s16, 0xa20
	v_mul_lo_u16 v1, v1, 18
	v_lshrrev_b32_e32 v14, 17, v2
	s_mul_i32 s13, s17, 0xa20
	v_and_b32_e32 v4, 0xffff, v13
	s_add_i32 s9, s9, s13
	v_sub_nc_u16 v1, v3, v1
	v_add_co_u32 v2, s13, s18, v14
	s_delay_alu instid0(VALU_DEP_1) | instskip(NEXT) | instid1(VALU_DEP_3)
	v_add_co_ci_u32_e64 v5, null, s19, 0, s13
	v_and_b32_e32 v1, 0xff, v1
	s_mul_i32 s20, s16, 0xa20
	s_delay_alu instid0(VALU_DEP_1)
	v_cndmask_b32_e64 v3, v4, v1, s2
	v_sub_co_u32 v4, vcc_lo, v2, s12
	v_mov_b32_e32 v2, 0
	v_subrev_co_ci_u32_e32 v5, vcc_lo, 0, v5, vcc_lo
	v_lshlrev_b32_e32 v1, 3, v0
	s_waitcnt lgkmcnt(0)
	s_add_u32 s2, s6, s20
	s_addc_u32 s6, s7, s9
	v_lshlrev_b64 v[6:7], 2, v[4:5]
	v_add_co_u32 v4, s2, s2, v1
	s_delay_alu instid0(VALU_DEP_1) | instskip(NEXT) | instid1(VALU_DEP_3)
	v_add_co_ci_u32_e64 v5, null, s6, 0, s2
	v_add_co_u32 v6, vcc_lo, s4, v6
	s_delay_alu instid0(VALU_DEP_4)
	v_add_co_ci_u32_e32 v7, vcc_lo, s5, v7, vcc_lo
	v_mov_b32_e32 v1, v2
	s_set_inst_prefetch_distance 0x1
	s_branch .LBB97_13
	.p2align	6
.LBB97_12:                              ;   in Loop: Header=BB97_13 Depth=1
	s_or_b32 exec_lo, exec_lo, s2
	s_add_u32 s16, s16, 1
	s_addc_u32 s17, s17, 0
	v_add_co_u32 v6, vcc_lo, v6, 4
	v_cmp_lt_i64_e64 s2, s[16:17], s[14:15]
	v_add_co_ci_u32_e32 v7, vcc_lo, 0, v7, vcc_lo
	s_delay_alu instid0(VALU_DEP_2)
	s_and_b32 vcc_lo, exec_lo, s2
	s_cbranch_vccz .LBB97_18
.LBB97_13:                              ; =>This Inner Loop Header: Depth=1
	v_add_co_u32 v15, s2, v14, s16
	s_delay_alu instid0(VALU_DEP_1) | instskip(SKIP_1) | instid1(VALU_DEP_1)
	v_add_co_ci_u32_e64 v16, null, 0, s17, s2
	s_mov_b32 s2, exec_lo
	v_cmpx_gt_i64_e64 s[14:15], v[15:16]
	s_cbranch_execz .LBB97_12
; %bb.14:                               ;   in Loop: Header=BB97_13 Depth=1
	global_load_b32 v15, v[6:7], off
	s_waitcnt vmcnt(0)
	v_subrev_nc_u32_e32 v17, s12, v15
	s_delay_alu instid0(VALU_DEP_1) | instskip(NEXT) | instid1(VALU_DEP_1)
	v_mad_u64_u32 v[15:16], null, v17, 18, v[3:4]
	v_ashrrev_i32_e32 v16, 31, v15
	s_delay_alu instid0(VALU_DEP_1) | instskip(NEXT) | instid1(VALU_DEP_1)
	v_lshlrev_b64 v[15:16], 3, v[15:16]
	v_add_co_u32 v15, vcc_lo, s0, v15
	s_delay_alu instid0(VALU_DEP_2)
	v_add_co_ci_u32_e32 v16, vcc_lo, s1, v16, vcc_lo
	global_load_b64 v[17:18], v[4:5], off
	global_load_b64 v[15:16], v[15:16], off
	v_add_co_u32 v4, vcc_lo, 0xa20, v4
	v_add_co_ci_u32_e32 v5, vcc_lo, 0, v5, vcc_lo
	s_waitcnt vmcnt(0)
	v_fmac_f32_e32 v1, v17, v15
	v_fmac_f32_e32 v2, v18, v15
	s_delay_alu instid0(VALU_DEP_2) | instskip(NEXT) | instid1(VALU_DEP_2)
	v_fma_f32 v1, -v18, v16, v1
	v_fmac_f32_e32 v2, v17, v16
	s_branch .LBB97_12
.LBB97_15:
	v_dual_mov_b32 v1, s4 :: v_dual_mov_b32 v2, s5
	flat_load_b32 v10, v[1:2]
	v_cndmask_b32_e64 v1, 0, 1, s6
	v_mov_b32_e32 v11, s5
	s_and_not1_b32 vcc_lo, exec_lo, s6
	s_cbranch_vccnz .LBB97_2
.LBB97_16:
	v_dual_mov_b32 v2, s4 :: v_dual_mov_b32 v3, s5
	flat_load_b32 v11, v[2:3] offset:4
	v_cmp_ne_u32_e32 vcc_lo, 1, v1
	v_mov_b32_e32 v8, s2
	s_cbranch_vccnz .LBB97_3
.LBB97_17:
	v_dual_mov_b32 v2, s2 :: v_dual_mov_b32 v3, s3
	flat_load_b32 v8, v[2:3]
	v_cmp_ne_u32_e32 vcc_lo, 1, v1
	v_mov_b32_e32 v9, s3
	s_cbranch_vccz .LBB97_4
	s_branch .LBB97_5
.LBB97_18:
	s_set_inst_prefetch_distance 0x2
	s_and_b32 vcc_lo, exec_lo, s3
	ds_store_b64 v12, v[1:2]
	s_waitcnt lgkmcnt(0)
	s_barrier
	buffer_gl0_inv
	s_cbranch_vccz .LBB97_30
; %bb.19:
	v_cmp_gt_u16_e32 vcc_lo, 2, v13
	s_and_saveexec_b32 s0, vcc_lo
	s_cbranch_execz .LBB97_21
; %bb.20:
	ds_load_2addr_b64 v[3:6], v12 offset1:16
	s_waitcnt lgkmcnt(0)
	v_dual_add_f32 v3, v5, v3 :: v_dual_add_f32 v4, v6, v4
	ds_store_b64 v12, v[3:4]
.LBB97_21:
	s_or_b32 exec_lo, exec_lo, s0
	s_delay_alu instid0(SALU_CYCLE_1)
	s_mov_b32 s1, exec_lo
	s_waitcnt lgkmcnt(0)
	s_barrier
	buffer_gl0_inv
	v_cmpx_gt_u16_e32 8, v13
	s_cbranch_execz .LBB97_23
; %bb.22:
	ds_load_2addr_b64 v[3:6], v12 offset1:8
	s_waitcnt lgkmcnt(0)
	v_dual_add_f32 v3, v5, v3 :: v_dual_add_f32 v4, v6, v4
	ds_store_b64 v12, v[3:4]
.LBB97_23:
	s_or_b32 exec_lo, exec_lo, s1
	s_delay_alu instid0(SALU_CYCLE_1)
	s_mov_b32 s1, exec_lo
	s_waitcnt lgkmcnt(0)
	s_barrier
	buffer_gl0_inv
	v_cmpx_gt_u16_e32 4, v13
	s_cbranch_execz .LBB97_25
; %bb.24:
	ds_load_2addr_b64 v[3:6], v12 offset1:4
	s_waitcnt lgkmcnt(0)
	v_dual_add_f32 v3, v5, v3 :: v_dual_add_f32 v4, v6, v4
	ds_store_b64 v12, v[3:4]
.LBB97_25:
	s_or_b32 exec_lo, exec_lo, s1
	s_waitcnt lgkmcnt(0)
	s_barrier
	buffer_gl0_inv
	s_and_saveexec_b32 s0, vcc_lo
	s_cbranch_execz .LBB97_27
; %bb.26:
	ds_load_2addr_b64 v[3:6], v12 offset1:2
	s_waitcnt lgkmcnt(0)
	v_dual_add_f32 v3, v5, v3 :: v_dual_add_f32 v4, v6, v4
	ds_store_b64 v12, v[3:4]
.LBB97_27:
	s_or_b32 exec_lo, exec_lo, s0
	s_mov_b32 s0, 0
	s_mov_b32 s1, 0
	s_mov_b32 s2, exec_lo
	s_waitcnt lgkmcnt(0)
	s_barrier
	buffer_gl0_inv
                                        ; implicit-def: $vgpr4
                                        ; implicit-def: $vgpr3
	v_cmpx_gt_u32_e32 18, v0
	s_xor_b32 s2, exec_lo, s2
; %bb.28:
	v_mul_u32_u24_e32 v3, 18, v0
	s_mov_b32 s1, exec_lo
	s_delay_alu instid0(VALU_DEP_1)
	v_lshlrev_b32_e32 v4, 3, v3
	v_or_b32_e32 v3, 1, v3
; %bb.29:
	s_or_b32 exec_lo, exec_lo, s2
	s_delay_alu instid0(SALU_CYCLE_1)
	s_and_b32 vcc_lo, exec_lo, s0
	s_cbranch_vccnz .LBB97_31
	s_branch .LBB97_42
.LBB97_30:
	s_mov_b32 s1, 0
                                        ; implicit-def: $vgpr4
                                        ; implicit-def: $vgpr3
	s_cbranch_execz .LBB97_42
.LBB97_31:
	v_cmp_gt_u32_e32 vcc_lo, 36, v0
	s_and_saveexec_b32 s0, vcc_lo
	s_cbranch_execz .LBB97_33
; %bb.32:
	ds_load_b64 v[3:4], v12 offset:2304
	ds_load_b64 v[5:6], v12
	s_waitcnt lgkmcnt(0)
	v_dual_add_f32 v3, v3, v5 :: v_dual_add_f32 v4, v4, v6
	ds_store_b64 v12, v[3:4]
.LBB97_33:
	s_or_b32 exec_lo, exec_lo, s0
	s_delay_alu instid0(SALU_CYCLE_1)
	s_mov_b32 s2, exec_lo
	s_waitcnt lgkmcnt(0)
	s_barrier
	buffer_gl0_inv
	v_cmpx_gt_u32_e32 0x90, v0
	s_cbranch_execz .LBB97_35
; %bb.34:
	ds_load_2addr_b64 v[3:6], v12 offset1:144
	s_waitcnt lgkmcnt(0)
	v_dual_add_f32 v3, v5, v3 :: v_dual_add_f32 v4, v6, v4
	ds_store_b64 v12, v[3:4]
.LBB97_35:
	s_or_b32 exec_lo, exec_lo, s2
	s_delay_alu instid0(SALU_CYCLE_1)
	s_mov_b32 s2, exec_lo
	s_waitcnt lgkmcnt(0)
	s_barrier
	buffer_gl0_inv
	v_cmpx_gt_u32_e32 0x48, v0
	s_cbranch_execz .LBB97_37
; %bb.36:
	ds_load_2addr_b64 v[3:6], v12 offset1:72
	s_waitcnt lgkmcnt(0)
	v_dual_add_f32 v3, v5, v3 :: v_dual_add_f32 v4, v6, v4
	ds_store_b64 v12, v[3:4]
.LBB97_37:
	s_or_b32 exec_lo, exec_lo, s2
	s_waitcnt lgkmcnt(0)
	s_barrier
	buffer_gl0_inv
	s_and_saveexec_b32 s0, vcc_lo
	s_cbranch_execz .LBB97_39
; %bb.38:
	ds_load_2addr_b64 v[3:6], v12 offset1:36
	s_waitcnt lgkmcnt(0)
	v_dual_add_f32 v3, v5, v3 :: v_dual_add_f32 v4, v6, v4
	ds_store_b64 v12, v[3:4]
.LBB97_39:
	s_or_b32 exec_lo, exec_lo, s0
	s_delay_alu instid0(SALU_CYCLE_1)
	s_mov_b32 s0, exec_lo
	s_waitcnt lgkmcnt(0)
	buffer_gl0_inv
                                        ; implicit-def: $vgpr3
	v_cmpx_gt_u32_e32 18, v0
; %bb.40:
	v_add_nc_u32_e32 v3, 18, v0
	s_or_b32 s1, s1, exec_lo
                                        ; implicit-def: $vgpr2
; %bb.41:
	s_or_b32 exec_lo, exec_lo, s0
	v_mov_b32_e32 v4, v12
.LBB97_42:
	s_and_saveexec_b32 s0, s1
	s_cbranch_execnz .LBB97_45
; %bb.43:
	s_or_b32 exec_lo, exec_lo, s0
	v_cmp_gt_u32_e32 vcc_lo, 18, v0
	s_and_b32 exec_lo, exec_lo, vcc_lo
	s_cbranch_execnz .LBB97_46
.LBB97_44:
	s_nop 0
	s_sendmsg sendmsg(MSG_DEALLOC_VGPRS)
	s_endpgm
.LBB97_45:
	v_lshlrev_b32_e32 v3, 3, v3
	ds_load_2addr_b32 v[1:2], v4 offset1:1
	ds_load_b64 v[3:4], v3
	s_waitcnt lgkmcnt(0)
	v_dual_add_f32 v2, v4, v2 :: v_dual_add_f32 v1, v3, v1
	s_or_b32 exec_lo, exec_lo, s0
	v_cmp_gt_u32_e32 vcc_lo, 18, v0
	s_and_b32 exec_lo, exec_lo, vcc_lo
	s_cbranch_execz .LBB97_44
.LBB97_46:
	v_mul_f32_e64 v3, v2, -v11
	v_mul_f32_e32 v4, v2, v10
	v_cmp_eq_f32_e32 vcc_lo, 0, v8
	v_cmp_eq_f32_e64 s0, 0, v9
	s_delay_alu instid0(VALU_DEP_4) | instskip(NEXT) | instid1(VALU_DEP_4)
	v_fmac_f32_e32 v3, v10, v1
	v_fmac_f32_e32 v4, v11, v1
	s_delay_alu instid0(VALU_DEP_3) | instskip(NEXT) | instid1(SALU_CYCLE_1)
	s_and_b32 s0, vcc_lo, s0
	s_and_saveexec_b32 s1, s0
	s_delay_alu instid0(SALU_CYCLE_1)
	s_xor_b32 s0, exec_lo, s1
	s_cbranch_execz .LBB97_48
; %bb.47:
	v_mad_u64_u32 v[1:2], null, s8, 18, v[0:1]
	v_mov_b32_e32 v2, 0
                                        ; implicit-def: $vgpr8
                                        ; implicit-def: $vgpr9
	s_delay_alu instid0(VALU_DEP_1) | instskip(NEXT) | instid1(VALU_DEP_1)
	v_lshlrev_b64 v[0:1], 3, v[1:2]
	v_add_co_u32 v0, vcc_lo, s10, v0
	s_delay_alu instid0(VALU_DEP_2)
	v_add_co_ci_u32_e32 v1, vcc_lo, s11, v1, vcc_lo
	global_store_b64 v[0:1], v[3:4], off
                                        ; implicit-def: $vgpr0
                                        ; implicit-def: $vgpr3
.LBB97_48:
	s_and_not1_saveexec_b32 s0, s0
	s_cbranch_execz .LBB97_44
; %bb.49:
	v_mad_u64_u32 v[1:2], null, s8, 18, v[0:1]
	v_mov_b32_e32 v2, 0
	s_delay_alu instid0(VALU_DEP_1) | instskip(NEXT) | instid1(VALU_DEP_1)
	v_lshlrev_b64 v[0:1], 3, v[1:2]
	v_add_co_u32 v0, vcc_lo, s10, v0
	s_delay_alu instid0(VALU_DEP_2) | instskip(SKIP_4) | instid1(VALU_DEP_2)
	v_add_co_ci_u32_e32 v1, vcc_lo, s11, v1, vcc_lo
	global_load_b64 v[5:6], v[0:1], off
	s_waitcnt vmcnt(0)
	v_fmac_f32_e32 v3, v8, v5
	v_fmac_f32_e32 v4, v9, v5
	v_fma_f32 v3, -v9, v6, v3
	s_delay_alu instid0(VALU_DEP_2)
	v_fmac_f32_e32 v4, v8, v6
	global_store_b64 v[0:1], v[3:4], off
	s_nop 0
	s_sendmsg sendmsg(MSG_DEALLOC_VGPRS)
	s_endpgm
	.section	.rodata,"a",@progbits
	.p2align	6, 0x0
	.amdhsa_kernel _ZN9rocsparseL20bsrxmvn_17_32_kernelILj18E21rocsparse_complex_numIfEliS2_S2_S2_EEvT2_20rocsparse_direction_NS_24const_host_device_scalarIT0_EES3_PKS3_PKT1_SC_S9_PKT3_PKT4_S7_PT5_21rocsparse_index_base_b
		.amdhsa_group_segment_fixed_size 2592
		.amdhsa_private_segment_fixed_size 0
		.amdhsa_kernarg_size 96
		.amdhsa_user_sgpr_count 15
		.amdhsa_user_sgpr_dispatch_ptr 0
		.amdhsa_user_sgpr_queue_ptr 0
		.amdhsa_user_sgpr_kernarg_segment_ptr 1
		.amdhsa_user_sgpr_dispatch_id 0
		.amdhsa_user_sgpr_private_segment_size 0
		.amdhsa_wavefront_size32 1
		.amdhsa_uses_dynamic_stack 0
		.amdhsa_enable_private_segment 0
		.amdhsa_system_sgpr_workgroup_id_x 1
		.amdhsa_system_sgpr_workgroup_id_y 0
		.amdhsa_system_sgpr_workgroup_id_z 0
		.amdhsa_system_sgpr_workgroup_info 0
		.amdhsa_system_vgpr_workitem_id 0
		.amdhsa_next_free_vgpr 19
		.amdhsa_next_free_sgpr 21
		.amdhsa_reserve_vcc 1
		.amdhsa_float_round_mode_32 0
		.amdhsa_float_round_mode_16_64 0
		.amdhsa_float_denorm_mode_32 3
		.amdhsa_float_denorm_mode_16_64 3
		.amdhsa_dx10_clamp 1
		.amdhsa_ieee_mode 1
		.amdhsa_fp16_overflow 0
		.amdhsa_workgroup_processor_mode 1
		.amdhsa_memory_ordered 1
		.amdhsa_forward_progress 0
		.amdhsa_shared_vgpr_count 0
		.amdhsa_exception_fp_ieee_invalid_op 0
		.amdhsa_exception_fp_denorm_src 0
		.amdhsa_exception_fp_ieee_div_zero 0
		.amdhsa_exception_fp_ieee_overflow 0
		.amdhsa_exception_fp_ieee_underflow 0
		.amdhsa_exception_fp_ieee_inexact 0
		.amdhsa_exception_int_div_zero 0
	.end_amdhsa_kernel
	.section	.text._ZN9rocsparseL20bsrxmvn_17_32_kernelILj18E21rocsparse_complex_numIfEliS2_S2_S2_EEvT2_20rocsparse_direction_NS_24const_host_device_scalarIT0_EES3_PKS3_PKT1_SC_S9_PKT3_PKT4_S7_PT5_21rocsparse_index_base_b,"axG",@progbits,_ZN9rocsparseL20bsrxmvn_17_32_kernelILj18E21rocsparse_complex_numIfEliS2_S2_S2_EEvT2_20rocsparse_direction_NS_24const_host_device_scalarIT0_EES3_PKS3_PKT1_SC_S9_PKT3_PKT4_S7_PT5_21rocsparse_index_base_b,comdat
.Lfunc_end97:
	.size	_ZN9rocsparseL20bsrxmvn_17_32_kernelILj18E21rocsparse_complex_numIfEliS2_S2_S2_EEvT2_20rocsparse_direction_NS_24const_host_device_scalarIT0_EES3_PKS3_PKT1_SC_S9_PKT3_PKT4_S7_PT5_21rocsparse_index_base_b, .Lfunc_end97-_ZN9rocsparseL20bsrxmvn_17_32_kernelILj18E21rocsparse_complex_numIfEliS2_S2_S2_EEvT2_20rocsparse_direction_NS_24const_host_device_scalarIT0_EES3_PKS3_PKT1_SC_S9_PKT3_PKT4_S7_PT5_21rocsparse_index_base_b
                                        ; -- End function
	.section	.AMDGPU.csdata,"",@progbits
; Kernel info:
; codeLenInByte = 1916
; NumSgprs: 23
; NumVgprs: 19
; ScratchSize: 0
; MemoryBound: 0
; FloatMode: 240
; IeeeMode: 1
; LDSByteSize: 2592 bytes/workgroup (compile time only)
; SGPRBlocks: 2
; VGPRBlocks: 2
; NumSGPRsForWavesPerEU: 23
; NumVGPRsForWavesPerEU: 19
; Occupancy: 14
; WaveLimiterHint : 1
; COMPUTE_PGM_RSRC2:SCRATCH_EN: 0
; COMPUTE_PGM_RSRC2:USER_SGPR: 15
; COMPUTE_PGM_RSRC2:TRAP_HANDLER: 0
; COMPUTE_PGM_RSRC2:TGID_X_EN: 1
; COMPUTE_PGM_RSRC2:TGID_Y_EN: 0
; COMPUTE_PGM_RSRC2:TGID_Z_EN: 0
; COMPUTE_PGM_RSRC2:TIDIG_COMP_CNT: 0
	.section	.text._ZN9rocsparseL20bsrxmvn_17_32_kernelILj19E21rocsparse_complex_numIfEliS2_S2_S2_EEvT2_20rocsparse_direction_NS_24const_host_device_scalarIT0_EES3_PKS3_PKT1_SC_S9_PKT3_PKT4_S7_PT5_21rocsparse_index_base_b,"axG",@progbits,_ZN9rocsparseL20bsrxmvn_17_32_kernelILj19E21rocsparse_complex_numIfEliS2_S2_S2_EEvT2_20rocsparse_direction_NS_24const_host_device_scalarIT0_EES3_PKS3_PKT1_SC_S9_PKT3_PKT4_S7_PT5_21rocsparse_index_base_b,comdat
	.globl	_ZN9rocsparseL20bsrxmvn_17_32_kernelILj19E21rocsparse_complex_numIfEliS2_S2_S2_EEvT2_20rocsparse_direction_NS_24const_host_device_scalarIT0_EES3_PKS3_PKT1_SC_S9_PKT3_PKT4_S7_PT5_21rocsparse_index_base_b ; -- Begin function _ZN9rocsparseL20bsrxmvn_17_32_kernelILj19E21rocsparse_complex_numIfEliS2_S2_S2_EEvT2_20rocsparse_direction_NS_24const_host_device_scalarIT0_EES3_PKS3_PKT1_SC_S9_PKT3_PKT4_S7_PT5_21rocsparse_index_base_b
	.p2align	8
	.type	_ZN9rocsparseL20bsrxmvn_17_32_kernelILj19E21rocsparse_complex_numIfEliS2_S2_S2_EEvT2_20rocsparse_direction_NS_24const_host_device_scalarIT0_EES3_PKS3_PKT1_SC_S9_PKT3_PKT4_S7_PT5_21rocsparse_index_base_b,@function
_ZN9rocsparseL20bsrxmvn_17_32_kernelILj19E21rocsparse_complex_numIfEliS2_S2_S2_EEvT2_20rocsparse_direction_NS_24const_host_device_scalarIT0_EES3_PKS3_PKT1_SC_S9_PKT3_PKT4_S7_PT5_21rocsparse_index_base_b: ; @_ZN9rocsparseL20bsrxmvn_17_32_kernelILj19E21rocsparse_complex_numIfEliS2_S2_S2_EEvT2_20rocsparse_direction_NS_24const_host_device_scalarIT0_EES3_PKS3_PKT1_SC_S9_PKT3_PKT4_S7_PT5_21rocsparse_index_base_b
; %bb.0:
	s_clause 0x2
	s_load_b64 s[12:13], s[0:1], 0x58
	s_load_b64 s[4:5], s[0:1], 0x8
	;; [unrolled: 1-line block ×3, first 2 shown]
	s_mov_b32 s8, s15
	s_waitcnt lgkmcnt(0)
	s_bitcmp1_b32 s13, 0
	v_mov_b32_e32 v10, s4
	s_cselect_b32 s6, -1, 0
	s_delay_alu instid0(SALU_CYCLE_1)
	s_and_b32 vcc_lo, exec_lo, s6
	s_xor_b32 s6, s6, -1
	s_cbranch_vccz .LBB98_15
; %bb.1:
	v_cndmask_b32_e64 v1, 0, 1, s6
	v_mov_b32_e32 v11, s5
	s_and_not1_b32 vcc_lo, exec_lo, s6
	s_cbranch_vccz .LBB98_16
.LBB98_2:
	s_delay_alu instid0(VALU_DEP_2)
	v_cmp_ne_u32_e32 vcc_lo, 1, v1
	v_mov_b32_e32 v8, s2
	s_cbranch_vccz .LBB98_17
.LBB98_3:
	v_cmp_ne_u32_e32 vcc_lo, 1, v1
	v_mov_b32_e32 v9, s3
	s_cbranch_vccnz .LBB98_5
.LBB98_4:
	v_dual_mov_b32 v1, s2 :: v_dual_mov_b32 v2, s3
	flat_load_b32 v9, v[1:2] offset:4
.LBB98_5:
	s_waitcnt vmcnt(0) lgkmcnt(0)
	v_cmp_eq_f32_e32 vcc_lo, 0, v10
	v_cmp_eq_f32_e64 s2, 0, v11
	s_delay_alu instid0(VALU_DEP_1)
	s_and_b32 s4, vcc_lo, s2
	s_mov_b32 s2, -1
	s_and_saveexec_b32 s3, s4
; %bb.6:
	v_cmp_neq_f32_e32 vcc_lo, 1.0, v8
	v_cmp_neq_f32_e64 s2, 0, v9
	s_delay_alu instid0(VALU_DEP_1) | instskip(NEXT) | instid1(SALU_CYCLE_1)
	s_or_b32 s2, vcc_lo, s2
	s_or_not1_b32 s2, s2, exec_lo
; %bb.7:
	s_or_b32 exec_lo, exec_lo, s3
	s_and_saveexec_b32 s3, s2
	s_cbranch_execz .LBB98_44
; %bb.8:
	s_clause 0x1
	s_load_b128 s[4:7], s[0:1], 0x18
	s_load_b64 s[10:11], s[0:1], 0x28
	s_waitcnt lgkmcnt(0)
	s_cmp_eq_u64 s[4:5], 0
	s_cbranch_scc1 .LBB98_10
; %bb.9:
	s_ashr_i32 s9, s8, 31
	s_delay_alu instid0(SALU_CYCLE_1) | instskip(NEXT) | instid1(SALU_CYCLE_1)
	s_lshl_b64 s[2:3], s[8:9], 2
	s_add_u32 s2, s4, s2
	s_addc_u32 s3, s5, s3
	s_load_b32 s2, s[2:3], 0x0
	s_waitcnt lgkmcnt(0)
	s_sub_i32 s8, s2, s12
.LBB98_10:
	s_load_b32 s3, s[0:1], 0x4
	v_mul_u32_u24_e32 v1, 0xd7a, v0
	v_mov_b32_e32 v2, 0
	v_lshlrev_b32_e32 v12, 3, v0
	s_delay_alu instid0(VALU_DEP_3) | instskip(NEXT) | instid1(VALU_DEP_1)
	v_lshrrev_b32_e32 v3, 16, v1
	v_mul_lo_u16 v1, v3, 19
	s_delay_alu instid0(VALU_DEP_1)
	v_sub_nc_u16 v13, v0, v1
	v_mov_b32_e32 v1, 0
	s_waitcnt lgkmcnt(0)
	s_cmp_eq_u32 s3, 1
	s_cselect_b32 s2, -1, 0
	s_cmp_lg_u32 s3, 1
	s_cselect_b32 s3, -1, 0
	s_ashr_i32 s9, s8, 31
	s_delay_alu instid0(SALU_CYCLE_1) | instskip(NEXT) | instid1(SALU_CYCLE_1)
	s_lshl_b64 s[4:5], s[8:9], 3
	s_add_u32 s6, s6, s4
	s_addc_u32 s7, s7, s5
	s_add_u32 s9, s6, 8
	s_addc_u32 s13, s7, 0
	;; [unrolled: 2-line block ×3, first 2 shown]
	s_cmp_eq_u64 s[10:11], 0
	s_load_b64 s[10:11], s[0:1], 0x50
	s_cselect_b32 s5, s13, s5
	s_cselect_b32 s4, s9, s4
	s_load_b64 s[18:19], s[6:7], 0x0
	s_load_b64 s[14:15], s[4:5], 0x0
	s_waitcnt lgkmcnt(0)
	v_cmp_ge_i64_e64 s4, s[18:19], s[14:15]
	s_delay_alu instid0(VALU_DEP_1)
	s_and_b32 vcc_lo, exec_lo, s4
	s_cbranch_vccnz .LBB98_18
; %bb.11:
	v_mul_lo_u16 v1, v3, 14
	v_and_b32_e32 v2, 0xffff, v0
	s_sub_u32 s14, s14, s12
	s_subb_u32 s15, s15, 0
	s_sub_u32 s16, s18, s12
	v_lshrrev_b16 v1, 8, v1
	v_mul_u32_u24_e32 v2, 0xb6, v2
	s_subb_u32 s17, s19, 0
	s_clause 0x1
	s_load_b128 s[4:7], s[0:1], 0x30
	s_load_b64 s[0:1], s[0:1], 0x40
	s_mul_hi_u32 s9, s16, 0xb48
	v_mul_lo_u16 v1, v1, 19
	v_lshrrev_b32_e32 v14, 16, v2
	s_mul_i32 s13, s17, 0xb48
	v_and_b32_e32 v4, 0xffff, v13
	s_add_i32 s9, s9, s13
	v_sub_nc_u16 v1, v3, v1
	v_add_co_u32 v2, s13, s18, v14
	s_delay_alu instid0(VALU_DEP_1) | instskip(NEXT) | instid1(VALU_DEP_3)
	v_add_co_ci_u32_e64 v5, null, s19, 0, s13
	v_and_b32_e32 v1, 0xff, v1
	s_mul_i32 s20, s16, 0xb48
	s_delay_alu instid0(VALU_DEP_1)
	v_cndmask_b32_e64 v3, v4, v1, s2
	v_sub_co_u32 v4, vcc_lo, v2, s12
	v_mov_b32_e32 v2, 0
	v_subrev_co_ci_u32_e32 v5, vcc_lo, 0, v5, vcc_lo
	v_lshlrev_b32_e32 v1, 3, v0
	s_waitcnt lgkmcnt(0)
	s_add_u32 s2, s6, s20
	s_addc_u32 s6, s7, s9
	v_lshlrev_b64 v[6:7], 2, v[4:5]
	v_add_co_u32 v4, s2, s2, v1
	s_delay_alu instid0(VALU_DEP_1) | instskip(NEXT) | instid1(VALU_DEP_3)
	v_add_co_ci_u32_e64 v5, null, s6, 0, s2
	v_add_co_u32 v6, vcc_lo, s4, v6
	s_delay_alu instid0(VALU_DEP_4)
	v_add_co_ci_u32_e32 v7, vcc_lo, s5, v7, vcc_lo
	v_mov_b32_e32 v1, v2
	s_set_inst_prefetch_distance 0x1
	s_branch .LBB98_13
	.p2align	6
.LBB98_12:                              ;   in Loop: Header=BB98_13 Depth=1
	s_or_b32 exec_lo, exec_lo, s2
	s_add_u32 s16, s16, 1
	s_addc_u32 s17, s17, 0
	v_add_co_u32 v6, vcc_lo, v6, 4
	v_cmp_lt_i64_e64 s2, s[16:17], s[14:15]
	v_add_co_ci_u32_e32 v7, vcc_lo, 0, v7, vcc_lo
	s_delay_alu instid0(VALU_DEP_2)
	s_and_b32 vcc_lo, exec_lo, s2
	s_cbranch_vccz .LBB98_18
.LBB98_13:                              ; =>This Inner Loop Header: Depth=1
	v_add_co_u32 v15, s2, v14, s16
	s_delay_alu instid0(VALU_DEP_1) | instskip(SKIP_1) | instid1(VALU_DEP_1)
	v_add_co_ci_u32_e64 v16, null, 0, s17, s2
	s_mov_b32 s2, exec_lo
	v_cmpx_gt_i64_e64 s[14:15], v[15:16]
	s_cbranch_execz .LBB98_12
; %bb.14:                               ;   in Loop: Header=BB98_13 Depth=1
	global_load_b32 v15, v[6:7], off
	s_waitcnt vmcnt(0)
	v_subrev_nc_u32_e32 v17, s12, v15
	s_delay_alu instid0(VALU_DEP_1) | instskip(NEXT) | instid1(VALU_DEP_1)
	v_mad_u64_u32 v[15:16], null, v17, 19, v[3:4]
	v_ashrrev_i32_e32 v16, 31, v15
	s_delay_alu instid0(VALU_DEP_1) | instskip(NEXT) | instid1(VALU_DEP_1)
	v_lshlrev_b64 v[15:16], 3, v[15:16]
	v_add_co_u32 v15, vcc_lo, s0, v15
	s_delay_alu instid0(VALU_DEP_2)
	v_add_co_ci_u32_e32 v16, vcc_lo, s1, v16, vcc_lo
	global_load_b64 v[17:18], v[4:5], off
	global_load_b64 v[15:16], v[15:16], off
	v_add_co_u32 v4, vcc_lo, 0xb48, v4
	v_add_co_ci_u32_e32 v5, vcc_lo, 0, v5, vcc_lo
	s_waitcnt vmcnt(0)
	v_fmac_f32_e32 v1, v17, v15
	v_fmac_f32_e32 v2, v18, v15
	s_delay_alu instid0(VALU_DEP_2) | instskip(NEXT) | instid1(VALU_DEP_2)
	v_fma_f32 v1, -v18, v16, v1
	v_fmac_f32_e32 v2, v17, v16
	s_branch .LBB98_12
.LBB98_15:
	v_dual_mov_b32 v1, s4 :: v_dual_mov_b32 v2, s5
	flat_load_b32 v10, v[1:2]
	v_cndmask_b32_e64 v1, 0, 1, s6
	v_mov_b32_e32 v11, s5
	s_and_not1_b32 vcc_lo, exec_lo, s6
	s_cbranch_vccnz .LBB98_2
.LBB98_16:
	v_dual_mov_b32 v2, s4 :: v_dual_mov_b32 v3, s5
	flat_load_b32 v11, v[2:3] offset:4
	v_cmp_ne_u32_e32 vcc_lo, 1, v1
	v_mov_b32_e32 v8, s2
	s_cbranch_vccnz .LBB98_3
.LBB98_17:
	v_dual_mov_b32 v2, s2 :: v_dual_mov_b32 v3, s3
	flat_load_b32 v8, v[2:3]
	v_cmp_ne_u32_e32 vcc_lo, 1, v1
	v_mov_b32_e32 v9, s3
	s_cbranch_vccz .LBB98_4
	s_branch .LBB98_5
.LBB98_18:
	s_set_inst_prefetch_distance 0x2
	s_and_b32 vcc_lo, exec_lo, s3
	ds_store_b64 v12, v[1:2]
	s_waitcnt lgkmcnt(0)
	s_barrier
	buffer_gl0_inv
	s_cbranch_vccz .LBB98_30
; %bb.19:
	s_mov_b32 s0, exec_lo
	v_cmpx_gt_u16_e32 3, v13
	s_cbranch_execz .LBB98_21
; %bb.20:
	ds_load_2addr_b64 v[3:6], v12 offset1:16
	s_waitcnt lgkmcnt(0)
	v_dual_add_f32 v3, v5, v3 :: v_dual_add_f32 v4, v6, v4
	ds_store_b64 v12, v[3:4]
.LBB98_21:
	s_or_b32 exec_lo, exec_lo, s0
	s_delay_alu instid0(SALU_CYCLE_1)
	s_mov_b32 s0, exec_lo
	s_waitcnt lgkmcnt(0)
	s_barrier
	buffer_gl0_inv
	v_cmpx_gt_u16_e32 8, v13
	s_cbranch_execz .LBB98_23
; %bb.22:
	ds_load_2addr_b64 v[3:6], v12 offset1:8
	s_waitcnt lgkmcnt(0)
	v_dual_add_f32 v3, v5, v3 :: v_dual_add_f32 v4, v6, v4
	ds_store_b64 v12, v[3:4]
.LBB98_23:
	s_or_b32 exec_lo, exec_lo, s0
	s_delay_alu instid0(SALU_CYCLE_1)
	s_mov_b32 s0, exec_lo
	s_waitcnt lgkmcnt(0)
	s_barrier
	buffer_gl0_inv
	;; [unrolled: 14-line block ×3, first 2 shown]
	v_cmpx_gt_u16_e32 2, v13
	s_cbranch_execz .LBB98_27
; %bb.26:
	ds_load_2addr_b64 v[3:6], v12 offset1:2
	s_waitcnt lgkmcnt(0)
	v_dual_add_f32 v3, v5, v3 :: v_dual_add_f32 v4, v6, v4
	ds_store_b64 v12, v[3:4]
.LBB98_27:
	s_or_b32 exec_lo, exec_lo, s0
	s_mov_b32 s1, 0
	s_mov_b32 s0, 0
	s_mov_b32 s2, exec_lo
	s_waitcnt lgkmcnt(0)
	s_barrier
	buffer_gl0_inv
                                        ; implicit-def: $vgpr4
                                        ; implicit-def: $vgpr3
	v_cmpx_gt_u32_e32 19, v0
	s_xor_b32 s2, exec_lo, s2
; %bb.28:
	v_mul_u32_u24_e32 v3, 19, v0
	s_mov_b32 s0, exec_lo
	s_delay_alu instid0(VALU_DEP_1)
	v_lshlrev_b32_e32 v4, 3, v3
	v_mad_u32_u24 v3, v0, 19, 1
; %bb.29:
	s_or_b32 exec_lo, exec_lo, s2
	s_delay_alu instid0(SALU_CYCLE_1)
	s_and_b32 vcc_lo, exec_lo, s1
	s_cbranch_vccnz .LBB98_31
	s_branch .LBB98_42
.LBB98_30:
	s_mov_b32 s0, 0
                                        ; implicit-def: $vgpr4
                                        ; implicit-def: $vgpr3
	s_cbranch_execz .LBB98_42
.LBB98_31:
	s_mov_b32 s1, exec_lo
	v_cmpx_gt_u32_e32 57, v0
	s_cbranch_execz .LBB98_33
; %bb.32:
	ds_load_b64 v[3:4], v12 offset:2432
	ds_load_b64 v[5:6], v12
	s_waitcnt lgkmcnt(0)
	v_dual_add_f32 v3, v3, v5 :: v_dual_add_f32 v4, v4, v6
	ds_store_b64 v12, v[3:4]
.LBB98_33:
	s_or_b32 exec_lo, exec_lo, s1
	s_delay_alu instid0(SALU_CYCLE_1)
	s_mov_b32 s1, exec_lo
	s_waitcnt lgkmcnt(0)
	s_barrier
	buffer_gl0_inv
	v_cmpx_gt_u32_e32 0x98, v0
	s_cbranch_execz .LBB98_35
; %bb.34:
	ds_load_2addr_b64 v[3:6], v12 offset1:152
	s_waitcnt lgkmcnt(0)
	v_dual_add_f32 v3, v5, v3 :: v_dual_add_f32 v4, v6, v4
	ds_store_b64 v12, v[3:4]
.LBB98_35:
	s_or_b32 exec_lo, exec_lo, s1
	s_delay_alu instid0(SALU_CYCLE_1)
	s_mov_b32 s1, exec_lo
	s_waitcnt lgkmcnt(0)
	s_barrier
	buffer_gl0_inv
	v_cmpx_gt_u32_e32 0x4c, v0
	s_cbranch_execz .LBB98_37
; %bb.36:
	ds_load_2addr_b64 v[3:6], v12 offset1:76
	s_waitcnt lgkmcnt(0)
	v_dual_add_f32 v3, v5, v3 :: v_dual_add_f32 v4, v6, v4
	ds_store_b64 v12, v[3:4]
.LBB98_37:
	;; [unrolled: 14-line block ×3, first 2 shown]
	s_or_b32 exec_lo, exec_lo, s1
	s_delay_alu instid0(SALU_CYCLE_1)
	s_mov_b32 s1, exec_lo
	s_waitcnt lgkmcnt(0)
	buffer_gl0_inv
                                        ; implicit-def: $vgpr3
	v_cmpx_gt_u32_e32 19, v0
; %bb.40:
	v_add_nc_u32_e32 v3, 19, v0
	s_or_b32 s0, s0, exec_lo
                                        ; implicit-def: $vgpr2
; %bb.41:
	s_or_b32 exec_lo, exec_lo, s1
	v_mov_b32_e32 v4, v12
.LBB98_42:
	s_and_saveexec_b32 s1, s0
	s_cbranch_execnz .LBB98_45
; %bb.43:
	s_or_b32 exec_lo, exec_lo, s1
	v_cmp_gt_u32_e32 vcc_lo, 19, v0
	s_and_b32 exec_lo, exec_lo, vcc_lo
	s_cbranch_execnz .LBB98_46
.LBB98_44:
	s_nop 0
	s_sendmsg sendmsg(MSG_DEALLOC_VGPRS)
	s_endpgm
.LBB98_45:
	v_lshlrev_b32_e32 v3, 3, v3
	ds_load_2addr_b32 v[1:2], v4 offset1:1
	ds_load_b64 v[3:4], v3
	s_waitcnt lgkmcnt(0)
	v_dual_add_f32 v2, v4, v2 :: v_dual_add_f32 v1, v3, v1
	s_or_b32 exec_lo, exec_lo, s1
	v_cmp_gt_u32_e32 vcc_lo, 19, v0
	s_and_b32 exec_lo, exec_lo, vcc_lo
	s_cbranch_execz .LBB98_44
.LBB98_46:
	v_mul_f32_e64 v3, v2, -v11
	v_mul_f32_e32 v4, v2, v10
	v_cmp_eq_f32_e32 vcc_lo, 0, v8
	v_cmp_eq_f32_e64 s0, 0, v9
	s_delay_alu instid0(VALU_DEP_4) | instskip(NEXT) | instid1(VALU_DEP_4)
	v_fmac_f32_e32 v3, v10, v1
	v_fmac_f32_e32 v4, v11, v1
	s_delay_alu instid0(VALU_DEP_3) | instskip(NEXT) | instid1(SALU_CYCLE_1)
	s_and_b32 s0, vcc_lo, s0
	s_and_saveexec_b32 s1, s0
	s_delay_alu instid0(SALU_CYCLE_1)
	s_xor_b32 s0, exec_lo, s1
	s_cbranch_execz .LBB98_48
; %bb.47:
	v_mad_u64_u32 v[1:2], null, s8, 19, v[0:1]
	v_mov_b32_e32 v2, 0
                                        ; implicit-def: $vgpr8
                                        ; implicit-def: $vgpr9
	s_delay_alu instid0(VALU_DEP_1) | instskip(NEXT) | instid1(VALU_DEP_1)
	v_lshlrev_b64 v[0:1], 3, v[1:2]
	v_add_co_u32 v0, vcc_lo, s10, v0
	s_delay_alu instid0(VALU_DEP_2)
	v_add_co_ci_u32_e32 v1, vcc_lo, s11, v1, vcc_lo
	global_store_b64 v[0:1], v[3:4], off
                                        ; implicit-def: $vgpr0
                                        ; implicit-def: $vgpr3
.LBB98_48:
	s_and_not1_saveexec_b32 s0, s0
	s_cbranch_execz .LBB98_44
; %bb.49:
	v_mad_u64_u32 v[1:2], null, s8, 19, v[0:1]
	v_mov_b32_e32 v2, 0
	s_delay_alu instid0(VALU_DEP_1) | instskip(NEXT) | instid1(VALU_DEP_1)
	v_lshlrev_b64 v[0:1], 3, v[1:2]
	v_add_co_u32 v0, vcc_lo, s10, v0
	s_delay_alu instid0(VALU_DEP_2) | instskip(SKIP_4) | instid1(VALU_DEP_2)
	v_add_co_ci_u32_e32 v1, vcc_lo, s11, v1, vcc_lo
	global_load_b64 v[5:6], v[0:1], off
	s_waitcnt vmcnt(0)
	v_fmac_f32_e32 v3, v8, v5
	v_fmac_f32_e32 v4, v9, v5
	v_fma_f32 v3, -v9, v6, v3
	s_delay_alu instid0(VALU_DEP_2)
	v_fmac_f32_e32 v4, v8, v6
	global_store_b64 v[0:1], v[3:4], off
	s_nop 0
	s_sendmsg sendmsg(MSG_DEALLOC_VGPRS)
	s_endpgm
	.section	.rodata,"a",@progbits
	.p2align	6, 0x0
	.amdhsa_kernel _ZN9rocsparseL20bsrxmvn_17_32_kernelILj19E21rocsparse_complex_numIfEliS2_S2_S2_EEvT2_20rocsparse_direction_NS_24const_host_device_scalarIT0_EES3_PKS3_PKT1_SC_S9_PKT3_PKT4_S7_PT5_21rocsparse_index_base_b
		.amdhsa_group_segment_fixed_size 2888
		.amdhsa_private_segment_fixed_size 0
		.amdhsa_kernarg_size 96
		.amdhsa_user_sgpr_count 15
		.amdhsa_user_sgpr_dispatch_ptr 0
		.amdhsa_user_sgpr_queue_ptr 0
		.amdhsa_user_sgpr_kernarg_segment_ptr 1
		.amdhsa_user_sgpr_dispatch_id 0
		.amdhsa_user_sgpr_private_segment_size 0
		.amdhsa_wavefront_size32 1
		.amdhsa_uses_dynamic_stack 0
		.amdhsa_enable_private_segment 0
		.amdhsa_system_sgpr_workgroup_id_x 1
		.amdhsa_system_sgpr_workgroup_id_y 0
		.amdhsa_system_sgpr_workgroup_id_z 0
		.amdhsa_system_sgpr_workgroup_info 0
		.amdhsa_system_vgpr_workitem_id 0
		.amdhsa_next_free_vgpr 19
		.amdhsa_next_free_sgpr 21
		.amdhsa_reserve_vcc 1
		.amdhsa_float_round_mode_32 0
		.amdhsa_float_round_mode_16_64 0
		.amdhsa_float_denorm_mode_32 3
		.amdhsa_float_denorm_mode_16_64 3
		.amdhsa_dx10_clamp 1
		.amdhsa_ieee_mode 1
		.amdhsa_fp16_overflow 0
		.amdhsa_workgroup_processor_mode 1
		.amdhsa_memory_ordered 1
		.amdhsa_forward_progress 0
		.amdhsa_shared_vgpr_count 0
		.amdhsa_exception_fp_ieee_invalid_op 0
		.amdhsa_exception_fp_denorm_src 0
		.amdhsa_exception_fp_ieee_div_zero 0
		.amdhsa_exception_fp_ieee_overflow 0
		.amdhsa_exception_fp_ieee_underflow 0
		.amdhsa_exception_fp_ieee_inexact 0
		.amdhsa_exception_int_div_zero 0
	.end_amdhsa_kernel
	.section	.text._ZN9rocsparseL20bsrxmvn_17_32_kernelILj19E21rocsparse_complex_numIfEliS2_S2_S2_EEvT2_20rocsparse_direction_NS_24const_host_device_scalarIT0_EES3_PKS3_PKT1_SC_S9_PKT3_PKT4_S7_PT5_21rocsparse_index_base_b,"axG",@progbits,_ZN9rocsparseL20bsrxmvn_17_32_kernelILj19E21rocsparse_complex_numIfEliS2_S2_S2_EEvT2_20rocsparse_direction_NS_24const_host_device_scalarIT0_EES3_PKS3_PKT1_SC_S9_PKT3_PKT4_S7_PT5_21rocsparse_index_base_b,comdat
.Lfunc_end98:
	.size	_ZN9rocsparseL20bsrxmvn_17_32_kernelILj19E21rocsparse_complex_numIfEliS2_S2_S2_EEvT2_20rocsparse_direction_NS_24const_host_device_scalarIT0_EES3_PKS3_PKT1_SC_S9_PKT3_PKT4_S7_PT5_21rocsparse_index_base_b, .Lfunc_end98-_ZN9rocsparseL20bsrxmvn_17_32_kernelILj19E21rocsparse_complex_numIfEliS2_S2_S2_EEvT2_20rocsparse_direction_NS_24const_host_device_scalarIT0_EES3_PKS3_PKT1_SC_S9_PKT3_PKT4_S7_PT5_21rocsparse_index_base_b
                                        ; -- End function
	.section	.AMDGPU.csdata,"",@progbits
; Kernel info:
; codeLenInByte = 1936
; NumSgprs: 23
; NumVgprs: 19
; ScratchSize: 0
; MemoryBound: 0
; FloatMode: 240
; IeeeMode: 1
; LDSByteSize: 2888 bytes/workgroup (compile time only)
; SGPRBlocks: 2
; VGPRBlocks: 2
; NumSGPRsForWavesPerEU: 23
; NumVGPRsForWavesPerEU: 19
; Occupancy: 15
; WaveLimiterHint : 1
; COMPUTE_PGM_RSRC2:SCRATCH_EN: 0
; COMPUTE_PGM_RSRC2:USER_SGPR: 15
; COMPUTE_PGM_RSRC2:TRAP_HANDLER: 0
; COMPUTE_PGM_RSRC2:TGID_X_EN: 1
; COMPUTE_PGM_RSRC2:TGID_Y_EN: 0
; COMPUTE_PGM_RSRC2:TGID_Z_EN: 0
; COMPUTE_PGM_RSRC2:TIDIG_COMP_CNT: 0
	.section	.text._ZN9rocsparseL20bsrxmvn_17_32_kernelILj20E21rocsparse_complex_numIfEliS2_S2_S2_EEvT2_20rocsparse_direction_NS_24const_host_device_scalarIT0_EES3_PKS3_PKT1_SC_S9_PKT3_PKT4_S7_PT5_21rocsparse_index_base_b,"axG",@progbits,_ZN9rocsparseL20bsrxmvn_17_32_kernelILj20E21rocsparse_complex_numIfEliS2_S2_S2_EEvT2_20rocsparse_direction_NS_24const_host_device_scalarIT0_EES3_PKS3_PKT1_SC_S9_PKT3_PKT4_S7_PT5_21rocsparse_index_base_b,comdat
	.globl	_ZN9rocsparseL20bsrxmvn_17_32_kernelILj20E21rocsparse_complex_numIfEliS2_S2_S2_EEvT2_20rocsparse_direction_NS_24const_host_device_scalarIT0_EES3_PKS3_PKT1_SC_S9_PKT3_PKT4_S7_PT5_21rocsparse_index_base_b ; -- Begin function _ZN9rocsparseL20bsrxmvn_17_32_kernelILj20E21rocsparse_complex_numIfEliS2_S2_S2_EEvT2_20rocsparse_direction_NS_24const_host_device_scalarIT0_EES3_PKS3_PKT1_SC_S9_PKT3_PKT4_S7_PT5_21rocsparse_index_base_b
	.p2align	8
	.type	_ZN9rocsparseL20bsrxmvn_17_32_kernelILj20E21rocsparse_complex_numIfEliS2_S2_S2_EEvT2_20rocsparse_direction_NS_24const_host_device_scalarIT0_EES3_PKS3_PKT1_SC_S9_PKT3_PKT4_S7_PT5_21rocsparse_index_base_b,@function
_ZN9rocsparseL20bsrxmvn_17_32_kernelILj20E21rocsparse_complex_numIfEliS2_S2_S2_EEvT2_20rocsparse_direction_NS_24const_host_device_scalarIT0_EES3_PKS3_PKT1_SC_S9_PKT3_PKT4_S7_PT5_21rocsparse_index_base_b: ; @_ZN9rocsparseL20bsrxmvn_17_32_kernelILj20E21rocsparse_complex_numIfEliS2_S2_S2_EEvT2_20rocsparse_direction_NS_24const_host_device_scalarIT0_EES3_PKS3_PKT1_SC_S9_PKT3_PKT4_S7_PT5_21rocsparse_index_base_b
; %bb.0:
	s_clause 0x2
	s_load_b64 s[12:13], s[0:1], 0x58
	s_load_b64 s[4:5], s[0:1], 0x8
	;; [unrolled: 1-line block ×3, first 2 shown]
	s_mov_b32 s8, s15
	s_waitcnt lgkmcnt(0)
	s_bitcmp1_b32 s13, 0
	v_mov_b32_e32 v10, s4
	s_cselect_b32 s6, -1, 0
	s_delay_alu instid0(SALU_CYCLE_1)
	s_and_b32 vcc_lo, exec_lo, s6
	s_xor_b32 s6, s6, -1
	s_cbranch_vccz .LBB99_15
; %bb.1:
	v_cndmask_b32_e64 v1, 0, 1, s6
	v_mov_b32_e32 v11, s5
	s_and_not1_b32 vcc_lo, exec_lo, s6
	s_cbranch_vccz .LBB99_16
.LBB99_2:
	s_delay_alu instid0(VALU_DEP_2)
	v_cmp_ne_u32_e32 vcc_lo, 1, v1
	v_mov_b32_e32 v8, s2
	s_cbranch_vccz .LBB99_17
.LBB99_3:
	v_cmp_ne_u32_e32 vcc_lo, 1, v1
	v_mov_b32_e32 v9, s3
	s_cbranch_vccnz .LBB99_5
.LBB99_4:
	v_dual_mov_b32 v1, s2 :: v_dual_mov_b32 v2, s3
	flat_load_b32 v9, v[1:2] offset:4
.LBB99_5:
	s_waitcnt vmcnt(0) lgkmcnt(0)
	v_cmp_eq_f32_e32 vcc_lo, 0, v10
	v_cmp_eq_f32_e64 s2, 0, v11
	s_delay_alu instid0(VALU_DEP_1)
	s_and_b32 s4, vcc_lo, s2
	s_mov_b32 s2, -1
	s_and_saveexec_b32 s3, s4
; %bb.6:
	v_cmp_neq_f32_e32 vcc_lo, 1.0, v8
	v_cmp_neq_f32_e64 s2, 0, v9
	s_delay_alu instid0(VALU_DEP_1) | instskip(NEXT) | instid1(SALU_CYCLE_1)
	s_or_b32 s2, vcc_lo, s2
	s_or_not1_b32 s2, s2, exec_lo
; %bb.7:
	s_or_b32 exec_lo, exec_lo, s3
	s_and_saveexec_b32 s3, s2
	s_cbranch_execz .LBB99_44
; %bb.8:
	s_clause 0x1
	s_load_b128 s[4:7], s[0:1], 0x18
	s_load_b64 s[10:11], s[0:1], 0x28
	s_waitcnt lgkmcnt(0)
	s_cmp_eq_u64 s[4:5], 0
	s_cbranch_scc1 .LBB99_10
; %bb.9:
	s_ashr_i32 s9, s8, 31
	s_delay_alu instid0(SALU_CYCLE_1) | instskip(NEXT) | instid1(SALU_CYCLE_1)
	s_lshl_b64 s[2:3], s[8:9], 2
	s_add_u32 s2, s4, s2
	s_addc_u32 s3, s5, s3
	s_load_b32 s2, s[2:3], 0x0
	s_waitcnt lgkmcnt(0)
	s_sub_i32 s8, s2, s12
.LBB99_10:
	s_load_b32 s3, s[0:1], 0x4
	v_mul_u32_u24_e32 v1, 0xccd, v0
	v_mov_b32_e32 v2, 0
	v_lshlrev_b32_e32 v12, 3, v0
	s_delay_alu instid0(VALU_DEP_3) | instskip(NEXT) | instid1(VALU_DEP_1)
	v_lshrrev_b32_e32 v3, 16, v1
	v_mul_lo_u16 v1, v3, 20
	s_delay_alu instid0(VALU_DEP_1)
	v_sub_nc_u16 v13, v0, v1
	v_mov_b32_e32 v1, 0
	s_waitcnt lgkmcnt(0)
	s_cmp_eq_u32 s3, 1
	s_cselect_b32 s2, -1, 0
	s_cmp_lg_u32 s3, 1
	s_cselect_b32 s3, -1, 0
	s_ashr_i32 s9, s8, 31
	s_delay_alu instid0(SALU_CYCLE_1) | instskip(NEXT) | instid1(SALU_CYCLE_1)
	s_lshl_b64 s[4:5], s[8:9], 3
	s_add_u32 s6, s6, s4
	s_addc_u32 s7, s7, s5
	s_add_u32 s9, s6, 8
	s_addc_u32 s13, s7, 0
	s_add_u32 s4, s10, s4
	s_addc_u32 s5, s11, s5
	s_cmp_eq_u64 s[10:11], 0
	s_load_b64 s[10:11], s[0:1], 0x50
	s_cselect_b32 s5, s13, s5
	s_cselect_b32 s4, s9, s4
	s_load_b64 s[18:19], s[6:7], 0x0
	s_load_b64 s[14:15], s[4:5], 0x0
	s_waitcnt lgkmcnt(0)
	v_cmp_ge_i64_e64 s4, s[18:19], s[14:15]
	s_delay_alu instid0(VALU_DEP_1)
	s_and_b32 vcc_lo, exec_lo, s4
	s_cbranch_vccnz .LBB99_18
; %bb.11:
	v_mul_lo_u16 v1, v3, 13
	v_and_b32_e32 v2, 0xffff, v0
	s_sub_u32 s14, s14, s12
	s_subb_u32 s15, s15, 0
	s_sub_u32 s16, s18, s12
	v_lshrrev_b16 v1, 8, v1
	v_mul_u32_u24_e32 v2, 0xa4, v2
	s_subb_u32 s17, s19, 0
	s_clause 0x1
	s_load_b128 s[4:7], s[0:1], 0x30
	s_load_b64 s[0:1], s[0:1], 0x40
	s_mul_hi_u32 s9, s16, 0xc80
	v_mul_lo_u16 v1, v1, 20
	v_lshrrev_b32_e32 v14, 16, v2
	s_mul_i32 s13, s17, 0xc80
	v_and_b32_e32 v4, 0xffff, v13
	s_add_i32 s9, s9, s13
	v_sub_nc_u16 v1, v3, v1
	v_add_co_u32 v2, s13, s18, v14
	s_delay_alu instid0(VALU_DEP_1) | instskip(NEXT) | instid1(VALU_DEP_3)
	v_add_co_ci_u32_e64 v5, null, s19, 0, s13
	v_and_b32_e32 v1, 0xff, v1
	s_mul_i32 s20, s16, 0xc80
	s_delay_alu instid0(VALU_DEP_1)
	v_cndmask_b32_e64 v3, v4, v1, s2
	v_sub_co_u32 v4, vcc_lo, v2, s12
	v_mov_b32_e32 v2, 0
	v_subrev_co_ci_u32_e32 v5, vcc_lo, 0, v5, vcc_lo
	v_lshlrev_b32_e32 v1, 3, v0
	s_waitcnt lgkmcnt(0)
	s_add_u32 s2, s6, s20
	s_addc_u32 s6, s7, s9
	v_lshlrev_b64 v[6:7], 2, v[4:5]
	v_add_co_u32 v4, s2, s2, v1
	s_delay_alu instid0(VALU_DEP_1) | instskip(NEXT) | instid1(VALU_DEP_3)
	v_add_co_ci_u32_e64 v5, null, s6, 0, s2
	v_add_co_u32 v6, vcc_lo, s4, v6
	s_delay_alu instid0(VALU_DEP_4)
	v_add_co_ci_u32_e32 v7, vcc_lo, s5, v7, vcc_lo
	v_mov_b32_e32 v1, v2
	s_set_inst_prefetch_distance 0x1
	s_branch .LBB99_13
	.p2align	6
.LBB99_12:                              ;   in Loop: Header=BB99_13 Depth=1
	s_or_b32 exec_lo, exec_lo, s2
	s_add_u32 s16, s16, 1
	s_addc_u32 s17, s17, 0
	v_add_co_u32 v6, vcc_lo, v6, 4
	v_cmp_lt_i64_e64 s2, s[16:17], s[14:15]
	v_add_co_ci_u32_e32 v7, vcc_lo, 0, v7, vcc_lo
	s_delay_alu instid0(VALU_DEP_2)
	s_and_b32 vcc_lo, exec_lo, s2
	s_cbranch_vccz .LBB99_18
.LBB99_13:                              ; =>This Inner Loop Header: Depth=1
	v_add_co_u32 v15, s2, v14, s16
	s_delay_alu instid0(VALU_DEP_1) | instskip(SKIP_1) | instid1(VALU_DEP_1)
	v_add_co_ci_u32_e64 v16, null, 0, s17, s2
	s_mov_b32 s2, exec_lo
	v_cmpx_gt_i64_e64 s[14:15], v[15:16]
	s_cbranch_execz .LBB99_12
; %bb.14:                               ;   in Loop: Header=BB99_13 Depth=1
	global_load_b32 v15, v[6:7], off
	s_waitcnt vmcnt(0)
	v_subrev_nc_u32_e32 v17, s12, v15
	s_delay_alu instid0(VALU_DEP_1) | instskip(NEXT) | instid1(VALU_DEP_1)
	v_mad_u64_u32 v[15:16], null, v17, 20, v[3:4]
	v_ashrrev_i32_e32 v16, 31, v15
	s_delay_alu instid0(VALU_DEP_1) | instskip(NEXT) | instid1(VALU_DEP_1)
	v_lshlrev_b64 v[15:16], 3, v[15:16]
	v_add_co_u32 v15, vcc_lo, s0, v15
	s_delay_alu instid0(VALU_DEP_2)
	v_add_co_ci_u32_e32 v16, vcc_lo, s1, v16, vcc_lo
	global_load_b64 v[17:18], v[4:5], off
	global_load_b64 v[15:16], v[15:16], off
	v_add_co_u32 v4, vcc_lo, 0xc80, v4
	v_add_co_ci_u32_e32 v5, vcc_lo, 0, v5, vcc_lo
	s_waitcnt vmcnt(0)
	v_fmac_f32_e32 v1, v17, v15
	v_fmac_f32_e32 v2, v18, v15
	s_delay_alu instid0(VALU_DEP_2) | instskip(NEXT) | instid1(VALU_DEP_2)
	v_fma_f32 v1, -v18, v16, v1
	v_fmac_f32_e32 v2, v17, v16
	s_branch .LBB99_12
.LBB99_15:
	v_dual_mov_b32 v1, s4 :: v_dual_mov_b32 v2, s5
	flat_load_b32 v10, v[1:2]
	v_cndmask_b32_e64 v1, 0, 1, s6
	v_mov_b32_e32 v11, s5
	s_and_not1_b32 vcc_lo, exec_lo, s6
	s_cbranch_vccnz .LBB99_2
.LBB99_16:
	v_dual_mov_b32 v2, s4 :: v_dual_mov_b32 v3, s5
	flat_load_b32 v11, v[2:3] offset:4
	v_cmp_ne_u32_e32 vcc_lo, 1, v1
	v_mov_b32_e32 v8, s2
	s_cbranch_vccnz .LBB99_3
.LBB99_17:
	v_dual_mov_b32 v2, s2 :: v_dual_mov_b32 v3, s3
	flat_load_b32 v8, v[2:3]
	v_cmp_ne_u32_e32 vcc_lo, 1, v1
	v_mov_b32_e32 v9, s3
	s_cbranch_vccz .LBB99_4
	s_branch .LBB99_5
.LBB99_18:
	s_set_inst_prefetch_distance 0x2
	s_and_b32 vcc_lo, exec_lo, s3
	ds_store_b64 v12, v[1:2]
	s_waitcnt lgkmcnt(0)
	s_barrier
	buffer_gl0_inv
	s_cbranch_vccz .LBB99_30
; %bb.19:
	v_cmp_gt_u16_e32 vcc_lo, 4, v13
	s_and_saveexec_b32 s0, vcc_lo
	s_cbranch_execz .LBB99_21
; %bb.20:
	ds_load_2addr_b64 v[3:6], v12 offset1:16
	s_waitcnt lgkmcnt(0)
	v_dual_add_f32 v3, v5, v3 :: v_dual_add_f32 v4, v6, v4
	ds_store_b64 v12, v[3:4]
.LBB99_21:
	s_or_b32 exec_lo, exec_lo, s0
	s_delay_alu instid0(SALU_CYCLE_1)
	s_mov_b32 s1, exec_lo
	s_waitcnt lgkmcnt(0)
	s_barrier
	buffer_gl0_inv
	v_cmpx_gt_u16_e32 8, v13
	s_cbranch_execz .LBB99_23
; %bb.22:
	ds_load_2addr_b64 v[3:6], v12 offset1:8
	s_waitcnt lgkmcnt(0)
	v_dual_add_f32 v3, v5, v3 :: v_dual_add_f32 v4, v6, v4
	ds_store_b64 v12, v[3:4]
.LBB99_23:
	s_or_b32 exec_lo, exec_lo, s1
	s_waitcnt lgkmcnt(0)
	s_barrier
	buffer_gl0_inv
	s_and_saveexec_b32 s0, vcc_lo
	s_cbranch_execz .LBB99_25
; %bb.24:
	ds_load_2addr_b64 v[3:6], v12 offset1:4
	s_waitcnt lgkmcnt(0)
	v_dual_add_f32 v3, v5, v3 :: v_dual_add_f32 v4, v6, v4
	ds_store_b64 v12, v[3:4]
.LBB99_25:
	s_or_b32 exec_lo, exec_lo, s0
	s_delay_alu instid0(SALU_CYCLE_1)
	s_mov_b32 s0, exec_lo
	s_waitcnt lgkmcnt(0)
	s_barrier
	buffer_gl0_inv
	v_cmpx_gt_u16_e32 2, v13
	s_cbranch_execz .LBB99_27
; %bb.26:
	ds_load_2addr_b64 v[3:6], v12 offset1:2
	s_waitcnt lgkmcnt(0)
	v_dual_add_f32 v3, v5, v3 :: v_dual_add_f32 v4, v6, v4
	ds_store_b64 v12, v[3:4]
.LBB99_27:
	s_or_b32 exec_lo, exec_lo, s0
	s_mov_b32 s0, 0
	s_mov_b32 s1, 0
	s_mov_b32 s2, exec_lo
	s_waitcnt lgkmcnt(0)
	s_barrier
	buffer_gl0_inv
                                        ; implicit-def: $vgpr4
                                        ; implicit-def: $vgpr3
	v_cmpx_gt_u32_e32 20, v0
	s_xor_b32 s2, exec_lo, s2
; %bb.28:
	v_mul_u32_u24_e32 v3, 20, v0
	s_mov_b32 s1, exec_lo
	s_delay_alu instid0(VALU_DEP_1)
	v_lshlrev_b32_e32 v4, 3, v3
	v_or_b32_e32 v3, 1, v3
; %bb.29:
	s_or_b32 exec_lo, exec_lo, s2
	s_delay_alu instid0(SALU_CYCLE_1)
	s_and_b32 vcc_lo, exec_lo, s0
	s_cbranch_vccnz .LBB99_31
	s_branch .LBB99_42
.LBB99_30:
	s_mov_b32 s1, 0
                                        ; implicit-def: $vgpr4
                                        ; implicit-def: $vgpr3
	s_cbranch_execz .LBB99_42
.LBB99_31:
	v_cmp_gt_u32_e32 vcc_lo, 0x50, v0
	s_and_saveexec_b32 s0, vcc_lo
	s_cbranch_execz .LBB99_33
; %bb.32:
	ds_load_2addr_stride64_b64 v[3:6], v12 offset1:5
	s_waitcnt lgkmcnt(0)
	v_dual_add_f32 v3, v5, v3 :: v_dual_add_f32 v4, v6, v4
	ds_store_b64 v12, v[3:4]
.LBB99_33:
	s_or_b32 exec_lo, exec_lo, s0
	s_delay_alu instid0(SALU_CYCLE_1)
	s_mov_b32 s2, exec_lo
	s_waitcnt lgkmcnt(0)
	s_barrier
	buffer_gl0_inv
	v_cmpx_gt_u32_e32 0xa0, v0
	s_cbranch_execz .LBB99_35
; %bb.34:
	ds_load_2addr_b64 v[3:6], v12 offset1:160
	s_waitcnt lgkmcnt(0)
	v_dual_add_f32 v3, v5, v3 :: v_dual_add_f32 v4, v6, v4
	ds_store_b64 v12, v[3:4]
.LBB99_35:
	s_or_b32 exec_lo, exec_lo, s2
	s_waitcnt lgkmcnt(0)
	s_barrier
	buffer_gl0_inv
	s_and_saveexec_b32 s0, vcc_lo
	s_cbranch_execz .LBB99_37
; %bb.36:
	ds_load_2addr_b64 v[3:6], v12 offset1:80
	s_waitcnt lgkmcnt(0)
	v_dual_add_f32 v3, v5, v3 :: v_dual_add_f32 v4, v6, v4
	ds_store_b64 v12, v[3:4]
.LBB99_37:
	s_or_b32 exec_lo, exec_lo, s0
	s_delay_alu instid0(SALU_CYCLE_1)
	s_mov_b32 s0, exec_lo
	s_waitcnt lgkmcnt(0)
	s_barrier
	buffer_gl0_inv
	v_cmpx_gt_u32_e32 40, v0
	s_cbranch_execz .LBB99_39
; %bb.38:
	ds_load_2addr_b64 v[3:6], v12 offset1:40
	s_waitcnt lgkmcnt(0)
	v_dual_add_f32 v3, v5, v3 :: v_dual_add_f32 v4, v6, v4
	ds_store_b64 v12, v[3:4]
.LBB99_39:
	s_or_b32 exec_lo, exec_lo, s0
	s_delay_alu instid0(SALU_CYCLE_1)
	s_mov_b32 s0, exec_lo
	s_waitcnt lgkmcnt(0)
	buffer_gl0_inv
                                        ; implicit-def: $vgpr3
	v_cmpx_gt_u32_e32 20, v0
; %bb.40:
	v_add_nc_u32_e32 v3, 20, v0
	s_or_b32 s1, s1, exec_lo
                                        ; implicit-def: $vgpr2
; %bb.41:
	s_or_b32 exec_lo, exec_lo, s0
	v_mov_b32_e32 v4, v12
.LBB99_42:
	s_and_saveexec_b32 s0, s1
	s_cbranch_execnz .LBB99_45
; %bb.43:
	s_or_b32 exec_lo, exec_lo, s0
	v_cmp_gt_u32_e32 vcc_lo, 20, v0
	s_and_b32 exec_lo, exec_lo, vcc_lo
	s_cbranch_execnz .LBB99_46
.LBB99_44:
	s_nop 0
	s_sendmsg sendmsg(MSG_DEALLOC_VGPRS)
	s_endpgm
.LBB99_45:
	v_lshlrev_b32_e32 v3, 3, v3
	ds_load_2addr_b32 v[1:2], v4 offset1:1
	ds_load_b64 v[3:4], v3
	s_waitcnt lgkmcnt(0)
	v_dual_add_f32 v2, v4, v2 :: v_dual_add_f32 v1, v3, v1
	s_or_b32 exec_lo, exec_lo, s0
	v_cmp_gt_u32_e32 vcc_lo, 20, v0
	s_and_b32 exec_lo, exec_lo, vcc_lo
	s_cbranch_execz .LBB99_44
.LBB99_46:
	v_mul_f32_e64 v3, v2, -v11
	v_mul_f32_e32 v4, v2, v10
	v_cmp_eq_f32_e32 vcc_lo, 0, v8
	v_cmp_eq_f32_e64 s0, 0, v9
	s_delay_alu instid0(VALU_DEP_4) | instskip(NEXT) | instid1(VALU_DEP_4)
	v_fmac_f32_e32 v3, v10, v1
	v_fmac_f32_e32 v4, v11, v1
	s_delay_alu instid0(VALU_DEP_3) | instskip(NEXT) | instid1(SALU_CYCLE_1)
	s_and_b32 s0, vcc_lo, s0
	s_and_saveexec_b32 s1, s0
	s_delay_alu instid0(SALU_CYCLE_1)
	s_xor_b32 s0, exec_lo, s1
	s_cbranch_execz .LBB99_48
; %bb.47:
	v_mad_u64_u32 v[1:2], null, s8, 20, v[0:1]
	v_mov_b32_e32 v2, 0
                                        ; implicit-def: $vgpr8
                                        ; implicit-def: $vgpr9
	s_delay_alu instid0(VALU_DEP_1) | instskip(NEXT) | instid1(VALU_DEP_1)
	v_lshlrev_b64 v[0:1], 3, v[1:2]
	v_add_co_u32 v0, vcc_lo, s10, v0
	s_delay_alu instid0(VALU_DEP_2)
	v_add_co_ci_u32_e32 v1, vcc_lo, s11, v1, vcc_lo
	global_store_b64 v[0:1], v[3:4], off
                                        ; implicit-def: $vgpr0
                                        ; implicit-def: $vgpr3
.LBB99_48:
	s_and_not1_saveexec_b32 s0, s0
	s_cbranch_execz .LBB99_44
; %bb.49:
	v_mad_u64_u32 v[1:2], null, s8, 20, v[0:1]
	v_mov_b32_e32 v2, 0
	s_delay_alu instid0(VALU_DEP_1) | instskip(NEXT) | instid1(VALU_DEP_1)
	v_lshlrev_b64 v[0:1], 3, v[1:2]
	v_add_co_u32 v0, vcc_lo, s10, v0
	s_delay_alu instid0(VALU_DEP_2) | instskip(SKIP_4) | instid1(VALU_DEP_2)
	v_add_co_ci_u32_e32 v1, vcc_lo, s11, v1, vcc_lo
	global_load_b64 v[5:6], v[0:1], off
	s_waitcnt vmcnt(0)
	v_fmac_f32_e32 v3, v8, v5
	v_fmac_f32_e32 v4, v9, v5
	v_fma_f32 v3, -v9, v6, v3
	s_delay_alu instid0(VALU_DEP_2)
	v_fmac_f32_e32 v4, v8, v6
	global_store_b64 v[0:1], v[3:4], off
	s_nop 0
	s_sendmsg sendmsg(MSG_DEALLOC_VGPRS)
	s_endpgm
	.section	.rodata,"a",@progbits
	.p2align	6, 0x0
	.amdhsa_kernel _ZN9rocsparseL20bsrxmvn_17_32_kernelILj20E21rocsparse_complex_numIfEliS2_S2_S2_EEvT2_20rocsparse_direction_NS_24const_host_device_scalarIT0_EES3_PKS3_PKT1_SC_S9_PKT3_PKT4_S7_PT5_21rocsparse_index_base_b
		.amdhsa_group_segment_fixed_size 3200
		.amdhsa_private_segment_fixed_size 0
		.amdhsa_kernarg_size 96
		.amdhsa_user_sgpr_count 15
		.amdhsa_user_sgpr_dispatch_ptr 0
		.amdhsa_user_sgpr_queue_ptr 0
		.amdhsa_user_sgpr_kernarg_segment_ptr 1
		.amdhsa_user_sgpr_dispatch_id 0
		.amdhsa_user_sgpr_private_segment_size 0
		.amdhsa_wavefront_size32 1
		.amdhsa_uses_dynamic_stack 0
		.amdhsa_enable_private_segment 0
		.amdhsa_system_sgpr_workgroup_id_x 1
		.amdhsa_system_sgpr_workgroup_id_y 0
		.amdhsa_system_sgpr_workgroup_id_z 0
		.amdhsa_system_sgpr_workgroup_info 0
		.amdhsa_system_vgpr_workitem_id 0
		.amdhsa_next_free_vgpr 19
		.amdhsa_next_free_sgpr 21
		.amdhsa_reserve_vcc 1
		.amdhsa_float_round_mode_32 0
		.amdhsa_float_round_mode_16_64 0
		.amdhsa_float_denorm_mode_32 3
		.amdhsa_float_denorm_mode_16_64 3
		.amdhsa_dx10_clamp 1
		.amdhsa_ieee_mode 1
		.amdhsa_fp16_overflow 0
		.amdhsa_workgroup_processor_mode 1
		.amdhsa_memory_ordered 1
		.amdhsa_forward_progress 0
		.amdhsa_shared_vgpr_count 0
		.amdhsa_exception_fp_ieee_invalid_op 0
		.amdhsa_exception_fp_denorm_src 0
		.amdhsa_exception_fp_ieee_div_zero 0
		.amdhsa_exception_fp_ieee_overflow 0
		.amdhsa_exception_fp_ieee_underflow 0
		.amdhsa_exception_fp_ieee_inexact 0
		.amdhsa_exception_int_div_zero 0
	.end_amdhsa_kernel
	.section	.text._ZN9rocsparseL20bsrxmvn_17_32_kernelILj20E21rocsparse_complex_numIfEliS2_S2_S2_EEvT2_20rocsparse_direction_NS_24const_host_device_scalarIT0_EES3_PKS3_PKT1_SC_S9_PKT3_PKT4_S7_PT5_21rocsparse_index_base_b,"axG",@progbits,_ZN9rocsparseL20bsrxmvn_17_32_kernelILj20E21rocsparse_complex_numIfEliS2_S2_S2_EEvT2_20rocsparse_direction_NS_24const_host_device_scalarIT0_EES3_PKS3_PKT1_SC_S9_PKT3_PKT4_S7_PT5_21rocsparse_index_base_b,comdat
.Lfunc_end99:
	.size	_ZN9rocsparseL20bsrxmvn_17_32_kernelILj20E21rocsparse_complex_numIfEliS2_S2_S2_EEvT2_20rocsparse_direction_NS_24const_host_device_scalarIT0_EES3_PKS3_PKT1_SC_S9_PKT3_PKT4_S7_PT5_21rocsparse_index_base_b, .Lfunc_end99-_ZN9rocsparseL20bsrxmvn_17_32_kernelILj20E21rocsparse_complex_numIfEliS2_S2_S2_EEvT2_20rocsparse_direction_NS_24const_host_device_scalarIT0_EES3_PKS3_PKT1_SC_S9_PKT3_PKT4_S7_PT5_21rocsparse_index_base_b
                                        ; -- End function
	.section	.AMDGPU.csdata,"",@progbits
; Kernel info:
; codeLenInByte = 1908
; NumSgprs: 23
; NumVgprs: 19
; ScratchSize: 0
; MemoryBound: 0
; FloatMode: 240
; IeeeMode: 1
; LDSByteSize: 3200 bytes/workgroup (compile time only)
; SGPRBlocks: 2
; VGPRBlocks: 2
; NumSGPRsForWavesPerEU: 23
; NumVGPRsForWavesPerEU: 19
; Occupancy: 13
; WaveLimiterHint : 1
; COMPUTE_PGM_RSRC2:SCRATCH_EN: 0
; COMPUTE_PGM_RSRC2:USER_SGPR: 15
; COMPUTE_PGM_RSRC2:TRAP_HANDLER: 0
; COMPUTE_PGM_RSRC2:TGID_X_EN: 1
; COMPUTE_PGM_RSRC2:TGID_Y_EN: 0
; COMPUTE_PGM_RSRC2:TGID_Z_EN: 0
; COMPUTE_PGM_RSRC2:TIDIG_COMP_CNT: 0
	.section	.text._ZN9rocsparseL20bsrxmvn_17_32_kernelILj21E21rocsparse_complex_numIfEliS2_S2_S2_EEvT2_20rocsparse_direction_NS_24const_host_device_scalarIT0_EES3_PKS3_PKT1_SC_S9_PKT3_PKT4_S7_PT5_21rocsparse_index_base_b,"axG",@progbits,_ZN9rocsparseL20bsrxmvn_17_32_kernelILj21E21rocsparse_complex_numIfEliS2_S2_S2_EEvT2_20rocsparse_direction_NS_24const_host_device_scalarIT0_EES3_PKS3_PKT1_SC_S9_PKT3_PKT4_S7_PT5_21rocsparse_index_base_b,comdat
	.globl	_ZN9rocsparseL20bsrxmvn_17_32_kernelILj21E21rocsparse_complex_numIfEliS2_S2_S2_EEvT2_20rocsparse_direction_NS_24const_host_device_scalarIT0_EES3_PKS3_PKT1_SC_S9_PKT3_PKT4_S7_PT5_21rocsparse_index_base_b ; -- Begin function _ZN9rocsparseL20bsrxmvn_17_32_kernelILj21E21rocsparse_complex_numIfEliS2_S2_S2_EEvT2_20rocsparse_direction_NS_24const_host_device_scalarIT0_EES3_PKS3_PKT1_SC_S9_PKT3_PKT4_S7_PT5_21rocsparse_index_base_b
	.p2align	8
	.type	_ZN9rocsparseL20bsrxmvn_17_32_kernelILj21E21rocsparse_complex_numIfEliS2_S2_S2_EEvT2_20rocsparse_direction_NS_24const_host_device_scalarIT0_EES3_PKS3_PKT1_SC_S9_PKT3_PKT4_S7_PT5_21rocsparse_index_base_b,@function
_ZN9rocsparseL20bsrxmvn_17_32_kernelILj21E21rocsparse_complex_numIfEliS2_S2_S2_EEvT2_20rocsparse_direction_NS_24const_host_device_scalarIT0_EES3_PKS3_PKT1_SC_S9_PKT3_PKT4_S7_PT5_21rocsparse_index_base_b: ; @_ZN9rocsparseL20bsrxmvn_17_32_kernelILj21E21rocsparse_complex_numIfEliS2_S2_S2_EEvT2_20rocsparse_direction_NS_24const_host_device_scalarIT0_EES3_PKS3_PKT1_SC_S9_PKT3_PKT4_S7_PT5_21rocsparse_index_base_b
; %bb.0:
	s_clause 0x2
	s_load_b64 s[12:13], s[0:1], 0x58
	s_load_b64 s[4:5], s[0:1], 0x8
	;; [unrolled: 1-line block ×3, first 2 shown]
	s_mov_b32 s8, s15
	s_waitcnt lgkmcnt(0)
	s_bitcmp1_b32 s13, 0
	v_mov_b32_e32 v10, s4
	s_cselect_b32 s6, -1, 0
	s_delay_alu instid0(SALU_CYCLE_1)
	s_and_b32 vcc_lo, exec_lo, s6
	s_xor_b32 s6, s6, -1
	s_cbranch_vccz .LBB100_15
; %bb.1:
	v_cndmask_b32_e64 v1, 0, 1, s6
	v_mov_b32_e32 v11, s5
	s_and_not1_b32 vcc_lo, exec_lo, s6
	s_cbranch_vccz .LBB100_16
.LBB100_2:
	s_delay_alu instid0(VALU_DEP_2)
	v_cmp_ne_u32_e32 vcc_lo, 1, v1
	v_mov_b32_e32 v8, s2
	s_cbranch_vccz .LBB100_17
.LBB100_3:
	v_cmp_ne_u32_e32 vcc_lo, 1, v1
	v_mov_b32_e32 v9, s3
	s_cbranch_vccnz .LBB100_5
.LBB100_4:
	v_dual_mov_b32 v1, s2 :: v_dual_mov_b32 v2, s3
	flat_load_b32 v9, v[1:2] offset:4
.LBB100_5:
	s_waitcnt vmcnt(0) lgkmcnt(0)
	v_cmp_eq_f32_e32 vcc_lo, 0, v10
	v_cmp_eq_f32_e64 s2, 0, v11
	s_delay_alu instid0(VALU_DEP_1)
	s_and_b32 s4, vcc_lo, s2
	s_mov_b32 s2, -1
	s_and_saveexec_b32 s3, s4
; %bb.6:
	v_cmp_neq_f32_e32 vcc_lo, 1.0, v8
	v_cmp_neq_f32_e64 s2, 0, v9
	s_delay_alu instid0(VALU_DEP_1) | instskip(NEXT) | instid1(SALU_CYCLE_1)
	s_or_b32 s2, vcc_lo, s2
	s_or_not1_b32 s2, s2, exec_lo
; %bb.7:
	s_or_b32 exec_lo, exec_lo, s3
	s_and_saveexec_b32 s3, s2
	s_cbranch_execz .LBB100_44
; %bb.8:
	s_clause 0x1
	s_load_b128 s[4:7], s[0:1], 0x18
	s_load_b64 s[10:11], s[0:1], 0x28
	s_waitcnt lgkmcnt(0)
	s_cmp_eq_u64 s[4:5], 0
	s_cbranch_scc1 .LBB100_10
; %bb.9:
	s_ashr_i32 s9, s8, 31
	s_delay_alu instid0(SALU_CYCLE_1) | instskip(NEXT) | instid1(SALU_CYCLE_1)
	s_lshl_b64 s[2:3], s[8:9], 2
	s_add_u32 s2, s4, s2
	s_addc_u32 s3, s5, s3
	s_load_b32 s2, s[2:3], 0x0
	s_waitcnt lgkmcnt(0)
	s_sub_i32 s8, s2, s12
.LBB100_10:
	s_load_b32 s3, s[0:1], 0x4
	v_mul_u32_u24_e32 v1, 0xc31, v0
	v_mov_b32_e32 v2, 0
	v_lshlrev_b32_e32 v12, 3, v0
	s_delay_alu instid0(VALU_DEP_3) | instskip(NEXT) | instid1(VALU_DEP_1)
	v_lshrrev_b32_e32 v3, 16, v1
	v_mul_lo_u16 v1, v3, 21
	s_delay_alu instid0(VALU_DEP_1)
	v_sub_nc_u16 v13, v0, v1
	v_mov_b32_e32 v1, 0
	s_waitcnt lgkmcnt(0)
	s_cmp_eq_u32 s3, 1
	s_cselect_b32 s2, -1, 0
	s_cmp_lg_u32 s3, 1
	s_cselect_b32 s3, -1, 0
	s_ashr_i32 s9, s8, 31
	s_delay_alu instid0(SALU_CYCLE_1) | instskip(NEXT) | instid1(SALU_CYCLE_1)
	s_lshl_b64 s[4:5], s[8:9], 3
	s_add_u32 s6, s6, s4
	s_addc_u32 s7, s7, s5
	s_add_u32 s9, s6, 8
	s_addc_u32 s13, s7, 0
	;; [unrolled: 2-line block ×3, first 2 shown]
	s_cmp_eq_u64 s[10:11], 0
	s_load_b64 s[10:11], s[0:1], 0x50
	s_cselect_b32 s5, s13, s5
	s_cselect_b32 s4, s9, s4
	s_load_b64 s[18:19], s[6:7], 0x0
	s_load_b64 s[14:15], s[4:5], 0x0
	s_waitcnt lgkmcnt(0)
	v_cmp_ge_i64_e64 s4, s[18:19], s[14:15]
	s_delay_alu instid0(VALU_DEP_1)
	s_and_b32 vcc_lo, exec_lo, s4
	s_cbranch_vccnz .LBB100_18
; %bb.11:
	v_mul_lo_u16 v1, v3, 25
	v_and_b32_e32 v2, 0xffff, v0
	s_sub_u32 s14, s14, s12
	s_subb_u32 s15, s15, 0
	s_sub_u32 s16, s18, s12
	v_lshrrev_b16 v1, 9, v1
	v_mul_u32_u24_e32 v2, 0x253, v2
	s_subb_u32 s17, s19, 0
	s_clause 0x1
	s_load_b128 s[4:7], s[0:1], 0x30
	s_load_b64 s[0:1], s[0:1], 0x40
	s_mul_hi_u32 s9, s16, 0xdc8
	v_mul_lo_u16 v1, v1, 21
	v_lshrrev_b32_e32 v14, 18, v2
	s_mul_i32 s13, s17, 0xdc8
	v_and_b32_e32 v4, 0xffff, v13
	s_add_i32 s9, s9, s13
	v_sub_nc_u16 v1, v3, v1
	v_add_co_u32 v2, s13, s18, v14
	s_delay_alu instid0(VALU_DEP_1) | instskip(NEXT) | instid1(VALU_DEP_3)
	v_add_co_ci_u32_e64 v5, null, s19, 0, s13
	v_and_b32_e32 v1, 0xff, v1
	s_mul_i32 s20, s16, 0xdc8
	s_delay_alu instid0(VALU_DEP_1)
	v_cndmask_b32_e64 v3, v4, v1, s2
	v_sub_co_u32 v4, vcc_lo, v2, s12
	v_mov_b32_e32 v2, 0
	v_subrev_co_ci_u32_e32 v5, vcc_lo, 0, v5, vcc_lo
	v_lshlrev_b32_e32 v1, 3, v0
	s_waitcnt lgkmcnt(0)
	s_add_u32 s2, s6, s20
	s_addc_u32 s6, s7, s9
	v_lshlrev_b64 v[6:7], 2, v[4:5]
	v_add_co_u32 v4, s2, s2, v1
	s_delay_alu instid0(VALU_DEP_1) | instskip(NEXT) | instid1(VALU_DEP_3)
	v_add_co_ci_u32_e64 v5, null, s6, 0, s2
	v_add_co_u32 v6, vcc_lo, s4, v6
	s_delay_alu instid0(VALU_DEP_4)
	v_add_co_ci_u32_e32 v7, vcc_lo, s5, v7, vcc_lo
	v_mov_b32_e32 v1, v2
	s_set_inst_prefetch_distance 0x1
	s_branch .LBB100_13
	.p2align	6
.LBB100_12:                             ;   in Loop: Header=BB100_13 Depth=1
	s_or_b32 exec_lo, exec_lo, s2
	s_add_u32 s16, s16, 1
	s_addc_u32 s17, s17, 0
	v_add_co_u32 v6, vcc_lo, v6, 4
	v_cmp_lt_i64_e64 s2, s[16:17], s[14:15]
	v_add_co_ci_u32_e32 v7, vcc_lo, 0, v7, vcc_lo
	s_delay_alu instid0(VALU_DEP_2)
	s_and_b32 vcc_lo, exec_lo, s2
	s_cbranch_vccz .LBB100_18
.LBB100_13:                             ; =>This Inner Loop Header: Depth=1
	v_add_co_u32 v15, s2, v14, s16
	s_delay_alu instid0(VALU_DEP_1) | instskip(SKIP_1) | instid1(VALU_DEP_1)
	v_add_co_ci_u32_e64 v16, null, 0, s17, s2
	s_mov_b32 s2, exec_lo
	v_cmpx_gt_i64_e64 s[14:15], v[15:16]
	s_cbranch_execz .LBB100_12
; %bb.14:                               ;   in Loop: Header=BB100_13 Depth=1
	global_load_b32 v15, v[6:7], off
	s_waitcnt vmcnt(0)
	v_subrev_nc_u32_e32 v17, s12, v15
	s_delay_alu instid0(VALU_DEP_1) | instskip(NEXT) | instid1(VALU_DEP_1)
	v_mad_u64_u32 v[15:16], null, v17, 21, v[3:4]
	v_ashrrev_i32_e32 v16, 31, v15
	s_delay_alu instid0(VALU_DEP_1) | instskip(NEXT) | instid1(VALU_DEP_1)
	v_lshlrev_b64 v[15:16], 3, v[15:16]
	v_add_co_u32 v15, vcc_lo, s0, v15
	s_delay_alu instid0(VALU_DEP_2)
	v_add_co_ci_u32_e32 v16, vcc_lo, s1, v16, vcc_lo
	global_load_b64 v[17:18], v[4:5], off
	global_load_b64 v[15:16], v[15:16], off
	v_add_co_u32 v4, vcc_lo, 0xdc8, v4
	v_add_co_ci_u32_e32 v5, vcc_lo, 0, v5, vcc_lo
	s_waitcnt vmcnt(0)
	v_fmac_f32_e32 v1, v17, v15
	v_fmac_f32_e32 v2, v18, v15
	s_delay_alu instid0(VALU_DEP_2) | instskip(NEXT) | instid1(VALU_DEP_2)
	v_fma_f32 v1, -v18, v16, v1
	v_fmac_f32_e32 v2, v17, v16
	s_branch .LBB100_12
.LBB100_15:
	v_dual_mov_b32 v1, s4 :: v_dual_mov_b32 v2, s5
	flat_load_b32 v10, v[1:2]
	v_cndmask_b32_e64 v1, 0, 1, s6
	v_mov_b32_e32 v11, s5
	s_and_not1_b32 vcc_lo, exec_lo, s6
	s_cbranch_vccnz .LBB100_2
.LBB100_16:
	v_dual_mov_b32 v2, s4 :: v_dual_mov_b32 v3, s5
	flat_load_b32 v11, v[2:3] offset:4
	v_cmp_ne_u32_e32 vcc_lo, 1, v1
	v_mov_b32_e32 v8, s2
	s_cbranch_vccnz .LBB100_3
.LBB100_17:
	v_dual_mov_b32 v2, s2 :: v_dual_mov_b32 v3, s3
	flat_load_b32 v8, v[2:3]
	v_cmp_ne_u32_e32 vcc_lo, 1, v1
	v_mov_b32_e32 v9, s3
	s_cbranch_vccz .LBB100_4
	s_branch .LBB100_5
.LBB100_18:
	s_set_inst_prefetch_distance 0x2
	s_and_b32 vcc_lo, exec_lo, s3
	ds_store_b64 v12, v[1:2]
	s_waitcnt lgkmcnt(0)
	s_barrier
	buffer_gl0_inv
	s_cbranch_vccz .LBB100_30
; %bb.19:
	s_mov_b32 s0, exec_lo
	v_cmpx_gt_u16_e32 5, v13
	s_cbranch_execz .LBB100_21
; %bb.20:
	ds_load_2addr_b64 v[3:6], v12 offset1:16
	s_waitcnt lgkmcnt(0)
	v_dual_add_f32 v3, v5, v3 :: v_dual_add_f32 v4, v6, v4
	ds_store_b64 v12, v[3:4]
.LBB100_21:
	s_or_b32 exec_lo, exec_lo, s0
	s_delay_alu instid0(SALU_CYCLE_1)
	s_mov_b32 s0, exec_lo
	s_waitcnt lgkmcnt(0)
	s_barrier
	buffer_gl0_inv
	v_cmpx_gt_u16_e32 8, v13
	s_cbranch_execz .LBB100_23
; %bb.22:
	ds_load_2addr_b64 v[3:6], v12 offset1:8
	s_waitcnt lgkmcnt(0)
	v_dual_add_f32 v3, v5, v3 :: v_dual_add_f32 v4, v6, v4
	ds_store_b64 v12, v[3:4]
.LBB100_23:
	s_or_b32 exec_lo, exec_lo, s0
	s_delay_alu instid0(SALU_CYCLE_1)
	s_mov_b32 s0, exec_lo
	s_waitcnt lgkmcnt(0)
	s_barrier
	buffer_gl0_inv
	;; [unrolled: 14-line block ×3, first 2 shown]
	v_cmpx_gt_u16_e32 2, v13
	s_cbranch_execz .LBB100_27
; %bb.26:
	ds_load_2addr_b64 v[3:6], v12 offset1:2
	s_waitcnt lgkmcnt(0)
	v_dual_add_f32 v3, v5, v3 :: v_dual_add_f32 v4, v6, v4
	ds_store_b64 v12, v[3:4]
.LBB100_27:
	s_or_b32 exec_lo, exec_lo, s0
	s_mov_b32 s1, 0
	s_mov_b32 s0, 0
	s_mov_b32 s2, exec_lo
	s_waitcnt lgkmcnt(0)
	s_barrier
	buffer_gl0_inv
                                        ; implicit-def: $vgpr4
                                        ; implicit-def: $vgpr3
	v_cmpx_gt_u32_e32 21, v0
	s_xor_b32 s2, exec_lo, s2
; %bb.28:
	v_mul_u32_u24_e32 v3, 21, v0
	s_mov_b32 s0, exec_lo
	s_delay_alu instid0(VALU_DEP_1)
	v_lshlrev_b32_e32 v4, 3, v3
	v_mad_u32_u24 v3, v0, 21, 1
; %bb.29:
	s_or_b32 exec_lo, exec_lo, s2
	s_delay_alu instid0(SALU_CYCLE_1)
	s_and_b32 vcc_lo, exec_lo, s1
	s_cbranch_vccnz .LBB100_31
	s_branch .LBB100_42
.LBB100_30:
	s_mov_b32 s0, 0
                                        ; implicit-def: $vgpr4
                                        ; implicit-def: $vgpr3
	s_cbranch_execz .LBB100_42
.LBB100_31:
	s_mov_b32 s1, exec_lo
	v_cmpx_gt_u32_e32 0x69, v0
	s_cbranch_execz .LBB100_33
; %bb.32:
	ds_load_b64 v[3:4], v12 offset:2688
	ds_load_b64 v[5:6], v12
	s_waitcnt lgkmcnt(0)
	v_dual_add_f32 v3, v3, v5 :: v_dual_add_f32 v4, v4, v6
	ds_store_b64 v12, v[3:4]
.LBB100_33:
	s_or_b32 exec_lo, exec_lo, s1
	s_delay_alu instid0(SALU_CYCLE_1)
	s_mov_b32 s1, exec_lo
	s_waitcnt lgkmcnt(0)
	s_barrier
	buffer_gl0_inv
	v_cmpx_gt_u32_e32 0xa8, v0
	s_cbranch_execz .LBB100_35
; %bb.34:
	ds_load_2addr_b64 v[3:6], v12 offset1:168
	s_waitcnt lgkmcnt(0)
	v_dual_add_f32 v3, v5, v3 :: v_dual_add_f32 v4, v6, v4
	ds_store_b64 v12, v[3:4]
.LBB100_35:
	s_or_b32 exec_lo, exec_lo, s1
	s_delay_alu instid0(SALU_CYCLE_1)
	s_mov_b32 s1, exec_lo
	s_waitcnt lgkmcnt(0)
	s_barrier
	buffer_gl0_inv
	v_cmpx_gt_u32_e32 0x54, v0
	s_cbranch_execz .LBB100_37
; %bb.36:
	ds_load_2addr_b64 v[3:6], v12 offset1:84
	s_waitcnt lgkmcnt(0)
	v_dual_add_f32 v3, v5, v3 :: v_dual_add_f32 v4, v6, v4
	ds_store_b64 v12, v[3:4]
.LBB100_37:
	s_or_b32 exec_lo, exec_lo, s1
	s_delay_alu instid0(SALU_CYCLE_1)
	s_mov_b32 s1, exec_lo
	s_waitcnt lgkmcnt(0)
	s_barrier
	buffer_gl0_inv
	v_cmpx_gt_u32_e32 42, v0
	s_cbranch_execz .LBB100_39
; %bb.38:
	ds_load_2addr_b64 v[3:6], v12 offset1:42
	s_waitcnt lgkmcnt(0)
	v_dual_add_f32 v3, v5, v3 :: v_dual_add_f32 v4, v6, v4
	ds_store_b64 v12, v[3:4]
.LBB100_39:
	s_or_b32 exec_lo, exec_lo, s1
	s_delay_alu instid0(SALU_CYCLE_1)
	s_mov_b32 s1, exec_lo
	s_waitcnt lgkmcnt(0)
	buffer_gl0_inv
                                        ; implicit-def: $vgpr3
	v_cmpx_gt_u32_e32 21, v0
; %bb.40:
	v_add_nc_u32_e32 v3, 21, v0
	s_or_b32 s0, s0, exec_lo
                                        ; implicit-def: $vgpr2
; %bb.41:
	s_or_b32 exec_lo, exec_lo, s1
	v_mov_b32_e32 v4, v12
.LBB100_42:
	s_and_saveexec_b32 s1, s0
	s_cbranch_execnz .LBB100_45
; %bb.43:
	s_or_b32 exec_lo, exec_lo, s1
	v_cmp_gt_u32_e32 vcc_lo, 21, v0
	s_and_b32 exec_lo, exec_lo, vcc_lo
	s_cbranch_execnz .LBB100_46
.LBB100_44:
	s_nop 0
	s_sendmsg sendmsg(MSG_DEALLOC_VGPRS)
	s_endpgm
.LBB100_45:
	v_lshlrev_b32_e32 v3, 3, v3
	ds_load_2addr_b32 v[1:2], v4 offset1:1
	ds_load_b64 v[3:4], v3
	s_waitcnt lgkmcnt(0)
	v_dual_add_f32 v2, v4, v2 :: v_dual_add_f32 v1, v3, v1
	s_or_b32 exec_lo, exec_lo, s1
	v_cmp_gt_u32_e32 vcc_lo, 21, v0
	s_and_b32 exec_lo, exec_lo, vcc_lo
	s_cbranch_execz .LBB100_44
.LBB100_46:
	v_mul_f32_e64 v3, v2, -v11
	v_mul_f32_e32 v4, v2, v10
	v_cmp_eq_f32_e32 vcc_lo, 0, v8
	v_cmp_eq_f32_e64 s0, 0, v9
	s_delay_alu instid0(VALU_DEP_4) | instskip(NEXT) | instid1(VALU_DEP_4)
	v_fmac_f32_e32 v3, v10, v1
	v_fmac_f32_e32 v4, v11, v1
	s_delay_alu instid0(VALU_DEP_3) | instskip(NEXT) | instid1(SALU_CYCLE_1)
	s_and_b32 s0, vcc_lo, s0
	s_and_saveexec_b32 s1, s0
	s_delay_alu instid0(SALU_CYCLE_1)
	s_xor_b32 s0, exec_lo, s1
	s_cbranch_execz .LBB100_48
; %bb.47:
	v_mad_u64_u32 v[1:2], null, s8, 21, v[0:1]
	v_mov_b32_e32 v2, 0
                                        ; implicit-def: $vgpr8
                                        ; implicit-def: $vgpr9
	s_delay_alu instid0(VALU_DEP_1) | instskip(NEXT) | instid1(VALU_DEP_1)
	v_lshlrev_b64 v[0:1], 3, v[1:2]
	v_add_co_u32 v0, vcc_lo, s10, v0
	s_delay_alu instid0(VALU_DEP_2)
	v_add_co_ci_u32_e32 v1, vcc_lo, s11, v1, vcc_lo
	global_store_b64 v[0:1], v[3:4], off
                                        ; implicit-def: $vgpr0
                                        ; implicit-def: $vgpr3
.LBB100_48:
	s_and_not1_saveexec_b32 s0, s0
	s_cbranch_execz .LBB100_44
; %bb.49:
	v_mad_u64_u32 v[1:2], null, s8, 21, v[0:1]
	v_mov_b32_e32 v2, 0
	s_delay_alu instid0(VALU_DEP_1) | instskip(NEXT) | instid1(VALU_DEP_1)
	v_lshlrev_b64 v[0:1], 3, v[1:2]
	v_add_co_u32 v0, vcc_lo, s10, v0
	s_delay_alu instid0(VALU_DEP_2) | instskip(SKIP_4) | instid1(VALU_DEP_2)
	v_add_co_ci_u32_e32 v1, vcc_lo, s11, v1, vcc_lo
	global_load_b64 v[5:6], v[0:1], off
	s_waitcnt vmcnt(0)
	v_fmac_f32_e32 v3, v8, v5
	v_fmac_f32_e32 v4, v9, v5
	v_fma_f32 v3, -v9, v6, v3
	s_delay_alu instid0(VALU_DEP_2)
	v_fmac_f32_e32 v4, v8, v6
	global_store_b64 v[0:1], v[3:4], off
	s_nop 0
	s_sendmsg sendmsg(MSG_DEALLOC_VGPRS)
	s_endpgm
	.section	.rodata,"a",@progbits
	.p2align	6, 0x0
	.amdhsa_kernel _ZN9rocsparseL20bsrxmvn_17_32_kernelILj21E21rocsparse_complex_numIfEliS2_S2_S2_EEvT2_20rocsparse_direction_NS_24const_host_device_scalarIT0_EES3_PKS3_PKT1_SC_S9_PKT3_PKT4_S7_PT5_21rocsparse_index_base_b
		.amdhsa_group_segment_fixed_size 3528
		.amdhsa_private_segment_fixed_size 0
		.amdhsa_kernarg_size 96
		.amdhsa_user_sgpr_count 15
		.amdhsa_user_sgpr_dispatch_ptr 0
		.amdhsa_user_sgpr_queue_ptr 0
		.amdhsa_user_sgpr_kernarg_segment_ptr 1
		.amdhsa_user_sgpr_dispatch_id 0
		.amdhsa_user_sgpr_private_segment_size 0
		.amdhsa_wavefront_size32 1
		.amdhsa_uses_dynamic_stack 0
		.amdhsa_enable_private_segment 0
		.amdhsa_system_sgpr_workgroup_id_x 1
		.amdhsa_system_sgpr_workgroup_id_y 0
		.amdhsa_system_sgpr_workgroup_id_z 0
		.amdhsa_system_sgpr_workgroup_info 0
		.amdhsa_system_vgpr_workitem_id 0
		.amdhsa_next_free_vgpr 19
		.amdhsa_next_free_sgpr 21
		.amdhsa_reserve_vcc 1
		.amdhsa_float_round_mode_32 0
		.amdhsa_float_round_mode_16_64 0
		.amdhsa_float_denorm_mode_32 3
		.amdhsa_float_denorm_mode_16_64 3
		.amdhsa_dx10_clamp 1
		.amdhsa_ieee_mode 1
		.amdhsa_fp16_overflow 0
		.amdhsa_workgroup_processor_mode 1
		.amdhsa_memory_ordered 1
		.amdhsa_forward_progress 0
		.amdhsa_shared_vgpr_count 0
		.amdhsa_exception_fp_ieee_invalid_op 0
		.amdhsa_exception_fp_denorm_src 0
		.amdhsa_exception_fp_ieee_div_zero 0
		.amdhsa_exception_fp_ieee_overflow 0
		.amdhsa_exception_fp_ieee_underflow 0
		.amdhsa_exception_fp_ieee_inexact 0
		.amdhsa_exception_int_div_zero 0
	.end_amdhsa_kernel
	.section	.text._ZN9rocsparseL20bsrxmvn_17_32_kernelILj21E21rocsparse_complex_numIfEliS2_S2_S2_EEvT2_20rocsparse_direction_NS_24const_host_device_scalarIT0_EES3_PKS3_PKT1_SC_S9_PKT3_PKT4_S7_PT5_21rocsparse_index_base_b,"axG",@progbits,_ZN9rocsparseL20bsrxmvn_17_32_kernelILj21E21rocsparse_complex_numIfEliS2_S2_S2_EEvT2_20rocsparse_direction_NS_24const_host_device_scalarIT0_EES3_PKS3_PKT1_SC_S9_PKT3_PKT4_S7_PT5_21rocsparse_index_base_b,comdat
.Lfunc_end100:
	.size	_ZN9rocsparseL20bsrxmvn_17_32_kernelILj21E21rocsparse_complex_numIfEliS2_S2_S2_EEvT2_20rocsparse_direction_NS_24const_host_device_scalarIT0_EES3_PKS3_PKT1_SC_S9_PKT3_PKT4_S7_PT5_21rocsparse_index_base_b, .Lfunc_end100-_ZN9rocsparseL20bsrxmvn_17_32_kernelILj21E21rocsparse_complex_numIfEliS2_S2_S2_EEvT2_20rocsparse_direction_NS_24const_host_device_scalarIT0_EES3_PKS3_PKT1_SC_S9_PKT3_PKT4_S7_PT5_21rocsparse_index_base_b
                                        ; -- End function
	.section	.AMDGPU.csdata,"",@progbits
; Kernel info:
; codeLenInByte = 1940
; NumSgprs: 23
; NumVgprs: 19
; ScratchSize: 0
; MemoryBound: 0
; FloatMode: 240
; IeeeMode: 1
; LDSByteSize: 3528 bytes/workgroup (compile time only)
; SGPRBlocks: 2
; VGPRBlocks: 2
; NumSGPRsForWavesPerEU: 23
; NumVGPRsForWavesPerEU: 19
; Occupancy: 14
; WaveLimiterHint : 1
; COMPUTE_PGM_RSRC2:SCRATCH_EN: 0
; COMPUTE_PGM_RSRC2:USER_SGPR: 15
; COMPUTE_PGM_RSRC2:TRAP_HANDLER: 0
; COMPUTE_PGM_RSRC2:TGID_X_EN: 1
; COMPUTE_PGM_RSRC2:TGID_Y_EN: 0
; COMPUTE_PGM_RSRC2:TGID_Z_EN: 0
; COMPUTE_PGM_RSRC2:TIDIG_COMP_CNT: 0
	.section	.text._ZN9rocsparseL20bsrxmvn_17_32_kernelILj22E21rocsparse_complex_numIfEliS2_S2_S2_EEvT2_20rocsparse_direction_NS_24const_host_device_scalarIT0_EES3_PKS3_PKT1_SC_S9_PKT3_PKT4_S7_PT5_21rocsparse_index_base_b,"axG",@progbits,_ZN9rocsparseL20bsrxmvn_17_32_kernelILj22E21rocsparse_complex_numIfEliS2_S2_S2_EEvT2_20rocsparse_direction_NS_24const_host_device_scalarIT0_EES3_PKS3_PKT1_SC_S9_PKT3_PKT4_S7_PT5_21rocsparse_index_base_b,comdat
	.globl	_ZN9rocsparseL20bsrxmvn_17_32_kernelILj22E21rocsparse_complex_numIfEliS2_S2_S2_EEvT2_20rocsparse_direction_NS_24const_host_device_scalarIT0_EES3_PKS3_PKT1_SC_S9_PKT3_PKT4_S7_PT5_21rocsparse_index_base_b ; -- Begin function _ZN9rocsparseL20bsrxmvn_17_32_kernelILj22E21rocsparse_complex_numIfEliS2_S2_S2_EEvT2_20rocsparse_direction_NS_24const_host_device_scalarIT0_EES3_PKS3_PKT1_SC_S9_PKT3_PKT4_S7_PT5_21rocsparse_index_base_b
	.p2align	8
	.type	_ZN9rocsparseL20bsrxmvn_17_32_kernelILj22E21rocsparse_complex_numIfEliS2_S2_S2_EEvT2_20rocsparse_direction_NS_24const_host_device_scalarIT0_EES3_PKS3_PKT1_SC_S9_PKT3_PKT4_S7_PT5_21rocsparse_index_base_b,@function
_ZN9rocsparseL20bsrxmvn_17_32_kernelILj22E21rocsparse_complex_numIfEliS2_S2_S2_EEvT2_20rocsparse_direction_NS_24const_host_device_scalarIT0_EES3_PKS3_PKT1_SC_S9_PKT3_PKT4_S7_PT5_21rocsparse_index_base_b: ; @_ZN9rocsparseL20bsrxmvn_17_32_kernelILj22E21rocsparse_complex_numIfEliS2_S2_S2_EEvT2_20rocsparse_direction_NS_24const_host_device_scalarIT0_EES3_PKS3_PKT1_SC_S9_PKT3_PKT4_S7_PT5_21rocsparse_index_base_b
; %bb.0:
	s_clause 0x2
	s_load_b64 s[12:13], s[0:1], 0x58
	s_load_b64 s[4:5], s[0:1], 0x8
	;; [unrolled: 1-line block ×3, first 2 shown]
	s_mov_b32 s8, s15
	s_waitcnt lgkmcnt(0)
	s_bitcmp1_b32 s13, 0
	v_mov_b32_e32 v10, s4
	s_cselect_b32 s6, -1, 0
	s_delay_alu instid0(SALU_CYCLE_1)
	s_and_b32 vcc_lo, exec_lo, s6
	s_xor_b32 s6, s6, -1
	s_cbranch_vccz .LBB101_15
; %bb.1:
	v_cndmask_b32_e64 v1, 0, 1, s6
	v_mov_b32_e32 v11, s5
	s_and_not1_b32 vcc_lo, exec_lo, s6
	s_cbranch_vccz .LBB101_16
.LBB101_2:
	s_delay_alu instid0(VALU_DEP_2)
	v_cmp_ne_u32_e32 vcc_lo, 1, v1
	v_mov_b32_e32 v8, s2
	s_cbranch_vccz .LBB101_17
.LBB101_3:
	v_cmp_ne_u32_e32 vcc_lo, 1, v1
	v_mov_b32_e32 v9, s3
	s_cbranch_vccnz .LBB101_5
.LBB101_4:
	v_dual_mov_b32 v1, s2 :: v_dual_mov_b32 v2, s3
	flat_load_b32 v9, v[1:2] offset:4
.LBB101_5:
	s_waitcnt vmcnt(0) lgkmcnt(0)
	v_cmp_eq_f32_e32 vcc_lo, 0, v10
	v_cmp_eq_f32_e64 s2, 0, v11
	s_delay_alu instid0(VALU_DEP_1)
	s_and_b32 s4, vcc_lo, s2
	s_mov_b32 s2, -1
	s_and_saveexec_b32 s3, s4
; %bb.6:
	v_cmp_neq_f32_e32 vcc_lo, 1.0, v8
	v_cmp_neq_f32_e64 s2, 0, v9
	s_delay_alu instid0(VALU_DEP_1) | instskip(NEXT) | instid1(SALU_CYCLE_1)
	s_or_b32 s2, vcc_lo, s2
	s_or_not1_b32 s2, s2, exec_lo
; %bb.7:
	s_or_b32 exec_lo, exec_lo, s3
	s_and_saveexec_b32 s3, s2
	s_cbranch_execz .LBB101_44
; %bb.8:
	s_clause 0x1
	s_load_b128 s[4:7], s[0:1], 0x18
	s_load_b64 s[10:11], s[0:1], 0x28
	s_waitcnt lgkmcnt(0)
	s_cmp_eq_u64 s[4:5], 0
	s_cbranch_scc1 .LBB101_10
; %bb.9:
	s_ashr_i32 s9, s8, 31
	s_delay_alu instid0(SALU_CYCLE_1) | instskip(NEXT) | instid1(SALU_CYCLE_1)
	s_lshl_b64 s[2:3], s[8:9], 2
	s_add_u32 s2, s4, s2
	s_addc_u32 s3, s5, s3
	s_load_b32 s2, s[2:3], 0x0
	s_waitcnt lgkmcnt(0)
	s_sub_i32 s8, s2, s12
.LBB101_10:
	s_load_b32 s3, s[0:1], 0x4
	v_mul_u32_u24_e32 v1, 0xba3, v0
	v_mov_b32_e32 v2, 0
	v_lshlrev_b32_e32 v12, 3, v0
	s_delay_alu instid0(VALU_DEP_3) | instskip(NEXT) | instid1(VALU_DEP_1)
	v_lshrrev_b32_e32 v3, 16, v1
	v_mul_lo_u16 v1, v3, 22
	s_delay_alu instid0(VALU_DEP_1)
	v_sub_nc_u16 v13, v0, v1
	v_mov_b32_e32 v1, 0
	s_waitcnt lgkmcnt(0)
	s_cmp_eq_u32 s3, 1
	s_cselect_b32 s2, -1, 0
	s_cmp_lg_u32 s3, 1
	s_cselect_b32 s3, -1, 0
	s_ashr_i32 s9, s8, 31
	s_delay_alu instid0(SALU_CYCLE_1) | instskip(NEXT) | instid1(SALU_CYCLE_1)
	s_lshl_b64 s[4:5], s[8:9], 3
	s_add_u32 s6, s6, s4
	s_addc_u32 s7, s7, s5
	s_add_u32 s9, s6, 8
	s_addc_u32 s13, s7, 0
	;; [unrolled: 2-line block ×3, first 2 shown]
	s_cmp_eq_u64 s[10:11], 0
	s_load_b64 s[10:11], s[0:1], 0x50
	s_cselect_b32 s5, s13, s5
	s_cselect_b32 s4, s9, s4
	s_load_b64 s[18:19], s[6:7], 0x0
	s_load_b64 s[14:15], s[4:5], 0x0
	s_waitcnt lgkmcnt(0)
	v_cmp_ge_i64_e64 s4, s[18:19], s[14:15]
	s_delay_alu instid0(VALU_DEP_1)
	s_and_b32 vcc_lo, exec_lo, s4
	s_cbranch_vccnz .LBB101_18
; %bb.11:
	v_mul_lo_u16 v1, v3, 12
	v_and_b32_e32 v2, 0xffff, v0
	s_sub_u32 s14, s14, s12
	s_subb_u32 s15, s15, 0
	s_sub_u32 s16, s18, s12
	v_lshrrev_b16 v1, 8, v1
	v_mul_u32_u24_e32 v2, 0x10f, v2
	s_subb_u32 s17, s19, 0
	s_clause 0x1
	s_load_b128 s[4:7], s[0:1], 0x30
	s_load_b64 s[0:1], s[0:1], 0x40
	s_mul_hi_u32 s9, s16, 0xf20
	v_mul_lo_u16 v1, v1, 22
	v_lshrrev_b32_e32 v14, 17, v2
	s_mul_i32 s13, s17, 0xf20
	v_and_b32_e32 v4, 0xffff, v13
	s_add_i32 s9, s9, s13
	v_sub_nc_u16 v1, v3, v1
	v_add_co_u32 v2, s13, s18, v14
	s_delay_alu instid0(VALU_DEP_1) | instskip(NEXT) | instid1(VALU_DEP_3)
	v_add_co_ci_u32_e64 v5, null, s19, 0, s13
	v_and_b32_e32 v1, 0xff, v1
	s_mul_i32 s20, s16, 0xf20
	s_delay_alu instid0(VALU_DEP_1)
	v_cndmask_b32_e64 v3, v4, v1, s2
	v_sub_co_u32 v4, vcc_lo, v2, s12
	v_mov_b32_e32 v2, 0
	v_subrev_co_ci_u32_e32 v5, vcc_lo, 0, v5, vcc_lo
	v_lshlrev_b32_e32 v1, 3, v0
	s_waitcnt lgkmcnt(0)
	s_add_u32 s2, s6, s20
	s_addc_u32 s6, s7, s9
	v_lshlrev_b64 v[6:7], 2, v[4:5]
	v_add_co_u32 v4, s2, s2, v1
	s_delay_alu instid0(VALU_DEP_1) | instskip(NEXT) | instid1(VALU_DEP_3)
	v_add_co_ci_u32_e64 v5, null, s6, 0, s2
	v_add_co_u32 v6, vcc_lo, s4, v6
	s_delay_alu instid0(VALU_DEP_4)
	v_add_co_ci_u32_e32 v7, vcc_lo, s5, v7, vcc_lo
	v_mov_b32_e32 v1, v2
	s_set_inst_prefetch_distance 0x1
	s_branch .LBB101_13
	.p2align	6
.LBB101_12:                             ;   in Loop: Header=BB101_13 Depth=1
	s_or_b32 exec_lo, exec_lo, s2
	s_add_u32 s16, s16, 1
	s_addc_u32 s17, s17, 0
	v_add_co_u32 v6, vcc_lo, v6, 4
	v_cmp_lt_i64_e64 s2, s[16:17], s[14:15]
	v_add_co_ci_u32_e32 v7, vcc_lo, 0, v7, vcc_lo
	s_delay_alu instid0(VALU_DEP_2)
	s_and_b32 vcc_lo, exec_lo, s2
	s_cbranch_vccz .LBB101_18
.LBB101_13:                             ; =>This Inner Loop Header: Depth=1
	v_add_co_u32 v15, s2, v14, s16
	s_delay_alu instid0(VALU_DEP_1) | instskip(SKIP_1) | instid1(VALU_DEP_1)
	v_add_co_ci_u32_e64 v16, null, 0, s17, s2
	s_mov_b32 s2, exec_lo
	v_cmpx_gt_i64_e64 s[14:15], v[15:16]
	s_cbranch_execz .LBB101_12
; %bb.14:                               ;   in Loop: Header=BB101_13 Depth=1
	global_load_b32 v15, v[6:7], off
	s_waitcnt vmcnt(0)
	v_subrev_nc_u32_e32 v17, s12, v15
	s_delay_alu instid0(VALU_DEP_1) | instskip(NEXT) | instid1(VALU_DEP_1)
	v_mad_u64_u32 v[15:16], null, v17, 22, v[3:4]
	v_ashrrev_i32_e32 v16, 31, v15
	s_delay_alu instid0(VALU_DEP_1) | instskip(NEXT) | instid1(VALU_DEP_1)
	v_lshlrev_b64 v[15:16], 3, v[15:16]
	v_add_co_u32 v15, vcc_lo, s0, v15
	s_delay_alu instid0(VALU_DEP_2)
	v_add_co_ci_u32_e32 v16, vcc_lo, s1, v16, vcc_lo
	global_load_b64 v[17:18], v[4:5], off
	global_load_b64 v[15:16], v[15:16], off
	v_add_co_u32 v4, vcc_lo, 0xf20, v4
	v_add_co_ci_u32_e32 v5, vcc_lo, 0, v5, vcc_lo
	s_waitcnt vmcnt(0)
	v_fmac_f32_e32 v1, v17, v15
	v_fmac_f32_e32 v2, v18, v15
	s_delay_alu instid0(VALU_DEP_2) | instskip(NEXT) | instid1(VALU_DEP_2)
	v_fma_f32 v1, -v18, v16, v1
	v_fmac_f32_e32 v2, v17, v16
	s_branch .LBB101_12
.LBB101_15:
	v_dual_mov_b32 v1, s4 :: v_dual_mov_b32 v2, s5
	flat_load_b32 v10, v[1:2]
	v_cndmask_b32_e64 v1, 0, 1, s6
	v_mov_b32_e32 v11, s5
	s_and_not1_b32 vcc_lo, exec_lo, s6
	s_cbranch_vccnz .LBB101_2
.LBB101_16:
	v_dual_mov_b32 v2, s4 :: v_dual_mov_b32 v3, s5
	flat_load_b32 v11, v[2:3] offset:4
	v_cmp_ne_u32_e32 vcc_lo, 1, v1
	v_mov_b32_e32 v8, s2
	s_cbranch_vccnz .LBB101_3
.LBB101_17:
	v_dual_mov_b32 v2, s2 :: v_dual_mov_b32 v3, s3
	flat_load_b32 v8, v[2:3]
	v_cmp_ne_u32_e32 vcc_lo, 1, v1
	v_mov_b32_e32 v9, s3
	s_cbranch_vccz .LBB101_4
	s_branch .LBB101_5
.LBB101_18:
	s_set_inst_prefetch_distance 0x2
	s_and_b32 vcc_lo, exec_lo, s3
	ds_store_b64 v12, v[1:2]
	s_waitcnt lgkmcnt(0)
	s_barrier
	buffer_gl0_inv
	s_cbranch_vccz .LBB101_30
; %bb.19:
	s_mov_b32 s0, exec_lo
	v_cmpx_gt_u16_e32 6, v13
	s_cbranch_execz .LBB101_21
; %bb.20:
	ds_load_2addr_b64 v[3:6], v12 offset1:16
	s_waitcnt lgkmcnt(0)
	v_dual_add_f32 v3, v5, v3 :: v_dual_add_f32 v4, v6, v4
	ds_store_b64 v12, v[3:4]
.LBB101_21:
	s_or_b32 exec_lo, exec_lo, s0
	s_delay_alu instid0(SALU_CYCLE_1)
	s_mov_b32 s0, exec_lo
	s_waitcnt lgkmcnt(0)
	s_barrier
	buffer_gl0_inv
	v_cmpx_gt_u16_e32 8, v13
	s_cbranch_execz .LBB101_23
; %bb.22:
	ds_load_2addr_b64 v[3:6], v12 offset1:8
	s_waitcnt lgkmcnt(0)
	v_dual_add_f32 v3, v5, v3 :: v_dual_add_f32 v4, v6, v4
	ds_store_b64 v12, v[3:4]
.LBB101_23:
	s_or_b32 exec_lo, exec_lo, s0
	s_delay_alu instid0(SALU_CYCLE_1)
	s_mov_b32 s0, exec_lo
	s_waitcnt lgkmcnt(0)
	s_barrier
	buffer_gl0_inv
	;; [unrolled: 14-line block ×3, first 2 shown]
	v_cmpx_gt_u16_e32 2, v13
	s_cbranch_execz .LBB101_27
; %bb.26:
	ds_load_2addr_b64 v[3:6], v12 offset1:2
	s_waitcnt lgkmcnt(0)
	v_dual_add_f32 v3, v5, v3 :: v_dual_add_f32 v4, v6, v4
	ds_store_b64 v12, v[3:4]
.LBB101_27:
	s_or_b32 exec_lo, exec_lo, s0
	s_mov_b32 s1, 0
	s_mov_b32 s0, 0
	s_mov_b32 s2, exec_lo
	s_waitcnt lgkmcnt(0)
	s_barrier
	buffer_gl0_inv
                                        ; implicit-def: $vgpr4
                                        ; implicit-def: $vgpr3
	v_cmpx_gt_u32_e32 22, v0
	s_xor_b32 s2, exec_lo, s2
; %bb.28:
	v_mul_u32_u24_e32 v3, 22, v0
	s_mov_b32 s0, exec_lo
	s_delay_alu instid0(VALU_DEP_1)
	v_lshlrev_b32_e32 v4, 3, v3
	v_or_b32_e32 v3, 1, v3
; %bb.29:
	s_or_b32 exec_lo, exec_lo, s2
	s_delay_alu instid0(SALU_CYCLE_1)
	s_and_b32 vcc_lo, exec_lo, s1
	s_cbranch_vccnz .LBB101_31
	s_branch .LBB101_42
.LBB101_30:
	s_mov_b32 s0, 0
                                        ; implicit-def: $vgpr4
                                        ; implicit-def: $vgpr3
	s_cbranch_execz .LBB101_42
.LBB101_31:
	s_mov_b32 s1, exec_lo
	v_cmpx_gt_u32_e32 0x84, v0
	s_cbranch_execz .LBB101_33
; %bb.32:
	ds_load_b64 v[3:4], v12 offset:2816
	ds_load_b64 v[5:6], v12
	s_waitcnt lgkmcnt(0)
	v_dual_add_f32 v3, v3, v5 :: v_dual_add_f32 v4, v4, v6
	ds_store_b64 v12, v[3:4]
.LBB101_33:
	s_or_b32 exec_lo, exec_lo, s1
	s_delay_alu instid0(SALU_CYCLE_1)
	s_mov_b32 s1, exec_lo
	s_waitcnt lgkmcnt(0)
	s_barrier
	buffer_gl0_inv
	v_cmpx_gt_u32_e32 0xb0, v0
	s_cbranch_execz .LBB101_35
; %bb.34:
	ds_load_2addr_b64 v[3:6], v12 offset1:176
	s_waitcnt lgkmcnt(0)
	v_dual_add_f32 v3, v5, v3 :: v_dual_add_f32 v4, v6, v4
	ds_store_b64 v12, v[3:4]
.LBB101_35:
	s_or_b32 exec_lo, exec_lo, s1
	s_delay_alu instid0(SALU_CYCLE_1)
	s_mov_b32 s1, exec_lo
	s_waitcnt lgkmcnt(0)
	s_barrier
	buffer_gl0_inv
	v_cmpx_gt_u32_e32 0x58, v0
	s_cbranch_execz .LBB101_37
; %bb.36:
	ds_load_2addr_b64 v[3:6], v12 offset1:88
	s_waitcnt lgkmcnt(0)
	v_dual_add_f32 v3, v5, v3 :: v_dual_add_f32 v4, v6, v4
	ds_store_b64 v12, v[3:4]
.LBB101_37:
	;; [unrolled: 14-line block ×3, first 2 shown]
	s_or_b32 exec_lo, exec_lo, s1
	s_delay_alu instid0(SALU_CYCLE_1)
	s_mov_b32 s1, exec_lo
	s_waitcnt lgkmcnt(0)
	buffer_gl0_inv
                                        ; implicit-def: $vgpr3
	v_cmpx_gt_u32_e32 22, v0
; %bb.40:
	v_add_nc_u32_e32 v3, 22, v0
	s_or_b32 s0, s0, exec_lo
                                        ; implicit-def: $vgpr2
; %bb.41:
	s_or_b32 exec_lo, exec_lo, s1
	v_mov_b32_e32 v4, v12
.LBB101_42:
	s_and_saveexec_b32 s1, s0
	s_cbranch_execnz .LBB101_45
; %bb.43:
	s_or_b32 exec_lo, exec_lo, s1
	v_cmp_gt_u32_e32 vcc_lo, 22, v0
	s_and_b32 exec_lo, exec_lo, vcc_lo
	s_cbranch_execnz .LBB101_46
.LBB101_44:
	s_nop 0
	s_sendmsg sendmsg(MSG_DEALLOC_VGPRS)
	s_endpgm
.LBB101_45:
	v_lshlrev_b32_e32 v3, 3, v3
	ds_load_2addr_b32 v[1:2], v4 offset1:1
	ds_load_b64 v[3:4], v3
	s_waitcnt lgkmcnt(0)
	v_dual_add_f32 v2, v4, v2 :: v_dual_add_f32 v1, v3, v1
	s_or_b32 exec_lo, exec_lo, s1
	v_cmp_gt_u32_e32 vcc_lo, 22, v0
	s_and_b32 exec_lo, exec_lo, vcc_lo
	s_cbranch_execz .LBB101_44
.LBB101_46:
	v_mul_f32_e64 v3, v2, -v11
	v_mul_f32_e32 v4, v2, v10
	v_cmp_eq_f32_e32 vcc_lo, 0, v8
	v_cmp_eq_f32_e64 s0, 0, v9
	s_delay_alu instid0(VALU_DEP_4) | instskip(NEXT) | instid1(VALU_DEP_4)
	v_fmac_f32_e32 v3, v10, v1
	v_fmac_f32_e32 v4, v11, v1
	s_delay_alu instid0(VALU_DEP_3) | instskip(NEXT) | instid1(SALU_CYCLE_1)
	s_and_b32 s0, vcc_lo, s0
	s_and_saveexec_b32 s1, s0
	s_delay_alu instid0(SALU_CYCLE_1)
	s_xor_b32 s0, exec_lo, s1
	s_cbranch_execz .LBB101_48
; %bb.47:
	v_mad_u64_u32 v[1:2], null, s8, 22, v[0:1]
	v_mov_b32_e32 v2, 0
                                        ; implicit-def: $vgpr8
                                        ; implicit-def: $vgpr9
	s_delay_alu instid0(VALU_DEP_1) | instskip(NEXT) | instid1(VALU_DEP_1)
	v_lshlrev_b64 v[0:1], 3, v[1:2]
	v_add_co_u32 v0, vcc_lo, s10, v0
	s_delay_alu instid0(VALU_DEP_2)
	v_add_co_ci_u32_e32 v1, vcc_lo, s11, v1, vcc_lo
	global_store_b64 v[0:1], v[3:4], off
                                        ; implicit-def: $vgpr0
                                        ; implicit-def: $vgpr3
.LBB101_48:
	s_and_not1_saveexec_b32 s0, s0
	s_cbranch_execz .LBB101_44
; %bb.49:
	v_mad_u64_u32 v[1:2], null, s8, 22, v[0:1]
	v_mov_b32_e32 v2, 0
	s_delay_alu instid0(VALU_DEP_1) | instskip(NEXT) | instid1(VALU_DEP_1)
	v_lshlrev_b64 v[0:1], 3, v[1:2]
	v_add_co_u32 v0, vcc_lo, s10, v0
	s_delay_alu instid0(VALU_DEP_2) | instskip(SKIP_4) | instid1(VALU_DEP_2)
	v_add_co_ci_u32_e32 v1, vcc_lo, s11, v1, vcc_lo
	global_load_b64 v[5:6], v[0:1], off
	s_waitcnt vmcnt(0)
	v_fmac_f32_e32 v3, v8, v5
	v_fmac_f32_e32 v4, v9, v5
	v_fma_f32 v3, -v9, v6, v3
	s_delay_alu instid0(VALU_DEP_2)
	v_fmac_f32_e32 v4, v8, v6
	global_store_b64 v[0:1], v[3:4], off
	s_nop 0
	s_sendmsg sendmsg(MSG_DEALLOC_VGPRS)
	s_endpgm
	.section	.rodata,"a",@progbits
	.p2align	6, 0x0
	.amdhsa_kernel _ZN9rocsparseL20bsrxmvn_17_32_kernelILj22E21rocsparse_complex_numIfEliS2_S2_S2_EEvT2_20rocsparse_direction_NS_24const_host_device_scalarIT0_EES3_PKS3_PKT1_SC_S9_PKT3_PKT4_S7_PT5_21rocsparse_index_base_b
		.amdhsa_group_segment_fixed_size 3872
		.amdhsa_private_segment_fixed_size 0
		.amdhsa_kernarg_size 96
		.amdhsa_user_sgpr_count 15
		.amdhsa_user_sgpr_dispatch_ptr 0
		.amdhsa_user_sgpr_queue_ptr 0
		.amdhsa_user_sgpr_kernarg_segment_ptr 1
		.amdhsa_user_sgpr_dispatch_id 0
		.amdhsa_user_sgpr_private_segment_size 0
		.amdhsa_wavefront_size32 1
		.amdhsa_uses_dynamic_stack 0
		.amdhsa_enable_private_segment 0
		.amdhsa_system_sgpr_workgroup_id_x 1
		.amdhsa_system_sgpr_workgroup_id_y 0
		.amdhsa_system_sgpr_workgroup_id_z 0
		.amdhsa_system_sgpr_workgroup_info 0
		.amdhsa_system_vgpr_workitem_id 0
		.amdhsa_next_free_vgpr 19
		.amdhsa_next_free_sgpr 21
		.amdhsa_reserve_vcc 1
		.amdhsa_float_round_mode_32 0
		.amdhsa_float_round_mode_16_64 0
		.amdhsa_float_denorm_mode_32 3
		.amdhsa_float_denorm_mode_16_64 3
		.amdhsa_dx10_clamp 1
		.amdhsa_ieee_mode 1
		.amdhsa_fp16_overflow 0
		.amdhsa_workgroup_processor_mode 1
		.amdhsa_memory_ordered 1
		.amdhsa_forward_progress 0
		.amdhsa_shared_vgpr_count 0
		.amdhsa_exception_fp_ieee_invalid_op 0
		.amdhsa_exception_fp_denorm_src 0
		.amdhsa_exception_fp_ieee_div_zero 0
		.amdhsa_exception_fp_ieee_overflow 0
		.amdhsa_exception_fp_ieee_underflow 0
		.amdhsa_exception_fp_ieee_inexact 0
		.amdhsa_exception_int_div_zero 0
	.end_amdhsa_kernel
	.section	.text._ZN9rocsparseL20bsrxmvn_17_32_kernelILj22E21rocsparse_complex_numIfEliS2_S2_S2_EEvT2_20rocsparse_direction_NS_24const_host_device_scalarIT0_EES3_PKS3_PKT1_SC_S9_PKT3_PKT4_S7_PT5_21rocsparse_index_base_b,"axG",@progbits,_ZN9rocsparseL20bsrxmvn_17_32_kernelILj22E21rocsparse_complex_numIfEliS2_S2_S2_EEvT2_20rocsparse_direction_NS_24const_host_device_scalarIT0_EES3_PKS3_PKT1_SC_S9_PKT3_PKT4_S7_PT5_21rocsparse_index_base_b,comdat
.Lfunc_end101:
	.size	_ZN9rocsparseL20bsrxmvn_17_32_kernelILj22E21rocsparse_complex_numIfEliS2_S2_S2_EEvT2_20rocsparse_direction_NS_24const_host_device_scalarIT0_EES3_PKS3_PKT1_SC_S9_PKT3_PKT4_S7_PT5_21rocsparse_index_base_b, .Lfunc_end101-_ZN9rocsparseL20bsrxmvn_17_32_kernelILj22E21rocsparse_complex_numIfEliS2_S2_S2_EEvT2_20rocsparse_direction_NS_24const_host_device_scalarIT0_EES3_PKS3_PKT1_SC_S9_PKT3_PKT4_S7_PT5_21rocsparse_index_base_b
                                        ; -- End function
	.section	.AMDGPU.csdata,"",@progbits
; Kernel info:
; codeLenInByte = 1936
; NumSgprs: 23
; NumVgprs: 19
; ScratchSize: 0
; MemoryBound: 0
; FloatMode: 240
; IeeeMode: 1
; LDSByteSize: 3872 bytes/workgroup (compile time only)
; SGPRBlocks: 2
; VGPRBlocks: 2
; NumSGPRsForWavesPerEU: 23
; NumVGPRsForWavesPerEU: 19
; Occupancy: 16
; WaveLimiterHint : 1
; COMPUTE_PGM_RSRC2:SCRATCH_EN: 0
; COMPUTE_PGM_RSRC2:USER_SGPR: 15
; COMPUTE_PGM_RSRC2:TRAP_HANDLER: 0
; COMPUTE_PGM_RSRC2:TGID_X_EN: 1
; COMPUTE_PGM_RSRC2:TGID_Y_EN: 0
; COMPUTE_PGM_RSRC2:TGID_Z_EN: 0
; COMPUTE_PGM_RSRC2:TIDIG_COMP_CNT: 0
	.section	.text._ZN9rocsparseL20bsrxmvn_17_32_kernelILj23E21rocsparse_complex_numIfEliS2_S2_S2_EEvT2_20rocsparse_direction_NS_24const_host_device_scalarIT0_EES3_PKS3_PKT1_SC_S9_PKT3_PKT4_S7_PT5_21rocsparse_index_base_b,"axG",@progbits,_ZN9rocsparseL20bsrxmvn_17_32_kernelILj23E21rocsparse_complex_numIfEliS2_S2_S2_EEvT2_20rocsparse_direction_NS_24const_host_device_scalarIT0_EES3_PKS3_PKT1_SC_S9_PKT3_PKT4_S7_PT5_21rocsparse_index_base_b,comdat
	.globl	_ZN9rocsparseL20bsrxmvn_17_32_kernelILj23E21rocsparse_complex_numIfEliS2_S2_S2_EEvT2_20rocsparse_direction_NS_24const_host_device_scalarIT0_EES3_PKS3_PKT1_SC_S9_PKT3_PKT4_S7_PT5_21rocsparse_index_base_b ; -- Begin function _ZN9rocsparseL20bsrxmvn_17_32_kernelILj23E21rocsparse_complex_numIfEliS2_S2_S2_EEvT2_20rocsparse_direction_NS_24const_host_device_scalarIT0_EES3_PKS3_PKT1_SC_S9_PKT3_PKT4_S7_PT5_21rocsparse_index_base_b
	.p2align	8
	.type	_ZN9rocsparseL20bsrxmvn_17_32_kernelILj23E21rocsparse_complex_numIfEliS2_S2_S2_EEvT2_20rocsparse_direction_NS_24const_host_device_scalarIT0_EES3_PKS3_PKT1_SC_S9_PKT3_PKT4_S7_PT5_21rocsparse_index_base_b,@function
_ZN9rocsparseL20bsrxmvn_17_32_kernelILj23E21rocsparse_complex_numIfEliS2_S2_S2_EEvT2_20rocsparse_direction_NS_24const_host_device_scalarIT0_EES3_PKS3_PKT1_SC_S9_PKT3_PKT4_S7_PT5_21rocsparse_index_base_b: ; @_ZN9rocsparseL20bsrxmvn_17_32_kernelILj23E21rocsparse_complex_numIfEliS2_S2_S2_EEvT2_20rocsparse_direction_NS_24const_host_device_scalarIT0_EES3_PKS3_PKT1_SC_S9_PKT3_PKT4_S7_PT5_21rocsparse_index_base_b
; %bb.0:
	s_clause 0x2
	s_load_b64 s[12:13], s[0:1], 0x58
	s_load_b64 s[4:5], s[0:1], 0x8
	;; [unrolled: 1-line block ×3, first 2 shown]
	s_mov_b32 s8, s15
	s_waitcnt lgkmcnt(0)
	s_bitcmp1_b32 s13, 0
	v_mov_b32_e32 v10, s4
	s_cselect_b32 s6, -1, 0
	s_delay_alu instid0(SALU_CYCLE_1)
	s_and_b32 vcc_lo, exec_lo, s6
	s_xor_b32 s6, s6, -1
	s_cbranch_vccz .LBB102_15
; %bb.1:
	v_cndmask_b32_e64 v1, 0, 1, s6
	v_mov_b32_e32 v11, s5
	s_and_not1_b32 vcc_lo, exec_lo, s6
	s_cbranch_vccz .LBB102_16
.LBB102_2:
	s_delay_alu instid0(VALU_DEP_2)
	v_cmp_ne_u32_e32 vcc_lo, 1, v1
	v_mov_b32_e32 v8, s2
	s_cbranch_vccz .LBB102_17
.LBB102_3:
	v_cmp_ne_u32_e32 vcc_lo, 1, v1
	v_mov_b32_e32 v9, s3
	s_cbranch_vccnz .LBB102_5
.LBB102_4:
	v_dual_mov_b32 v1, s2 :: v_dual_mov_b32 v2, s3
	flat_load_b32 v9, v[1:2] offset:4
.LBB102_5:
	s_waitcnt vmcnt(0) lgkmcnt(0)
	v_cmp_eq_f32_e32 vcc_lo, 0, v10
	v_cmp_eq_f32_e64 s2, 0, v11
	s_delay_alu instid0(VALU_DEP_1)
	s_and_b32 s4, vcc_lo, s2
	s_mov_b32 s2, -1
	s_and_saveexec_b32 s3, s4
; %bb.6:
	v_cmp_neq_f32_e32 vcc_lo, 1.0, v8
	v_cmp_neq_f32_e64 s2, 0, v9
	s_delay_alu instid0(VALU_DEP_1) | instskip(NEXT) | instid1(SALU_CYCLE_1)
	s_or_b32 s2, vcc_lo, s2
	s_or_not1_b32 s2, s2, exec_lo
; %bb.7:
	s_or_b32 exec_lo, exec_lo, s3
	s_and_saveexec_b32 s3, s2
	s_cbranch_execz .LBB102_44
; %bb.8:
	s_clause 0x1
	s_load_b128 s[4:7], s[0:1], 0x18
	s_load_b64 s[10:11], s[0:1], 0x28
	s_waitcnt lgkmcnt(0)
	s_cmp_eq_u64 s[4:5], 0
	s_cbranch_scc1 .LBB102_10
; %bb.9:
	s_ashr_i32 s9, s8, 31
	s_delay_alu instid0(SALU_CYCLE_1) | instskip(NEXT) | instid1(SALU_CYCLE_1)
	s_lshl_b64 s[2:3], s[8:9], 2
	s_add_u32 s2, s4, s2
	s_addc_u32 s3, s5, s3
	s_load_b32 s2, s[2:3], 0x0
	s_waitcnt lgkmcnt(0)
	s_sub_i32 s8, s2, s12
.LBB102_10:
	s_load_b32 s3, s[0:1], 0x4
	v_mul_u32_u24_e32 v1, 0xb22, v0
	v_mov_b32_e32 v2, 0
	v_lshlrev_b32_e32 v12, 3, v0
	s_delay_alu instid0(VALU_DEP_3) | instskip(NEXT) | instid1(VALU_DEP_1)
	v_lshrrev_b32_e32 v3, 16, v1
	v_mul_lo_u16 v1, v3, 23
	s_delay_alu instid0(VALU_DEP_1)
	v_sub_nc_u16 v13, v0, v1
	v_mov_b32_e32 v1, 0
	s_waitcnt lgkmcnt(0)
	s_cmp_eq_u32 s3, 1
	s_cselect_b32 s2, -1, 0
	s_cmp_lg_u32 s3, 1
	s_cselect_b32 s3, -1, 0
	s_ashr_i32 s9, s8, 31
	s_delay_alu instid0(SALU_CYCLE_1) | instskip(NEXT) | instid1(SALU_CYCLE_1)
	s_lshl_b64 s[4:5], s[8:9], 3
	s_add_u32 s6, s6, s4
	s_addc_u32 s7, s7, s5
	s_add_u32 s9, s6, 8
	s_addc_u32 s13, s7, 0
	;; [unrolled: 2-line block ×3, first 2 shown]
	s_cmp_eq_u64 s[10:11], 0
	s_load_b64 s[10:11], s[0:1], 0x50
	s_cselect_b32 s5, s13, s5
	s_cselect_b32 s4, s9, s4
	s_load_b64 s[18:19], s[6:7], 0x0
	s_load_b64 s[14:15], s[4:5], 0x0
	s_waitcnt lgkmcnt(0)
	v_cmp_ge_i64_e64 s4, s[18:19], s[14:15]
	s_delay_alu instid0(VALU_DEP_1)
	s_and_b32 vcc_lo, exec_lo, s4
	s_cbranch_vccnz .LBB102_18
; %bb.11:
	v_and_b32_e32 v1, 0xffff, v3
	v_cmp_lt_u32_e32 vcc_lo, 0x210, v0
	v_and_b32_e32 v2, 0xffff, v13
	s_clause 0x1
	s_load_b128 s[4:7], s[0:1], 0x30
	s_load_b64 s[0:1], s[0:1], 0x40
	s_sub_u32 s14, s14, s12
	v_subrev_nc_u32_e32 v3, 23, v1
	v_cndmask_b32_e64 v14, 0, 1, vcc_lo
	v_cmp_gt_u32_e32 vcc_lo, 0x211, v0
	s_subb_u32 s15, s15, 0
	s_sub_u32 s16, s18, s12
	v_lshlrev_b32_e32 v4, 3, v0
	s_subb_u32 s17, s19, 0
	v_cndmask_b32_e32 v1, v3, v1, vcc_lo
	s_mul_hi_u32 s9, s16, 0x1088
	s_mul_i32 s13, s17, 0x1088
	s_delay_alu instid0(SALU_CYCLE_1) | instskip(NEXT) | instid1(VALU_DEP_1)
	s_add_i32 s9, s9, s13
	v_cndmask_b32_e64 v3, v2, v1, s2
	v_add_co_u32 v1, s2, s18, v14
	s_delay_alu instid0(VALU_DEP_1) | instskip(SKIP_1) | instid1(VALU_DEP_2)
	v_add_co_ci_u32_e64 v2, null, s19, 0, s2
	s_mul_i32 s2, s16, 0x1088
	v_sub_co_u32 v1, vcc_lo, v1, s12
	s_delay_alu instid0(VALU_DEP_2)
	v_subrev_co_ci_u32_e32 v2, vcc_lo, 0, v2, vcc_lo
	s_waitcnt lgkmcnt(0)
	s_add_u32 s2, s6, s2
	s_addc_u32 s6, s7, s9
	v_add_co_u32 v4, s2, s2, v4
	v_lshlrev_b64 v[6:7], 2, v[1:2]
	v_mov_b32_e32 v2, 0
	v_add_co_ci_u32_e64 v5, null, s6, 0, s2
	s_delay_alu instid0(VALU_DEP_3) | instskip(NEXT) | instid1(VALU_DEP_4)
	v_add_co_u32 v6, vcc_lo, s4, v6
	v_add_co_ci_u32_e32 v7, vcc_lo, s5, v7, vcc_lo
	s_delay_alu instid0(VALU_DEP_4)
	v_mov_b32_e32 v1, v2
	s_set_inst_prefetch_distance 0x1
	s_branch .LBB102_13
	.p2align	6
.LBB102_12:                             ;   in Loop: Header=BB102_13 Depth=1
	s_or_b32 exec_lo, exec_lo, s2
	s_add_u32 s16, s16, 1
	s_addc_u32 s17, s17, 0
	v_add_co_u32 v6, vcc_lo, v6, 4
	v_cmp_lt_i64_e64 s2, s[16:17], s[14:15]
	v_add_co_ci_u32_e32 v7, vcc_lo, 0, v7, vcc_lo
	s_delay_alu instid0(VALU_DEP_2)
	s_and_b32 vcc_lo, exec_lo, s2
	s_cbranch_vccz .LBB102_18
.LBB102_13:                             ; =>This Inner Loop Header: Depth=1
	v_add_co_u32 v15, s2, v14, s16
	s_delay_alu instid0(VALU_DEP_1) | instskip(SKIP_1) | instid1(VALU_DEP_1)
	v_add_co_ci_u32_e64 v16, null, 0, s17, s2
	s_mov_b32 s2, exec_lo
	v_cmpx_gt_i64_e64 s[14:15], v[15:16]
	s_cbranch_execz .LBB102_12
; %bb.14:                               ;   in Loop: Header=BB102_13 Depth=1
	global_load_b32 v15, v[6:7], off
	s_waitcnt vmcnt(0)
	v_subrev_nc_u32_e32 v17, s12, v15
	s_delay_alu instid0(VALU_DEP_1) | instskip(NEXT) | instid1(VALU_DEP_1)
	v_mad_u64_u32 v[15:16], null, v17, 23, v[3:4]
	v_ashrrev_i32_e32 v16, 31, v15
	s_delay_alu instid0(VALU_DEP_1) | instskip(NEXT) | instid1(VALU_DEP_1)
	v_lshlrev_b64 v[15:16], 3, v[15:16]
	v_add_co_u32 v15, vcc_lo, s0, v15
	s_delay_alu instid0(VALU_DEP_2)
	v_add_co_ci_u32_e32 v16, vcc_lo, s1, v16, vcc_lo
	global_load_b64 v[17:18], v[4:5], off
	global_load_b64 v[15:16], v[15:16], off
	v_add_co_u32 v4, vcc_lo, 0x1088, v4
	v_add_co_ci_u32_e32 v5, vcc_lo, 0, v5, vcc_lo
	s_waitcnt vmcnt(0)
	v_fmac_f32_e32 v1, v17, v15
	v_fmac_f32_e32 v2, v18, v15
	s_delay_alu instid0(VALU_DEP_2) | instskip(NEXT) | instid1(VALU_DEP_2)
	v_fma_f32 v1, -v18, v16, v1
	v_fmac_f32_e32 v2, v17, v16
	s_branch .LBB102_12
.LBB102_15:
	v_dual_mov_b32 v1, s4 :: v_dual_mov_b32 v2, s5
	flat_load_b32 v10, v[1:2]
	v_cndmask_b32_e64 v1, 0, 1, s6
	v_mov_b32_e32 v11, s5
	s_and_not1_b32 vcc_lo, exec_lo, s6
	s_cbranch_vccnz .LBB102_2
.LBB102_16:
	v_dual_mov_b32 v2, s4 :: v_dual_mov_b32 v3, s5
	flat_load_b32 v11, v[2:3] offset:4
	v_cmp_ne_u32_e32 vcc_lo, 1, v1
	v_mov_b32_e32 v8, s2
	s_cbranch_vccnz .LBB102_3
.LBB102_17:
	v_dual_mov_b32 v2, s2 :: v_dual_mov_b32 v3, s3
	flat_load_b32 v8, v[2:3]
	v_cmp_ne_u32_e32 vcc_lo, 1, v1
	v_mov_b32_e32 v9, s3
	s_cbranch_vccz .LBB102_4
	s_branch .LBB102_5
.LBB102_18:
	s_set_inst_prefetch_distance 0x2
	s_and_b32 vcc_lo, exec_lo, s3
	ds_store_b64 v12, v[1:2]
	s_waitcnt lgkmcnt(0)
	s_barrier
	buffer_gl0_inv
	s_cbranch_vccz .LBB102_30
; %bb.19:
	s_mov_b32 s0, exec_lo
	v_cmpx_gt_u16_e32 7, v13
	s_cbranch_execz .LBB102_21
; %bb.20:
	ds_load_2addr_b64 v[3:6], v12 offset1:16
	s_waitcnt lgkmcnt(0)
	v_dual_add_f32 v3, v5, v3 :: v_dual_add_f32 v4, v6, v4
	ds_store_b64 v12, v[3:4]
.LBB102_21:
	s_or_b32 exec_lo, exec_lo, s0
	s_delay_alu instid0(SALU_CYCLE_1)
	s_mov_b32 s0, exec_lo
	s_waitcnt lgkmcnt(0)
	s_barrier
	buffer_gl0_inv
	v_cmpx_gt_u16_e32 8, v13
	s_cbranch_execz .LBB102_23
; %bb.22:
	ds_load_2addr_b64 v[3:6], v12 offset1:8
	s_waitcnt lgkmcnt(0)
	v_dual_add_f32 v3, v5, v3 :: v_dual_add_f32 v4, v6, v4
	ds_store_b64 v12, v[3:4]
.LBB102_23:
	s_or_b32 exec_lo, exec_lo, s0
	s_delay_alu instid0(SALU_CYCLE_1)
	s_mov_b32 s0, exec_lo
	s_waitcnt lgkmcnt(0)
	s_barrier
	buffer_gl0_inv
	;; [unrolled: 14-line block ×3, first 2 shown]
	v_cmpx_gt_u16_e32 2, v13
	s_cbranch_execz .LBB102_27
; %bb.26:
	ds_load_2addr_b64 v[3:6], v12 offset1:2
	s_waitcnt lgkmcnt(0)
	v_dual_add_f32 v3, v5, v3 :: v_dual_add_f32 v4, v6, v4
	ds_store_b64 v12, v[3:4]
.LBB102_27:
	s_or_b32 exec_lo, exec_lo, s0
	s_mov_b32 s1, 0
	s_mov_b32 s0, 0
	s_mov_b32 s2, exec_lo
	s_waitcnt lgkmcnt(0)
	s_barrier
	buffer_gl0_inv
                                        ; implicit-def: $vgpr4
                                        ; implicit-def: $vgpr3
	v_cmpx_gt_u32_e32 23, v0
	s_xor_b32 s2, exec_lo, s2
; %bb.28:
	v_mul_u32_u24_e32 v4, 23, v0
	v_mad_u32_u24 v3, v0, 23, 1
	s_mov_b32 s0, exec_lo
	s_delay_alu instid0(VALU_DEP_2)
	v_lshlrev_b32_e32 v4, 3, v4
; %bb.29:
	s_or_b32 exec_lo, exec_lo, s2
	s_delay_alu instid0(SALU_CYCLE_1)
	s_and_b32 vcc_lo, exec_lo, s1
	s_cbranch_vccnz .LBB102_31
	s_branch .LBB102_42
.LBB102_30:
	s_mov_b32 s0, 0
                                        ; implicit-def: $vgpr4
                                        ; implicit-def: $vgpr3
	s_cbranch_execz .LBB102_42
.LBB102_31:
	s_mov_b32 s1, exec_lo
	v_cmpx_gt_u32_e32 0xa1, v0
	s_cbranch_execz .LBB102_33
; %bb.32:
	ds_load_b64 v[3:4], v12 offset:2944
	ds_load_b64 v[5:6], v12
	s_waitcnt lgkmcnt(0)
	v_dual_add_f32 v3, v3, v5 :: v_dual_add_f32 v4, v4, v6
	ds_store_b64 v12, v[3:4]
.LBB102_33:
	s_or_b32 exec_lo, exec_lo, s1
	s_delay_alu instid0(SALU_CYCLE_1)
	s_mov_b32 s1, exec_lo
	s_waitcnt lgkmcnt(0)
	s_barrier
	buffer_gl0_inv
	v_cmpx_gt_u32_e32 0xb8, v0
	s_cbranch_execz .LBB102_35
; %bb.34:
	ds_load_2addr_b64 v[3:6], v12 offset1:184
	s_waitcnt lgkmcnt(0)
	v_dual_add_f32 v3, v5, v3 :: v_dual_add_f32 v4, v6, v4
	ds_store_b64 v12, v[3:4]
.LBB102_35:
	s_or_b32 exec_lo, exec_lo, s1
	s_delay_alu instid0(SALU_CYCLE_1)
	s_mov_b32 s1, exec_lo
	s_waitcnt lgkmcnt(0)
	s_barrier
	buffer_gl0_inv
	v_cmpx_gt_u32_e32 0x5c, v0
	s_cbranch_execz .LBB102_37
; %bb.36:
	ds_load_2addr_b64 v[3:6], v12 offset1:92
	s_waitcnt lgkmcnt(0)
	v_dual_add_f32 v3, v5, v3 :: v_dual_add_f32 v4, v6, v4
	ds_store_b64 v12, v[3:4]
.LBB102_37:
	;; [unrolled: 14-line block ×3, first 2 shown]
	s_or_b32 exec_lo, exec_lo, s1
	s_delay_alu instid0(SALU_CYCLE_1)
	s_mov_b32 s1, exec_lo
	s_waitcnt lgkmcnt(0)
	buffer_gl0_inv
                                        ; implicit-def: $vgpr3
	v_cmpx_gt_u32_e32 23, v0
; %bb.40:
	v_add_nc_u32_e32 v3, 23, v0
                                        ; kill: def $vgpr1 killed $sgpr0 killed $exec
	s_or_b32 s0, s0, exec_lo
                                        ; implicit-def: $vgpr2
; %bb.41:
	s_or_b32 exec_lo, exec_lo, s1
	v_mov_b32_e32 v4, v12
.LBB102_42:
	s_and_saveexec_b32 s1, s0
	s_cbranch_execnz .LBB102_45
; %bb.43:
	s_or_b32 exec_lo, exec_lo, s1
	v_cmp_gt_u32_e32 vcc_lo, 23, v0
	s_and_b32 exec_lo, exec_lo, vcc_lo
	s_cbranch_execnz .LBB102_46
.LBB102_44:
	s_nop 0
	s_sendmsg sendmsg(MSG_DEALLOC_VGPRS)
	s_endpgm
.LBB102_45:
	v_lshlrev_b32_e32 v3, 3, v3
	ds_load_2addr_b32 v[1:2], v4 offset1:1
	ds_load_b64 v[3:4], v3
	s_waitcnt lgkmcnt(0)
	v_dual_add_f32 v2, v4, v2 :: v_dual_add_f32 v1, v3, v1
	s_or_b32 exec_lo, exec_lo, s1
	v_cmp_gt_u32_e32 vcc_lo, 23, v0
	s_and_b32 exec_lo, exec_lo, vcc_lo
	s_cbranch_execz .LBB102_44
.LBB102_46:
	v_mul_f32_e64 v3, v2, -v11
	v_mul_f32_e32 v4, v2, v10
	v_cmp_eq_f32_e32 vcc_lo, 0, v8
	v_cmp_eq_f32_e64 s0, 0, v9
	s_delay_alu instid0(VALU_DEP_4) | instskip(NEXT) | instid1(VALU_DEP_4)
	v_fmac_f32_e32 v3, v10, v1
	v_fmac_f32_e32 v4, v11, v1
	s_delay_alu instid0(VALU_DEP_3) | instskip(NEXT) | instid1(SALU_CYCLE_1)
	s_and_b32 s0, vcc_lo, s0
	s_and_saveexec_b32 s1, s0
	s_delay_alu instid0(SALU_CYCLE_1)
	s_xor_b32 s0, exec_lo, s1
	s_cbranch_execz .LBB102_48
; %bb.47:
	v_mad_u64_u32 v[1:2], null, s8, 23, v[0:1]
	v_mov_b32_e32 v2, 0
                                        ; implicit-def: $vgpr8
                                        ; implicit-def: $vgpr9
	s_delay_alu instid0(VALU_DEP_1) | instskip(NEXT) | instid1(VALU_DEP_1)
	v_lshlrev_b64 v[0:1], 3, v[1:2]
	v_add_co_u32 v0, vcc_lo, s10, v0
	s_delay_alu instid0(VALU_DEP_2)
	v_add_co_ci_u32_e32 v1, vcc_lo, s11, v1, vcc_lo
	global_store_b64 v[0:1], v[3:4], off
                                        ; implicit-def: $vgpr0
                                        ; implicit-def: $vgpr3
.LBB102_48:
	s_and_not1_saveexec_b32 s0, s0
	s_cbranch_execz .LBB102_44
; %bb.49:
	v_mad_u64_u32 v[1:2], null, s8, 23, v[0:1]
	v_mov_b32_e32 v2, 0
	s_delay_alu instid0(VALU_DEP_1) | instskip(NEXT) | instid1(VALU_DEP_1)
	v_lshlrev_b64 v[0:1], 3, v[1:2]
	v_add_co_u32 v0, vcc_lo, s10, v0
	s_delay_alu instid0(VALU_DEP_2) | instskip(SKIP_4) | instid1(VALU_DEP_2)
	v_add_co_ci_u32_e32 v1, vcc_lo, s11, v1, vcc_lo
	global_load_b64 v[5:6], v[0:1], off
	s_waitcnt vmcnt(0)
	v_fmac_f32_e32 v3, v8, v5
	v_fmac_f32_e32 v4, v9, v5
	v_fma_f32 v3, -v9, v6, v3
	s_delay_alu instid0(VALU_DEP_2)
	v_fmac_f32_e32 v4, v8, v6
	global_store_b64 v[0:1], v[3:4], off
	s_nop 0
	s_sendmsg sendmsg(MSG_DEALLOC_VGPRS)
	s_endpgm
	.section	.rodata,"a",@progbits
	.p2align	6, 0x0
	.amdhsa_kernel _ZN9rocsparseL20bsrxmvn_17_32_kernelILj23E21rocsparse_complex_numIfEliS2_S2_S2_EEvT2_20rocsparse_direction_NS_24const_host_device_scalarIT0_EES3_PKS3_PKT1_SC_S9_PKT3_PKT4_S7_PT5_21rocsparse_index_base_b
		.amdhsa_group_segment_fixed_size 4232
		.amdhsa_private_segment_fixed_size 0
		.amdhsa_kernarg_size 96
		.amdhsa_user_sgpr_count 15
		.amdhsa_user_sgpr_dispatch_ptr 0
		.amdhsa_user_sgpr_queue_ptr 0
		.amdhsa_user_sgpr_kernarg_segment_ptr 1
		.amdhsa_user_sgpr_dispatch_id 0
		.amdhsa_user_sgpr_private_segment_size 0
		.amdhsa_wavefront_size32 1
		.amdhsa_uses_dynamic_stack 0
		.amdhsa_enable_private_segment 0
		.amdhsa_system_sgpr_workgroup_id_x 1
		.amdhsa_system_sgpr_workgroup_id_y 0
		.amdhsa_system_sgpr_workgroup_id_z 0
		.amdhsa_system_sgpr_workgroup_info 0
		.amdhsa_system_vgpr_workitem_id 0
		.amdhsa_next_free_vgpr 19
		.amdhsa_next_free_sgpr 20
		.amdhsa_reserve_vcc 1
		.amdhsa_float_round_mode_32 0
		.amdhsa_float_round_mode_16_64 0
		.amdhsa_float_denorm_mode_32 3
		.amdhsa_float_denorm_mode_16_64 3
		.amdhsa_dx10_clamp 1
		.amdhsa_ieee_mode 1
		.amdhsa_fp16_overflow 0
		.amdhsa_workgroup_processor_mode 1
		.amdhsa_memory_ordered 1
		.amdhsa_forward_progress 0
		.amdhsa_shared_vgpr_count 0
		.amdhsa_exception_fp_ieee_invalid_op 0
		.amdhsa_exception_fp_denorm_src 0
		.amdhsa_exception_fp_ieee_div_zero 0
		.amdhsa_exception_fp_ieee_overflow 0
		.amdhsa_exception_fp_ieee_underflow 0
		.amdhsa_exception_fp_ieee_inexact 0
		.amdhsa_exception_int_div_zero 0
	.end_amdhsa_kernel
	.section	.text._ZN9rocsparseL20bsrxmvn_17_32_kernelILj23E21rocsparse_complex_numIfEliS2_S2_S2_EEvT2_20rocsparse_direction_NS_24const_host_device_scalarIT0_EES3_PKS3_PKT1_SC_S9_PKT3_PKT4_S7_PT5_21rocsparse_index_base_b,"axG",@progbits,_ZN9rocsparseL20bsrxmvn_17_32_kernelILj23E21rocsparse_complex_numIfEliS2_S2_S2_EEvT2_20rocsparse_direction_NS_24const_host_device_scalarIT0_EES3_PKS3_PKT1_SC_S9_PKT3_PKT4_S7_PT5_21rocsparse_index_base_b,comdat
.Lfunc_end102:
	.size	_ZN9rocsparseL20bsrxmvn_17_32_kernelILj23E21rocsparse_complex_numIfEliS2_S2_S2_EEvT2_20rocsparse_direction_NS_24const_host_device_scalarIT0_EES3_PKS3_PKT1_SC_S9_PKT3_PKT4_S7_PT5_21rocsparse_index_base_b, .Lfunc_end102-_ZN9rocsparseL20bsrxmvn_17_32_kernelILj23E21rocsparse_complex_numIfEliS2_S2_S2_EEvT2_20rocsparse_direction_NS_24const_host_device_scalarIT0_EES3_PKS3_PKT1_SC_S9_PKT3_PKT4_S7_PT5_21rocsparse_index_base_b
                                        ; -- End function
	.section	.AMDGPU.csdata,"",@progbits
; Kernel info:
; codeLenInByte = 1924
; NumSgprs: 22
; NumVgprs: 19
; ScratchSize: 0
; MemoryBound: 0
; FloatMode: 240
; IeeeMode: 1
; LDSByteSize: 4232 bytes/workgroup (compile time only)
; SGPRBlocks: 2
; VGPRBlocks: 2
; NumSGPRsForWavesPerEU: 22
; NumVGPRsForWavesPerEU: 19
; Occupancy: 13
; WaveLimiterHint : 1
; COMPUTE_PGM_RSRC2:SCRATCH_EN: 0
; COMPUTE_PGM_RSRC2:USER_SGPR: 15
; COMPUTE_PGM_RSRC2:TRAP_HANDLER: 0
; COMPUTE_PGM_RSRC2:TGID_X_EN: 1
; COMPUTE_PGM_RSRC2:TGID_Y_EN: 0
; COMPUTE_PGM_RSRC2:TGID_Z_EN: 0
; COMPUTE_PGM_RSRC2:TIDIG_COMP_CNT: 0
	.section	.text._ZN9rocsparseL20bsrxmvn_17_32_kernelILj24E21rocsparse_complex_numIfEliS2_S2_S2_EEvT2_20rocsparse_direction_NS_24const_host_device_scalarIT0_EES3_PKS3_PKT1_SC_S9_PKT3_PKT4_S7_PT5_21rocsparse_index_base_b,"axG",@progbits,_ZN9rocsparseL20bsrxmvn_17_32_kernelILj24E21rocsparse_complex_numIfEliS2_S2_S2_EEvT2_20rocsparse_direction_NS_24const_host_device_scalarIT0_EES3_PKS3_PKT1_SC_S9_PKT3_PKT4_S7_PT5_21rocsparse_index_base_b,comdat
	.globl	_ZN9rocsparseL20bsrxmvn_17_32_kernelILj24E21rocsparse_complex_numIfEliS2_S2_S2_EEvT2_20rocsparse_direction_NS_24const_host_device_scalarIT0_EES3_PKS3_PKT1_SC_S9_PKT3_PKT4_S7_PT5_21rocsparse_index_base_b ; -- Begin function _ZN9rocsparseL20bsrxmvn_17_32_kernelILj24E21rocsparse_complex_numIfEliS2_S2_S2_EEvT2_20rocsparse_direction_NS_24const_host_device_scalarIT0_EES3_PKS3_PKT1_SC_S9_PKT3_PKT4_S7_PT5_21rocsparse_index_base_b
	.p2align	8
	.type	_ZN9rocsparseL20bsrxmvn_17_32_kernelILj24E21rocsparse_complex_numIfEliS2_S2_S2_EEvT2_20rocsparse_direction_NS_24const_host_device_scalarIT0_EES3_PKS3_PKT1_SC_S9_PKT3_PKT4_S7_PT5_21rocsparse_index_base_b,@function
_ZN9rocsparseL20bsrxmvn_17_32_kernelILj24E21rocsparse_complex_numIfEliS2_S2_S2_EEvT2_20rocsparse_direction_NS_24const_host_device_scalarIT0_EES3_PKS3_PKT1_SC_S9_PKT3_PKT4_S7_PT5_21rocsparse_index_base_b: ; @_ZN9rocsparseL20bsrxmvn_17_32_kernelILj24E21rocsparse_complex_numIfEliS2_S2_S2_EEvT2_20rocsparse_direction_NS_24const_host_device_scalarIT0_EES3_PKS3_PKT1_SC_S9_PKT3_PKT4_S7_PT5_21rocsparse_index_base_b
; %bb.0:
	s_clause 0x2
	s_load_b64 s[12:13], s[0:1], 0x58
	s_load_b64 s[4:5], s[0:1], 0x8
	;; [unrolled: 1-line block ×3, first 2 shown]
	s_mov_b32 s8, s15
	s_waitcnt lgkmcnt(0)
	s_bitcmp1_b32 s13, 0
	v_mov_b32_e32 v10, s4
	s_cselect_b32 s6, -1, 0
	s_delay_alu instid0(SALU_CYCLE_1)
	s_and_b32 vcc_lo, exec_lo, s6
	s_xor_b32 s6, s6, -1
	s_cbranch_vccz .LBB103_15
; %bb.1:
	v_cndmask_b32_e64 v1, 0, 1, s6
	v_mov_b32_e32 v11, s5
	s_and_not1_b32 vcc_lo, exec_lo, s6
	s_cbranch_vccz .LBB103_16
.LBB103_2:
	s_delay_alu instid0(VALU_DEP_2)
	v_cmp_ne_u32_e32 vcc_lo, 1, v1
	v_mov_b32_e32 v8, s2
	s_cbranch_vccz .LBB103_17
.LBB103_3:
	v_cmp_ne_u32_e32 vcc_lo, 1, v1
	v_mov_b32_e32 v9, s3
	s_cbranch_vccnz .LBB103_5
.LBB103_4:
	v_dual_mov_b32 v1, s2 :: v_dual_mov_b32 v2, s3
	flat_load_b32 v9, v[1:2] offset:4
.LBB103_5:
	s_waitcnt vmcnt(0) lgkmcnt(0)
	v_cmp_eq_f32_e32 vcc_lo, 0, v10
	v_cmp_eq_f32_e64 s2, 0, v11
	s_delay_alu instid0(VALU_DEP_1)
	s_and_b32 s4, vcc_lo, s2
	s_mov_b32 s2, -1
	s_and_saveexec_b32 s3, s4
; %bb.6:
	v_cmp_neq_f32_e32 vcc_lo, 1.0, v8
	v_cmp_neq_f32_e64 s2, 0, v9
	s_delay_alu instid0(VALU_DEP_1) | instskip(NEXT) | instid1(SALU_CYCLE_1)
	s_or_b32 s2, vcc_lo, s2
	s_or_not1_b32 s2, s2, exec_lo
; %bb.7:
	s_or_b32 exec_lo, exec_lo, s3
	s_and_saveexec_b32 s3, s2
	s_cbranch_execz .LBB103_44
; %bb.8:
	s_clause 0x1
	s_load_b128 s[4:7], s[0:1], 0x18
	s_load_b64 s[10:11], s[0:1], 0x28
	s_waitcnt lgkmcnt(0)
	s_cmp_eq_u64 s[4:5], 0
	s_cbranch_scc1 .LBB103_10
; %bb.9:
	s_ashr_i32 s9, s8, 31
	s_delay_alu instid0(SALU_CYCLE_1) | instskip(NEXT) | instid1(SALU_CYCLE_1)
	s_lshl_b64 s[2:3], s[8:9], 2
	s_add_u32 s2, s4, s2
	s_addc_u32 s3, s5, s3
	s_load_b32 s2, s[2:3], 0x0
	s_waitcnt lgkmcnt(0)
	s_sub_i32 s8, s2, s12
.LBB103_10:
	s_load_b32 s3, s[0:1], 0x4
	v_mul_u32_u24_e32 v1, 0xaab, v0
	v_mov_b32_e32 v2, 0
	v_lshlrev_b32_e32 v12, 3, v0
	s_delay_alu instid0(VALU_DEP_3) | instskip(NEXT) | instid1(VALU_DEP_1)
	v_lshrrev_b32_e32 v3, 16, v1
	v_mul_lo_u16 v1, v3, 24
	s_delay_alu instid0(VALU_DEP_1)
	v_sub_nc_u16 v13, v0, v1
	v_mov_b32_e32 v1, 0
	s_waitcnt lgkmcnt(0)
	s_cmp_eq_u32 s3, 1
	s_cselect_b32 s2, -1, 0
	s_cmp_lg_u32 s3, 1
	s_cselect_b32 s3, -1, 0
	s_ashr_i32 s9, s8, 31
	s_delay_alu instid0(SALU_CYCLE_1) | instskip(NEXT) | instid1(SALU_CYCLE_1)
	s_lshl_b64 s[4:5], s[8:9], 3
	s_add_u32 s6, s6, s4
	s_addc_u32 s7, s7, s5
	s_add_u32 s9, s6, 8
	s_addc_u32 s13, s7, 0
	;; [unrolled: 2-line block ×3, first 2 shown]
	s_cmp_eq_u64 s[10:11], 0
	s_load_b64 s[10:11], s[0:1], 0x50
	s_cselect_b32 s5, s13, s5
	s_cselect_b32 s4, s9, s4
	s_load_b64 s[18:19], s[6:7], 0x0
	s_load_b64 s[14:15], s[4:5], 0x0
	s_waitcnt lgkmcnt(0)
	v_cmp_ge_i64_e64 s4, s[18:19], s[14:15]
	s_delay_alu instid0(VALU_DEP_1)
	s_and_b32 vcc_lo, exec_lo, s4
	s_cbranch_vccnz .LBB103_18
; %bb.11:
	v_and_b32_e32 v1, 0xffff, v3
	v_cmp_lt_u32_e32 vcc_lo, 0x23f, v0
	v_and_b32_e32 v2, 0xffff, v13
	s_clause 0x1
	s_load_b128 s[4:7], s[0:1], 0x30
	s_load_b64 s[0:1], s[0:1], 0x40
	s_sub_u32 s14, s14, s12
	v_subrev_nc_u32_e32 v3, 24, v1
	v_cndmask_b32_e64 v14, 0, 1, vcc_lo
	v_cmp_gt_u32_e32 vcc_lo, 0x240, v0
	s_subb_u32 s15, s15, 0
	s_sub_u32 s16, s18, s12
	v_lshlrev_b32_e32 v4, 3, v0
	s_subb_u32 s17, s19, 0
	v_cndmask_b32_e32 v1, v3, v1, vcc_lo
	s_mul_hi_u32 s9, s16, 0x1200
	s_mul_i32 s13, s17, 0x1200
	s_delay_alu instid0(SALU_CYCLE_1) | instskip(NEXT) | instid1(VALU_DEP_1)
	s_add_i32 s9, s9, s13
	v_cndmask_b32_e64 v3, v2, v1, s2
	v_add_co_u32 v1, s2, s18, v14
	s_delay_alu instid0(VALU_DEP_1) | instskip(SKIP_1) | instid1(VALU_DEP_2)
	v_add_co_ci_u32_e64 v2, null, s19, 0, s2
	s_mul_i32 s2, s16, 0x1200
	v_sub_co_u32 v1, vcc_lo, v1, s12
	s_delay_alu instid0(VALU_DEP_2)
	v_subrev_co_ci_u32_e32 v2, vcc_lo, 0, v2, vcc_lo
	s_waitcnt lgkmcnt(0)
	s_add_u32 s2, s6, s2
	s_addc_u32 s6, s7, s9
	v_add_co_u32 v4, s2, s2, v4
	v_lshlrev_b64 v[6:7], 2, v[1:2]
	v_mov_b32_e32 v2, 0
	v_add_co_ci_u32_e64 v5, null, s6, 0, s2
	s_delay_alu instid0(VALU_DEP_3) | instskip(NEXT) | instid1(VALU_DEP_4)
	v_add_co_u32 v6, vcc_lo, s4, v6
	v_add_co_ci_u32_e32 v7, vcc_lo, s5, v7, vcc_lo
	s_delay_alu instid0(VALU_DEP_4)
	v_mov_b32_e32 v1, v2
	s_set_inst_prefetch_distance 0x1
	s_branch .LBB103_13
	.p2align	6
.LBB103_12:                             ;   in Loop: Header=BB103_13 Depth=1
	s_or_b32 exec_lo, exec_lo, s2
	s_add_u32 s16, s16, 1
	s_addc_u32 s17, s17, 0
	v_add_co_u32 v6, vcc_lo, v6, 4
	v_cmp_lt_i64_e64 s2, s[16:17], s[14:15]
	v_add_co_ci_u32_e32 v7, vcc_lo, 0, v7, vcc_lo
	s_delay_alu instid0(VALU_DEP_2)
	s_and_b32 vcc_lo, exec_lo, s2
	s_cbranch_vccz .LBB103_18
.LBB103_13:                             ; =>This Inner Loop Header: Depth=1
	v_add_co_u32 v15, s2, v14, s16
	s_delay_alu instid0(VALU_DEP_1) | instskip(SKIP_1) | instid1(VALU_DEP_1)
	v_add_co_ci_u32_e64 v16, null, 0, s17, s2
	s_mov_b32 s2, exec_lo
	v_cmpx_gt_i64_e64 s[14:15], v[15:16]
	s_cbranch_execz .LBB103_12
; %bb.14:                               ;   in Loop: Header=BB103_13 Depth=1
	global_load_b32 v15, v[6:7], off
	s_waitcnt vmcnt(0)
	v_subrev_nc_u32_e32 v17, s12, v15
	s_delay_alu instid0(VALU_DEP_1) | instskip(NEXT) | instid1(VALU_DEP_1)
	v_mad_u64_u32 v[15:16], null, v17, 24, v[3:4]
	v_ashrrev_i32_e32 v16, 31, v15
	s_delay_alu instid0(VALU_DEP_1) | instskip(NEXT) | instid1(VALU_DEP_1)
	v_lshlrev_b64 v[15:16], 3, v[15:16]
	v_add_co_u32 v15, vcc_lo, s0, v15
	s_delay_alu instid0(VALU_DEP_2)
	v_add_co_ci_u32_e32 v16, vcc_lo, s1, v16, vcc_lo
	global_load_b64 v[17:18], v[4:5], off
	global_load_b64 v[15:16], v[15:16], off
	v_add_co_u32 v4, vcc_lo, 0x1200, v4
	v_add_co_ci_u32_e32 v5, vcc_lo, 0, v5, vcc_lo
	s_waitcnt vmcnt(0)
	v_fmac_f32_e32 v1, v17, v15
	v_fmac_f32_e32 v2, v18, v15
	s_delay_alu instid0(VALU_DEP_2) | instskip(NEXT) | instid1(VALU_DEP_2)
	v_fma_f32 v1, -v18, v16, v1
	v_fmac_f32_e32 v2, v17, v16
	s_branch .LBB103_12
.LBB103_15:
	v_dual_mov_b32 v1, s4 :: v_dual_mov_b32 v2, s5
	flat_load_b32 v10, v[1:2]
	v_cndmask_b32_e64 v1, 0, 1, s6
	v_mov_b32_e32 v11, s5
	s_and_not1_b32 vcc_lo, exec_lo, s6
	s_cbranch_vccnz .LBB103_2
.LBB103_16:
	v_dual_mov_b32 v2, s4 :: v_dual_mov_b32 v3, s5
	flat_load_b32 v11, v[2:3] offset:4
	v_cmp_ne_u32_e32 vcc_lo, 1, v1
	v_mov_b32_e32 v8, s2
	s_cbranch_vccnz .LBB103_3
.LBB103_17:
	v_dual_mov_b32 v2, s2 :: v_dual_mov_b32 v3, s3
	flat_load_b32 v8, v[2:3]
	v_cmp_ne_u32_e32 vcc_lo, 1, v1
	v_mov_b32_e32 v9, s3
	s_cbranch_vccz .LBB103_4
	s_branch .LBB103_5
.LBB103_18:
	s_set_inst_prefetch_distance 0x2
	s_and_b32 vcc_lo, exec_lo, s3
	ds_store_b64 v12, v[1:2]
	s_waitcnt lgkmcnt(0)
	s_barrier
	buffer_gl0_inv
	s_cbranch_vccz .LBB103_30
; %bb.19:
	v_cmp_gt_u16_e32 vcc_lo, 8, v13
	s_and_saveexec_b32 s0, vcc_lo
	s_cbranch_execz .LBB103_21
; %bb.20:
	ds_load_2addr_b64 v[3:6], v12 offset1:16
	s_waitcnt lgkmcnt(0)
	v_dual_add_f32 v3, v5, v3 :: v_dual_add_f32 v4, v6, v4
	ds_store_b64 v12, v[3:4]
.LBB103_21:
	s_or_b32 exec_lo, exec_lo, s0
	s_waitcnt lgkmcnt(0)
	s_barrier
	buffer_gl0_inv
	s_and_saveexec_b32 s0, vcc_lo
	s_cbranch_execz .LBB103_23
; %bb.22:
	ds_load_2addr_b64 v[3:6], v12 offset1:8
	s_waitcnt lgkmcnt(0)
	v_dual_add_f32 v3, v5, v3 :: v_dual_add_f32 v4, v6, v4
	ds_store_b64 v12, v[3:4]
.LBB103_23:
	s_or_b32 exec_lo, exec_lo, s0
	s_delay_alu instid0(SALU_CYCLE_1)
	s_mov_b32 s0, exec_lo
	s_waitcnt lgkmcnt(0)
	s_barrier
	buffer_gl0_inv
	v_cmpx_gt_u16_e32 4, v13
	s_cbranch_execz .LBB103_25
; %bb.24:
	ds_load_2addr_b64 v[3:6], v12 offset1:4
	s_waitcnt lgkmcnt(0)
	v_dual_add_f32 v3, v5, v3 :: v_dual_add_f32 v4, v6, v4
	ds_store_b64 v12, v[3:4]
.LBB103_25:
	s_or_b32 exec_lo, exec_lo, s0
	s_delay_alu instid0(SALU_CYCLE_1)
	s_mov_b32 s0, exec_lo
	s_waitcnt lgkmcnt(0)
	s_barrier
	buffer_gl0_inv
	v_cmpx_gt_u16_e32 2, v13
	s_cbranch_execz .LBB103_27
; %bb.26:
	ds_load_2addr_b64 v[3:6], v12 offset1:2
	s_waitcnt lgkmcnt(0)
	v_dual_add_f32 v3, v5, v3 :: v_dual_add_f32 v4, v6, v4
	ds_store_b64 v12, v[3:4]
.LBB103_27:
	s_or_b32 exec_lo, exec_lo, s0
	s_mov_b32 s1, 0
	s_mov_b32 s0, 0
	s_mov_b32 s2, exec_lo
	s_waitcnt lgkmcnt(0)
	s_barrier
	buffer_gl0_inv
                                        ; implicit-def: $vgpr4
                                        ; implicit-def: $vgpr3
	v_cmpx_gt_u32_e32 24, v0
	s_xor_b32 s2, exec_lo, s2
; %bb.28:
	v_mul_u32_u24_e32 v3, 24, v0
	s_mov_b32 s0, exec_lo
	s_delay_alu instid0(VALU_DEP_1)
	v_lshlrev_b32_e32 v4, 3, v3
	v_or_b32_e32 v3, 1, v3
; %bb.29:
	s_or_b32 exec_lo, exec_lo, s2
	s_delay_alu instid0(SALU_CYCLE_1)
	s_and_b32 vcc_lo, exec_lo, s1
	s_cbranch_vccnz .LBB103_31
	s_branch .LBB103_42
.LBB103_30:
	s_mov_b32 s0, 0
                                        ; implicit-def: $vgpr4
                                        ; implicit-def: $vgpr3
	s_cbranch_execz .LBB103_42
.LBB103_31:
	v_cmp_gt_u32_e32 vcc_lo, 0xc0, v0
	s_and_saveexec_b32 s1, vcc_lo
	s_cbranch_execz .LBB103_33
; %bb.32:
	ds_load_2addr_stride64_b64 v[3:6], v12 offset1:6
	s_waitcnt lgkmcnt(0)
	v_dual_add_f32 v3, v5, v3 :: v_dual_add_f32 v4, v6, v4
	ds_store_b64 v12, v[3:4]
.LBB103_33:
	s_or_b32 exec_lo, exec_lo, s1
	s_waitcnt lgkmcnt(0)
	s_barrier
	buffer_gl0_inv
	s_and_saveexec_b32 s1, vcc_lo
	s_cbranch_execz .LBB103_35
; %bb.34:
	ds_load_2addr_stride64_b64 v[3:6], v12 offset1:3
	s_waitcnt lgkmcnt(0)
	v_dual_add_f32 v3, v5, v3 :: v_dual_add_f32 v4, v6, v4
	ds_store_b64 v12, v[3:4]
.LBB103_35:
	s_or_b32 exec_lo, exec_lo, s1
	s_delay_alu instid0(SALU_CYCLE_1)
	s_mov_b32 s1, exec_lo
	s_waitcnt lgkmcnt(0)
	s_barrier
	buffer_gl0_inv
	v_cmpx_gt_u32_e32 0x60, v0
	s_cbranch_execz .LBB103_37
; %bb.36:
	ds_load_2addr_b64 v[3:6], v12 offset1:96
	s_waitcnt lgkmcnt(0)
	v_dual_add_f32 v3, v5, v3 :: v_dual_add_f32 v4, v6, v4
	ds_store_b64 v12, v[3:4]
.LBB103_37:
	s_or_b32 exec_lo, exec_lo, s1
	s_delay_alu instid0(SALU_CYCLE_1)
	s_mov_b32 s1, exec_lo
	s_waitcnt lgkmcnt(0)
	s_barrier
	buffer_gl0_inv
	v_cmpx_gt_u32_e32 48, v0
	s_cbranch_execz .LBB103_39
; %bb.38:
	ds_load_2addr_b64 v[3:6], v12 offset1:48
	s_waitcnt lgkmcnt(0)
	v_dual_add_f32 v3, v5, v3 :: v_dual_add_f32 v4, v6, v4
	ds_store_b64 v12, v[3:4]
.LBB103_39:
	s_or_b32 exec_lo, exec_lo, s1
	s_delay_alu instid0(SALU_CYCLE_1)
	s_mov_b32 s1, exec_lo
	s_waitcnt lgkmcnt(0)
	buffer_gl0_inv
                                        ; implicit-def: $vgpr3
	v_cmpx_gt_u32_e32 24, v0
; %bb.40:
	v_add_nc_u32_e32 v3, 24, v0
                                        ; kill: def $vgpr1 killed $sgpr0 killed $exec
	s_or_b32 s0, s0, exec_lo
                                        ; implicit-def: $vgpr2
; %bb.41:
	s_or_b32 exec_lo, exec_lo, s1
	v_mov_b32_e32 v4, v12
.LBB103_42:
	s_and_saveexec_b32 s1, s0
	s_cbranch_execnz .LBB103_45
; %bb.43:
	s_or_b32 exec_lo, exec_lo, s1
	v_cmp_gt_u32_e32 vcc_lo, 24, v0
	s_and_b32 exec_lo, exec_lo, vcc_lo
	s_cbranch_execnz .LBB103_46
.LBB103_44:
	s_nop 0
	s_sendmsg sendmsg(MSG_DEALLOC_VGPRS)
	s_endpgm
.LBB103_45:
	v_lshlrev_b32_e32 v3, 3, v3
	ds_load_2addr_b32 v[1:2], v4 offset1:1
	ds_load_b64 v[3:4], v3
	s_waitcnt lgkmcnt(0)
	v_dual_add_f32 v2, v4, v2 :: v_dual_add_f32 v1, v3, v1
	s_or_b32 exec_lo, exec_lo, s1
	v_cmp_gt_u32_e32 vcc_lo, 24, v0
	s_and_b32 exec_lo, exec_lo, vcc_lo
	s_cbranch_execz .LBB103_44
.LBB103_46:
	v_mul_f32_e64 v3, v2, -v11
	v_mul_f32_e32 v4, v2, v10
	v_cmp_eq_f32_e32 vcc_lo, 0, v8
	v_cmp_eq_f32_e64 s0, 0, v9
	s_delay_alu instid0(VALU_DEP_4) | instskip(NEXT) | instid1(VALU_DEP_4)
	v_fmac_f32_e32 v3, v10, v1
	v_fmac_f32_e32 v4, v11, v1
	s_delay_alu instid0(VALU_DEP_3) | instskip(NEXT) | instid1(SALU_CYCLE_1)
	s_and_b32 s0, vcc_lo, s0
	s_and_saveexec_b32 s1, s0
	s_delay_alu instid0(SALU_CYCLE_1)
	s_xor_b32 s0, exec_lo, s1
	s_cbranch_execz .LBB103_48
; %bb.47:
	v_mad_u64_u32 v[1:2], null, s8, 24, v[0:1]
	v_mov_b32_e32 v2, 0
                                        ; implicit-def: $vgpr8
                                        ; implicit-def: $vgpr9
	s_delay_alu instid0(VALU_DEP_1) | instskip(NEXT) | instid1(VALU_DEP_1)
	v_lshlrev_b64 v[0:1], 3, v[1:2]
	v_add_co_u32 v0, vcc_lo, s10, v0
	s_delay_alu instid0(VALU_DEP_2)
	v_add_co_ci_u32_e32 v1, vcc_lo, s11, v1, vcc_lo
	global_store_b64 v[0:1], v[3:4], off
                                        ; implicit-def: $vgpr0
                                        ; implicit-def: $vgpr3
.LBB103_48:
	s_and_not1_saveexec_b32 s0, s0
	s_cbranch_execz .LBB103_44
; %bb.49:
	v_mad_u64_u32 v[1:2], null, s8, 24, v[0:1]
	v_mov_b32_e32 v2, 0
	s_delay_alu instid0(VALU_DEP_1) | instskip(NEXT) | instid1(VALU_DEP_1)
	v_lshlrev_b64 v[0:1], 3, v[1:2]
	v_add_co_u32 v0, vcc_lo, s10, v0
	s_delay_alu instid0(VALU_DEP_2) | instskip(SKIP_4) | instid1(VALU_DEP_2)
	v_add_co_ci_u32_e32 v1, vcc_lo, s11, v1, vcc_lo
	global_load_b64 v[5:6], v[0:1], off
	s_waitcnt vmcnt(0)
	v_fmac_f32_e32 v3, v8, v5
	v_fmac_f32_e32 v4, v9, v5
	v_fma_f32 v3, -v9, v6, v3
	s_delay_alu instid0(VALU_DEP_2)
	v_fmac_f32_e32 v4, v8, v6
	global_store_b64 v[0:1], v[3:4], off
	s_nop 0
	s_sendmsg sendmsg(MSG_DEALLOC_VGPRS)
	s_endpgm
	.section	.rodata,"a",@progbits
	.p2align	6, 0x0
	.amdhsa_kernel _ZN9rocsparseL20bsrxmvn_17_32_kernelILj24E21rocsparse_complex_numIfEliS2_S2_S2_EEvT2_20rocsparse_direction_NS_24const_host_device_scalarIT0_EES3_PKS3_PKT1_SC_S9_PKT3_PKT4_S7_PT5_21rocsparse_index_base_b
		.amdhsa_group_segment_fixed_size 4608
		.amdhsa_private_segment_fixed_size 0
		.amdhsa_kernarg_size 96
		.amdhsa_user_sgpr_count 15
		.amdhsa_user_sgpr_dispatch_ptr 0
		.amdhsa_user_sgpr_queue_ptr 0
		.amdhsa_user_sgpr_kernarg_segment_ptr 1
		.amdhsa_user_sgpr_dispatch_id 0
		.amdhsa_user_sgpr_private_segment_size 0
		.amdhsa_wavefront_size32 1
		.amdhsa_uses_dynamic_stack 0
		.amdhsa_enable_private_segment 0
		.amdhsa_system_sgpr_workgroup_id_x 1
		.amdhsa_system_sgpr_workgroup_id_y 0
		.amdhsa_system_sgpr_workgroup_id_z 0
		.amdhsa_system_sgpr_workgroup_info 0
		.amdhsa_system_vgpr_workitem_id 0
		.amdhsa_next_free_vgpr 19
		.amdhsa_next_free_sgpr 20
		.amdhsa_reserve_vcc 1
		.amdhsa_float_round_mode_32 0
		.amdhsa_float_round_mode_16_64 0
		.amdhsa_float_denorm_mode_32 3
		.amdhsa_float_denorm_mode_16_64 3
		.amdhsa_dx10_clamp 1
		.amdhsa_ieee_mode 1
		.amdhsa_fp16_overflow 0
		.amdhsa_workgroup_processor_mode 1
		.amdhsa_memory_ordered 1
		.amdhsa_forward_progress 0
		.amdhsa_shared_vgpr_count 0
		.amdhsa_exception_fp_ieee_invalid_op 0
		.amdhsa_exception_fp_denorm_src 0
		.amdhsa_exception_fp_ieee_div_zero 0
		.amdhsa_exception_fp_ieee_overflow 0
		.amdhsa_exception_fp_ieee_underflow 0
		.amdhsa_exception_fp_ieee_inexact 0
		.amdhsa_exception_int_div_zero 0
	.end_amdhsa_kernel
	.section	.text._ZN9rocsparseL20bsrxmvn_17_32_kernelILj24E21rocsparse_complex_numIfEliS2_S2_S2_EEvT2_20rocsparse_direction_NS_24const_host_device_scalarIT0_EES3_PKS3_PKT1_SC_S9_PKT3_PKT4_S7_PT5_21rocsparse_index_base_b,"axG",@progbits,_ZN9rocsparseL20bsrxmvn_17_32_kernelILj24E21rocsparse_complex_numIfEliS2_S2_S2_EEvT2_20rocsparse_direction_NS_24const_host_device_scalarIT0_EES3_PKS3_PKT1_SC_S9_PKT3_PKT4_S7_PT5_21rocsparse_index_base_b,comdat
.Lfunc_end103:
	.size	_ZN9rocsparseL20bsrxmvn_17_32_kernelILj24E21rocsparse_complex_numIfEliS2_S2_S2_EEvT2_20rocsparse_direction_NS_24const_host_device_scalarIT0_EES3_PKS3_PKT1_SC_S9_PKT3_PKT4_S7_PT5_21rocsparse_index_base_b, .Lfunc_end103-_ZN9rocsparseL20bsrxmvn_17_32_kernelILj24E21rocsparse_complex_numIfEliS2_S2_S2_EEvT2_20rocsparse_direction_NS_24const_host_device_scalarIT0_EES3_PKS3_PKT1_SC_S9_PKT3_PKT4_S7_PT5_21rocsparse_index_base_b
                                        ; -- End function
	.section	.AMDGPU.csdata,"",@progbits
; Kernel info:
; codeLenInByte = 1892
; NumSgprs: 22
; NumVgprs: 19
; ScratchSize: 0
; MemoryBound: 0
; FloatMode: 240
; IeeeMode: 1
; LDSByteSize: 4608 bytes/workgroup (compile time only)
; SGPRBlocks: 2
; VGPRBlocks: 2
; NumSGPRsForWavesPerEU: 22
; NumVGPRsForWavesPerEU: 19
; Occupancy: 14
; WaveLimiterHint : 1
; COMPUTE_PGM_RSRC2:SCRATCH_EN: 0
; COMPUTE_PGM_RSRC2:USER_SGPR: 15
; COMPUTE_PGM_RSRC2:TRAP_HANDLER: 0
; COMPUTE_PGM_RSRC2:TGID_X_EN: 1
; COMPUTE_PGM_RSRC2:TGID_Y_EN: 0
; COMPUTE_PGM_RSRC2:TGID_Z_EN: 0
; COMPUTE_PGM_RSRC2:TIDIG_COMP_CNT: 0
	.section	.text._ZN9rocsparseL20bsrxmvn_17_32_kernelILj25E21rocsparse_complex_numIfEliS2_S2_S2_EEvT2_20rocsparse_direction_NS_24const_host_device_scalarIT0_EES3_PKS3_PKT1_SC_S9_PKT3_PKT4_S7_PT5_21rocsparse_index_base_b,"axG",@progbits,_ZN9rocsparseL20bsrxmvn_17_32_kernelILj25E21rocsparse_complex_numIfEliS2_S2_S2_EEvT2_20rocsparse_direction_NS_24const_host_device_scalarIT0_EES3_PKS3_PKT1_SC_S9_PKT3_PKT4_S7_PT5_21rocsparse_index_base_b,comdat
	.globl	_ZN9rocsparseL20bsrxmvn_17_32_kernelILj25E21rocsparse_complex_numIfEliS2_S2_S2_EEvT2_20rocsparse_direction_NS_24const_host_device_scalarIT0_EES3_PKS3_PKT1_SC_S9_PKT3_PKT4_S7_PT5_21rocsparse_index_base_b ; -- Begin function _ZN9rocsparseL20bsrxmvn_17_32_kernelILj25E21rocsparse_complex_numIfEliS2_S2_S2_EEvT2_20rocsparse_direction_NS_24const_host_device_scalarIT0_EES3_PKS3_PKT1_SC_S9_PKT3_PKT4_S7_PT5_21rocsparse_index_base_b
	.p2align	8
	.type	_ZN9rocsparseL20bsrxmvn_17_32_kernelILj25E21rocsparse_complex_numIfEliS2_S2_S2_EEvT2_20rocsparse_direction_NS_24const_host_device_scalarIT0_EES3_PKS3_PKT1_SC_S9_PKT3_PKT4_S7_PT5_21rocsparse_index_base_b,@function
_ZN9rocsparseL20bsrxmvn_17_32_kernelILj25E21rocsparse_complex_numIfEliS2_S2_S2_EEvT2_20rocsparse_direction_NS_24const_host_device_scalarIT0_EES3_PKS3_PKT1_SC_S9_PKT3_PKT4_S7_PT5_21rocsparse_index_base_b: ; @_ZN9rocsparseL20bsrxmvn_17_32_kernelILj25E21rocsparse_complex_numIfEliS2_S2_S2_EEvT2_20rocsparse_direction_NS_24const_host_device_scalarIT0_EES3_PKS3_PKT1_SC_S9_PKT3_PKT4_S7_PT5_21rocsparse_index_base_b
; %bb.0:
	s_clause 0x2
	s_load_b64 s[12:13], s[0:1], 0x58
	s_load_b64 s[4:5], s[0:1], 0x8
	;; [unrolled: 1-line block ×3, first 2 shown]
	s_mov_b32 s8, s15
	s_waitcnt lgkmcnt(0)
	s_bitcmp1_b32 s13, 0
	v_mov_b32_e32 v10, s4
	s_cselect_b32 s6, -1, 0
	s_delay_alu instid0(SALU_CYCLE_1)
	s_and_b32 vcc_lo, exec_lo, s6
	s_xor_b32 s6, s6, -1
	s_cbranch_vccz .LBB104_15
; %bb.1:
	v_cndmask_b32_e64 v1, 0, 1, s6
	v_mov_b32_e32 v11, s5
	s_and_not1_b32 vcc_lo, exec_lo, s6
	s_cbranch_vccz .LBB104_16
.LBB104_2:
	s_delay_alu instid0(VALU_DEP_2)
	v_cmp_ne_u32_e32 vcc_lo, 1, v1
	v_mov_b32_e32 v8, s2
	s_cbranch_vccz .LBB104_17
.LBB104_3:
	v_cmp_ne_u32_e32 vcc_lo, 1, v1
	v_mov_b32_e32 v9, s3
	s_cbranch_vccnz .LBB104_5
.LBB104_4:
	v_dual_mov_b32 v1, s2 :: v_dual_mov_b32 v2, s3
	flat_load_b32 v9, v[1:2] offset:4
.LBB104_5:
	s_waitcnt vmcnt(0) lgkmcnt(0)
	v_cmp_eq_f32_e32 vcc_lo, 0, v10
	v_cmp_eq_f32_e64 s2, 0, v11
	s_delay_alu instid0(VALU_DEP_1)
	s_and_b32 s4, vcc_lo, s2
	s_mov_b32 s2, -1
	s_and_saveexec_b32 s3, s4
; %bb.6:
	v_cmp_neq_f32_e32 vcc_lo, 1.0, v8
	v_cmp_neq_f32_e64 s2, 0, v9
	s_delay_alu instid0(VALU_DEP_1) | instskip(NEXT) | instid1(SALU_CYCLE_1)
	s_or_b32 s2, vcc_lo, s2
	s_or_not1_b32 s2, s2, exec_lo
; %bb.7:
	s_or_b32 exec_lo, exec_lo, s3
	s_and_saveexec_b32 s3, s2
	s_cbranch_execz .LBB104_44
; %bb.8:
	s_clause 0x1
	s_load_b128 s[4:7], s[0:1], 0x18
	s_load_b64 s[10:11], s[0:1], 0x28
	s_waitcnt lgkmcnt(0)
	s_cmp_eq_u64 s[4:5], 0
	s_cbranch_scc1 .LBB104_10
; %bb.9:
	s_ashr_i32 s9, s8, 31
	s_delay_alu instid0(SALU_CYCLE_1) | instskip(NEXT) | instid1(SALU_CYCLE_1)
	s_lshl_b64 s[2:3], s[8:9], 2
	s_add_u32 s2, s4, s2
	s_addc_u32 s3, s5, s3
	s_load_b32 s2, s[2:3], 0x0
	s_waitcnt lgkmcnt(0)
	s_sub_i32 s8, s2, s12
.LBB104_10:
	s_load_b32 s3, s[0:1], 0x4
	v_mul_u32_u24_e32 v1, 0xa3e, v0
	v_mov_b32_e32 v2, 0
	v_lshlrev_b32_e32 v12, 3, v0
	s_delay_alu instid0(VALU_DEP_3) | instskip(NEXT) | instid1(VALU_DEP_1)
	v_lshrrev_b32_e32 v3, 16, v1
	v_mul_lo_u16 v1, v3, 25
	s_delay_alu instid0(VALU_DEP_1)
	v_sub_nc_u16 v13, v0, v1
	v_mov_b32_e32 v1, 0
	s_waitcnt lgkmcnt(0)
	s_cmp_eq_u32 s3, 1
	s_cselect_b32 s2, -1, 0
	s_cmp_lg_u32 s3, 1
	s_cselect_b32 s3, -1, 0
	s_ashr_i32 s9, s8, 31
	s_delay_alu instid0(SALU_CYCLE_1) | instskip(NEXT) | instid1(SALU_CYCLE_1)
	s_lshl_b64 s[4:5], s[8:9], 3
	s_add_u32 s6, s6, s4
	s_addc_u32 s7, s7, s5
	s_add_u32 s9, s6, 8
	s_addc_u32 s13, s7, 0
	;; [unrolled: 2-line block ×3, first 2 shown]
	s_cmp_eq_u64 s[10:11], 0
	s_load_b64 s[10:11], s[0:1], 0x50
	s_cselect_b32 s5, s13, s5
	s_cselect_b32 s4, s9, s4
	s_load_b64 s[18:19], s[6:7], 0x0
	s_load_b64 s[14:15], s[4:5], 0x0
	s_waitcnt lgkmcnt(0)
	v_cmp_ge_i64_e64 s4, s[18:19], s[14:15]
	s_delay_alu instid0(VALU_DEP_1)
	s_and_b32 vcc_lo, exec_lo, s4
	s_cbranch_vccnz .LBB104_18
; %bb.11:
	v_and_b32_e32 v1, 0xffff, v3
	v_cmp_lt_u32_e32 vcc_lo, 0x270, v0
	v_and_b32_e32 v2, 0xffff, v13
	s_clause 0x1
	s_load_b128 s[4:7], s[0:1], 0x30
	s_load_b64 s[0:1], s[0:1], 0x40
	s_sub_u32 s14, s14, s12
	v_subrev_nc_u32_e32 v3, 25, v1
	v_cndmask_b32_e64 v14, 0, 1, vcc_lo
	v_cmp_gt_u32_e32 vcc_lo, 0x271, v0
	s_subb_u32 s15, s15, 0
	s_sub_u32 s16, s18, s12
	v_lshlrev_b32_e32 v4, 3, v0
	s_subb_u32 s17, s19, 0
	v_cndmask_b32_e32 v1, v3, v1, vcc_lo
	s_mul_hi_u32 s9, s16, 0x1388
	s_mul_i32 s13, s17, 0x1388
	s_delay_alu instid0(SALU_CYCLE_1) | instskip(NEXT) | instid1(VALU_DEP_1)
	s_add_i32 s9, s9, s13
	v_cndmask_b32_e64 v3, v2, v1, s2
	v_add_co_u32 v1, s2, s18, v14
	s_delay_alu instid0(VALU_DEP_1) | instskip(SKIP_1) | instid1(VALU_DEP_2)
	v_add_co_ci_u32_e64 v2, null, s19, 0, s2
	s_mul_i32 s2, s16, 0x1388
	v_sub_co_u32 v1, vcc_lo, v1, s12
	s_delay_alu instid0(VALU_DEP_2)
	v_subrev_co_ci_u32_e32 v2, vcc_lo, 0, v2, vcc_lo
	s_waitcnt lgkmcnt(0)
	s_add_u32 s2, s6, s2
	s_addc_u32 s6, s7, s9
	v_add_co_u32 v4, s2, s2, v4
	v_lshlrev_b64 v[6:7], 2, v[1:2]
	v_mov_b32_e32 v2, 0
	v_add_co_ci_u32_e64 v5, null, s6, 0, s2
	s_delay_alu instid0(VALU_DEP_3) | instskip(NEXT) | instid1(VALU_DEP_4)
	v_add_co_u32 v6, vcc_lo, s4, v6
	v_add_co_ci_u32_e32 v7, vcc_lo, s5, v7, vcc_lo
	s_delay_alu instid0(VALU_DEP_4)
	v_mov_b32_e32 v1, v2
	s_set_inst_prefetch_distance 0x1
	s_branch .LBB104_13
	.p2align	6
.LBB104_12:                             ;   in Loop: Header=BB104_13 Depth=1
	s_or_b32 exec_lo, exec_lo, s2
	s_add_u32 s16, s16, 1
	s_addc_u32 s17, s17, 0
	v_add_co_u32 v6, vcc_lo, v6, 4
	v_cmp_lt_i64_e64 s2, s[16:17], s[14:15]
	v_add_co_ci_u32_e32 v7, vcc_lo, 0, v7, vcc_lo
	s_delay_alu instid0(VALU_DEP_2)
	s_and_b32 vcc_lo, exec_lo, s2
	s_cbranch_vccz .LBB104_18
.LBB104_13:                             ; =>This Inner Loop Header: Depth=1
	v_add_co_u32 v15, s2, v14, s16
	s_delay_alu instid0(VALU_DEP_1) | instskip(SKIP_1) | instid1(VALU_DEP_1)
	v_add_co_ci_u32_e64 v16, null, 0, s17, s2
	s_mov_b32 s2, exec_lo
	v_cmpx_gt_i64_e64 s[14:15], v[15:16]
	s_cbranch_execz .LBB104_12
; %bb.14:                               ;   in Loop: Header=BB104_13 Depth=1
	global_load_b32 v15, v[6:7], off
	s_waitcnt vmcnt(0)
	v_subrev_nc_u32_e32 v17, s12, v15
	s_delay_alu instid0(VALU_DEP_1) | instskip(NEXT) | instid1(VALU_DEP_1)
	v_mad_u64_u32 v[15:16], null, v17, 25, v[3:4]
	v_ashrrev_i32_e32 v16, 31, v15
	s_delay_alu instid0(VALU_DEP_1) | instskip(NEXT) | instid1(VALU_DEP_1)
	v_lshlrev_b64 v[15:16], 3, v[15:16]
	v_add_co_u32 v15, vcc_lo, s0, v15
	s_delay_alu instid0(VALU_DEP_2)
	v_add_co_ci_u32_e32 v16, vcc_lo, s1, v16, vcc_lo
	global_load_b64 v[17:18], v[4:5], off
	global_load_b64 v[15:16], v[15:16], off
	v_add_co_u32 v4, vcc_lo, 0x1388, v4
	v_add_co_ci_u32_e32 v5, vcc_lo, 0, v5, vcc_lo
	s_waitcnt vmcnt(0)
	v_fmac_f32_e32 v1, v17, v15
	v_fmac_f32_e32 v2, v18, v15
	s_delay_alu instid0(VALU_DEP_2) | instskip(NEXT) | instid1(VALU_DEP_2)
	v_fma_f32 v1, -v18, v16, v1
	v_fmac_f32_e32 v2, v17, v16
	s_branch .LBB104_12
.LBB104_15:
	v_dual_mov_b32 v1, s4 :: v_dual_mov_b32 v2, s5
	flat_load_b32 v10, v[1:2]
	v_cndmask_b32_e64 v1, 0, 1, s6
	v_mov_b32_e32 v11, s5
	s_and_not1_b32 vcc_lo, exec_lo, s6
	s_cbranch_vccnz .LBB104_2
.LBB104_16:
	v_dual_mov_b32 v2, s4 :: v_dual_mov_b32 v3, s5
	flat_load_b32 v11, v[2:3] offset:4
	v_cmp_ne_u32_e32 vcc_lo, 1, v1
	v_mov_b32_e32 v8, s2
	s_cbranch_vccnz .LBB104_3
.LBB104_17:
	v_dual_mov_b32 v2, s2 :: v_dual_mov_b32 v3, s3
	flat_load_b32 v8, v[2:3]
	v_cmp_ne_u32_e32 vcc_lo, 1, v1
	v_mov_b32_e32 v9, s3
	s_cbranch_vccz .LBB104_4
	s_branch .LBB104_5
.LBB104_18:
	s_set_inst_prefetch_distance 0x2
	s_and_b32 vcc_lo, exec_lo, s3
	ds_store_b64 v12, v[1:2]
	s_waitcnt lgkmcnt(0)
	s_barrier
	buffer_gl0_inv
	s_cbranch_vccz .LBB104_30
; %bb.19:
	s_mov_b32 s0, exec_lo
	v_cmpx_gt_u16_e32 9, v13
	s_cbranch_execz .LBB104_21
; %bb.20:
	ds_load_2addr_b64 v[3:6], v12 offset1:16
	s_waitcnt lgkmcnt(0)
	v_dual_add_f32 v3, v5, v3 :: v_dual_add_f32 v4, v6, v4
	ds_store_b64 v12, v[3:4]
.LBB104_21:
	s_or_b32 exec_lo, exec_lo, s0
	s_delay_alu instid0(SALU_CYCLE_1)
	s_mov_b32 s0, exec_lo
	s_waitcnt lgkmcnt(0)
	s_barrier
	buffer_gl0_inv
	v_cmpx_gt_u16_e32 8, v13
	s_cbranch_execz .LBB104_23
; %bb.22:
	ds_load_2addr_b64 v[3:6], v12 offset1:8
	s_waitcnt lgkmcnt(0)
	v_dual_add_f32 v3, v5, v3 :: v_dual_add_f32 v4, v6, v4
	ds_store_b64 v12, v[3:4]
.LBB104_23:
	s_or_b32 exec_lo, exec_lo, s0
	s_delay_alu instid0(SALU_CYCLE_1)
	s_mov_b32 s0, exec_lo
	s_waitcnt lgkmcnt(0)
	s_barrier
	buffer_gl0_inv
	;; [unrolled: 14-line block ×3, first 2 shown]
	v_cmpx_gt_u16_e32 2, v13
	s_cbranch_execz .LBB104_27
; %bb.26:
	ds_load_2addr_b64 v[3:6], v12 offset1:2
	s_waitcnt lgkmcnt(0)
	v_dual_add_f32 v3, v5, v3 :: v_dual_add_f32 v4, v6, v4
	ds_store_b64 v12, v[3:4]
.LBB104_27:
	s_or_b32 exec_lo, exec_lo, s0
	s_mov_b32 s1, 0
	s_mov_b32 s0, 0
	s_mov_b32 s2, exec_lo
	s_waitcnt lgkmcnt(0)
	s_barrier
	buffer_gl0_inv
                                        ; implicit-def: $vgpr4
                                        ; implicit-def: $vgpr3
	v_cmpx_gt_u32_e32 25, v0
	s_xor_b32 s2, exec_lo, s2
; %bb.28:
	v_mul_u32_u24_e32 v4, 25, v0
	v_mad_u32_u24 v3, v0, 25, 1
	s_mov_b32 s0, exec_lo
	s_delay_alu instid0(VALU_DEP_2)
	v_lshlrev_b32_e32 v4, 3, v4
; %bb.29:
	s_or_b32 exec_lo, exec_lo, s2
	s_delay_alu instid0(SALU_CYCLE_1)
	s_and_b32 vcc_lo, exec_lo, s1
	s_cbranch_vccnz .LBB104_31
	s_branch .LBB104_42
.LBB104_30:
	s_mov_b32 s0, 0
                                        ; implicit-def: $vgpr4
                                        ; implicit-def: $vgpr3
	s_cbranch_execz .LBB104_42
.LBB104_31:
	s_mov_b32 s1, exec_lo
	v_cmpx_gt_u32_e32 0xe1, v0
	s_cbranch_execz .LBB104_33
; %bb.32:
	ds_load_b64 v[3:4], v12 offset:3200
	ds_load_b64 v[5:6], v12
	s_waitcnt lgkmcnt(0)
	v_dual_add_f32 v3, v3, v5 :: v_dual_add_f32 v4, v4, v6
	ds_store_b64 v12, v[3:4]
.LBB104_33:
	s_or_b32 exec_lo, exec_lo, s1
	s_delay_alu instid0(SALU_CYCLE_1)
	s_mov_b32 s1, exec_lo
	s_waitcnt lgkmcnt(0)
	s_barrier
	buffer_gl0_inv
	v_cmpx_gt_u32_e32 0xc8, v0
	s_cbranch_execz .LBB104_35
; %bb.34:
	ds_load_2addr_b64 v[3:6], v12 offset1:200
	s_waitcnt lgkmcnt(0)
	v_dual_add_f32 v3, v5, v3 :: v_dual_add_f32 v4, v6, v4
	ds_store_b64 v12, v[3:4]
.LBB104_35:
	s_or_b32 exec_lo, exec_lo, s1
	s_delay_alu instid0(SALU_CYCLE_1)
	s_mov_b32 s1, exec_lo
	s_waitcnt lgkmcnt(0)
	s_barrier
	buffer_gl0_inv
	v_cmpx_gt_u32_e32 0x64, v0
	s_cbranch_execz .LBB104_37
; %bb.36:
	ds_load_2addr_b64 v[3:6], v12 offset1:100
	s_waitcnt lgkmcnt(0)
	v_dual_add_f32 v3, v5, v3 :: v_dual_add_f32 v4, v6, v4
	ds_store_b64 v12, v[3:4]
.LBB104_37:
	;; [unrolled: 14-line block ×3, first 2 shown]
	s_or_b32 exec_lo, exec_lo, s1
	s_delay_alu instid0(SALU_CYCLE_1)
	s_mov_b32 s1, exec_lo
	s_waitcnt lgkmcnt(0)
	buffer_gl0_inv
                                        ; implicit-def: $vgpr3
	v_cmpx_gt_u32_e32 25, v0
; %bb.40:
	v_add_nc_u32_e32 v3, 25, v0
                                        ; kill: def $vgpr1 killed $sgpr0 killed $exec
	s_or_b32 s0, s0, exec_lo
                                        ; implicit-def: $vgpr2
; %bb.41:
	s_or_b32 exec_lo, exec_lo, s1
	v_mov_b32_e32 v4, v12
.LBB104_42:
	s_and_saveexec_b32 s1, s0
	s_cbranch_execnz .LBB104_45
; %bb.43:
	s_or_b32 exec_lo, exec_lo, s1
	v_cmp_gt_u32_e32 vcc_lo, 25, v0
	s_and_b32 exec_lo, exec_lo, vcc_lo
	s_cbranch_execnz .LBB104_46
.LBB104_44:
	s_nop 0
	s_sendmsg sendmsg(MSG_DEALLOC_VGPRS)
	s_endpgm
.LBB104_45:
	v_lshlrev_b32_e32 v3, 3, v3
	ds_load_2addr_b32 v[1:2], v4 offset1:1
	ds_load_b64 v[3:4], v3
	s_waitcnt lgkmcnt(0)
	v_dual_add_f32 v2, v4, v2 :: v_dual_add_f32 v1, v3, v1
	s_or_b32 exec_lo, exec_lo, s1
	v_cmp_gt_u32_e32 vcc_lo, 25, v0
	s_and_b32 exec_lo, exec_lo, vcc_lo
	s_cbranch_execz .LBB104_44
.LBB104_46:
	v_mul_f32_e64 v3, v2, -v11
	v_mul_f32_e32 v4, v2, v10
	v_cmp_eq_f32_e32 vcc_lo, 0, v8
	v_cmp_eq_f32_e64 s0, 0, v9
	s_delay_alu instid0(VALU_DEP_4) | instskip(NEXT) | instid1(VALU_DEP_4)
	v_fmac_f32_e32 v3, v10, v1
	v_fmac_f32_e32 v4, v11, v1
	s_delay_alu instid0(VALU_DEP_3) | instskip(NEXT) | instid1(SALU_CYCLE_1)
	s_and_b32 s0, vcc_lo, s0
	s_and_saveexec_b32 s1, s0
	s_delay_alu instid0(SALU_CYCLE_1)
	s_xor_b32 s0, exec_lo, s1
	s_cbranch_execz .LBB104_48
; %bb.47:
	v_mad_u64_u32 v[1:2], null, s8, 25, v[0:1]
	v_mov_b32_e32 v2, 0
                                        ; implicit-def: $vgpr8
                                        ; implicit-def: $vgpr9
	s_delay_alu instid0(VALU_DEP_1) | instskip(NEXT) | instid1(VALU_DEP_1)
	v_lshlrev_b64 v[0:1], 3, v[1:2]
	v_add_co_u32 v0, vcc_lo, s10, v0
	s_delay_alu instid0(VALU_DEP_2)
	v_add_co_ci_u32_e32 v1, vcc_lo, s11, v1, vcc_lo
	global_store_b64 v[0:1], v[3:4], off
                                        ; implicit-def: $vgpr0
                                        ; implicit-def: $vgpr3
.LBB104_48:
	s_and_not1_saveexec_b32 s0, s0
	s_cbranch_execz .LBB104_44
; %bb.49:
	v_mad_u64_u32 v[1:2], null, s8, 25, v[0:1]
	v_mov_b32_e32 v2, 0
	s_delay_alu instid0(VALU_DEP_1) | instskip(NEXT) | instid1(VALU_DEP_1)
	v_lshlrev_b64 v[0:1], 3, v[1:2]
	v_add_co_u32 v0, vcc_lo, s10, v0
	s_delay_alu instid0(VALU_DEP_2) | instskip(SKIP_4) | instid1(VALU_DEP_2)
	v_add_co_ci_u32_e32 v1, vcc_lo, s11, v1, vcc_lo
	global_load_b64 v[5:6], v[0:1], off
	s_waitcnt vmcnt(0)
	v_fmac_f32_e32 v3, v8, v5
	v_fmac_f32_e32 v4, v9, v5
	v_fma_f32 v3, -v9, v6, v3
	s_delay_alu instid0(VALU_DEP_2)
	v_fmac_f32_e32 v4, v8, v6
	global_store_b64 v[0:1], v[3:4], off
	s_nop 0
	s_sendmsg sendmsg(MSG_DEALLOC_VGPRS)
	s_endpgm
	.section	.rodata,"a",@progbits
	.p2align	6, 0x0
	.amdhsa_kernel _ZN9rocsparseL20bsrxmvn_17_32_kernelILj25E21rocsparse_complex_numIfEliS2_S2_S2_EEvT2_20rocsparse_direction_NS_24const_host_device_scalarIT0_EES3_PKS3_PKT1_SC_S9_PKT3_PKT4_S7_PT5_21rocsparse_index_base_b
		.amdhsa_group_segment_fixed_size 5000
		.amdhsa_private_segment_fixed_size 0
		.amdhsa_kernarg_size 96
		.amdhsa_user_sgpr_count 15
		.amdhsa_user_sgpr_dispatch_ptr 0
		.amdhsa_user_sgpr_queue_ptr 0
		.amdhsa_user_sgpr_kernarg_segment_ptr 1
		.amdhsa_user_sgpr_dispatch_id 0
		.amdhsa_user_sgpr_private_segment_size 0
		.amdhsa_wavefront_size32 1
		.amdhsa_uses_dynamic_stack 0
		.amdhsa_enable_private_segment 0
		.amdhsa_system_sgpr_workgroup_id_x 1
		.amdhsa_system_sgpr_workgroup_id_y 0
		.amdhsa_system_sgpr_workgroup_id_z 0
		.amdhsa_system_sgpr_workgroup_info 0
		.amdhsa_system_vgpr_workitem_id 0
		.amdhsa_next_free_vgpr 19
		.amdhsa_next_free_sgpr 20
		.amdhsa_reserve_vcc 1
		.amdhsa_float_round_mode_32 0
		.amdhsa_float_round_mode_16_64 0
		.amdhsa_float_denorm_mode_32 3
		.amdhsa_float_denorm_mode_16_64 3
		.amdhsa_dx10_clamp 1
		.amdhsa_ieee_mode 1
		.amdhsa_fp16_overflow 0
		.amdhsa_workgroup_processor_mode 1
		.amdhsa_memory_ordered 1
		.amdhsa_forward_progress 0
		.amdhsa_shared_vgpr_count 0
		.amdhsa_exception_fp_ieee_invalid_op 0
		.amdhsa_exception_fp_denorm_src 0
		.amdhsa_exception_fp_ieee_div_zero 0
		.amdhsa_exception_fp_ieee_overflow 0
		.amdhsa_exception_fp_ieee_underflow 0
		.amdhsa_exception_fp_ieee_inexact 0
		.amdhsa_exception_int_div_zero 0
	.end_amdhsa_kernel
	.section	.text._ZN9rocsparseL20bsrxmvn_17_32_kernelILj25E21rocsparse_complex_numIfEliS2_S2_S2_EEvT2_20rocsparse_direction_NS_24const_host_device_scalarIT0_EES3_PKS3_PKT1_SC_S9_PKT3_PKT4_S7_PT5_21rocsparse_index_base_b,"axG",@progbits,_ZN9rocsparseL20bsrxmvn_17_32_kernelILj25E21rocsparse_complex_numIfEliS2_S2_S2_EEvT2_20rocsparse_direction_NS_24const_host_device_scalarIT0_EES3_PKS3_PKT1_SC_S9_PKT3_PKT4_S7_PT5_21rocsparse_index_base_b,comdat
.Lfunc_end104:
	.size	_ZN9rocsparseL20bsrxmvn_17_32_kernelILj25E21rocsparse_complex_numIfEliS2_S2_S2_EEvT2_20rocsparse_direction_NS_24const_host_device_scalarIT0_EES3_PKS3_PKT1_SC_S9_PKT3_PKT4_S7_PT5_21rocsparse_index_base_b, .Lfunc_end104-_ZN9rocsparseL20bsrxmvn_17_32_kernelILj25E21rocsparse_complex_numIfEliS2_S2_S2_EEvT2_20rocsparse_direction_NS_24const_host_device_scalarIT0_EES3_PKS3_PKT1_SC_S9_PKT3_PKT4_S7_PT5_21rocsparse_index_base_b
                                        ; -- End function
	.section	.AMDGPU.csdata,"",@progbits
; Kernel info:
; codeLenInByte = 1924
; NumSgprs: 22
; NumVgprs: 19
; ScratchSize: 0
; MemoryBound: 0
; FloatMode: 240
; IeeeMode: 1
; LDSByteSize: 5000 bytes/workgroup (compile time only)
; SGPRBlocks: 2
; VGPRBlocks: 2
; NumSGPRsForWavesPerEU: 22
; NumVGPRsForWavesPerEU: 19
; Occupancy: 15
; WaveLimiterHint : 1
; COMPUTE_PGM_RSRC2:SCRATCH_EN: 0
; COMPUTE_PGM_RSRC2:USER_SGPR: 15
; COMPUTE_PGM_RSRC2:TRAP_HANDLER: 0
; COMPUTE_PGM_RSRC2:TGID_X_EN: 1
; COMPUTE_PGM_RSRC2:TGID_Y_EN: 0
; COMPUTE_PGM_RSRC2:TGID_Z_EN: 0
; COMPUTE_PGM_RSRC2:TIDIG_COMP_CNT: 0
	.section	.text._ZN9rocsparseL20bsrxmvn_17_32_kernelILj26E21rocsparse_complex_numIfEliS2_S2_S2_EEvT2_20rocsparse_direction_NS_24const_host_device_scalarIT0_EES3_PKS3_PKT1_SC_S9_PKT3_PKT4_S7_PT5_21rocsparse_index_base_b,"axG",@progbits,_ZN9rocsparseL20bsrxmvn_17_32_kernelILj26E21rocsparse_complex_numIfEliS2_S2_S2_EEvT2_20rocsparse_direction_NS_24const_host_device_scalarIT0_EES3_PKS3_PKT1_SC_S9_PKT3_PKT4_S7_PT5_21rocsparse_index_base_b,comdat
	.globl	_ZN9rocsparseL20bsrxmvn_17_32_kernelILj26E21rocsparse_complex_numIfEliS2_S2_S2_EEvT2_20rocsparse_direction_NS_24const_host_device_scalarIT0_EES3_PKS3_PKT1_SC_S9_PKT3_PKT4_S7_PT5_21rocsparse_index_base_b ; -- Begin function _ZN9rocsparseL20bsrxmvn_17_32_kernelILj26E21rocsparse_complex_numIfEliS2_S2_S2_EEvT2_20rocsparse_direction_NS_24const_host_device_scalarIT0_EES3_PKS3_PKT1_SC_S9_PKT3_PKT4_S7_PT5_21rocsparse_index_base_b
	.p2align	8
	.type	_ZN9rocsparseL20bsrxmvn_17_32_kernelILj26E21rocsparse_complex_numIfEliS2_S2_S2_EEvT2_20rocsparse_direction_NS_24const_host_device_scalarIT0_EES3_PKS3_PKT1_SC_S9_PKT3_PKT4_S7_PT5_21rocsparse_index_base_b,@function
_ZN9rocsparseL20bsrxmvn_17_32_kernelILj26E21rocsparse_complex_numIfEliS2_S2_S2_EEvT2_20rocsparse_direction_NS_24const_host_device_scalarIT0_EES3_PKS3_PKT1_SC_S9_PKT3_PKT4_S7_PT5_21rocsparse_index_base_b: ; @_ZN9rocsparseL20bsrxmvn_17_32_kernelILj26E21rocsparse_complex_numIfEliS2_S2_S2_EEvT2_20rocsparse_direction_NS_24const_host_device_scalarIT0_EES3_PKS3_PKT1_SC_S9_PKT3_PKT4_S7_PT5_21rocsparse_index_base_b
; %bb.0:
	s_clause 0x2
	s_load_b64 s[12:13], s[0:1], 0x58
	s_load_b64 s[4:5], s[0:1], 0x8
	;; [unrolled: 1-line block ×3, first 2 shown]
	s_mov_b32 s8, s15
	s_waitcnt lgkmcnt(0)
	s_bitcmp1_b32 s13, 0
	v_mov_b32_e32 v10, s4
	s_cselect_b32 s6, -1, 0
	s_delay_alu instid0(SALU_CYCLE_1)
	s_and_b32 vcc_lo, exec_lo, s6
	s_xor_b32 s6, s6, -1
	s_cbranch_vccz .LBB105_15
; %bb.1:
	v_cndmask_b32_e64 v1, 0, 1, s6
	v_mov_b32_e32 v11, s5
	s_and_not1_b32 vcc_lo, exec_lo, s6
	s_cbranch_vccz .LBB105_16
.LBB105_2:
	s_delay_alu instid0(VALU_DEP_2)
	v_cmp_ne_u32_e32 vcc_lo, 1, v1
	v_mov_b32_e32 v8, s2
	s_cbranch_vccz .LBB105_17
.LBB105_3:
	v_cmp_ne_u32_e32 vcc_lo, 1, v1
	v_mov_b32_e32 v9, s3
	s_cbranch_vccnz .LBB105_5
.LBB105_4:
	v_dual_mov_b32 v1, s2 :: v_dual_mov_b32 v2, s3
	flat_load_b32 v9, v[1:2] offset:4
.LBB105_5:
	s_waitcnt vmcnt(0) lgkmcnt(0)
	v_cmp_eq_f32_e32 vcc_lo, 0, v10
	v_cmp_eq_f32_e64 s2, 0, v11
	s_delay_alu instid0(VALU_DEP_1)
	s_and_b32 s4, vcc_lo, s2
	s_mov_b32 s2, -1
	s_and_saveexec_b32 s3, s4
; %bb.6:
	v_cmp_neq_f32_e32 vcc_lo, 1.0, v8
	v_cmp_neq_f32_e64 s2, 0, v9
	s_delay_alu instid0(VALU_DEP_1) | instskip(NEXT) | instid1(SALU_CYCLE_1)
	s_or_b32 s2, vcc_lo, s2
	s_or_not1_b32 s2, s2, exec_lo
; %bb.7:
	s_or_b32 exec_lo, exec_lo, s3
	s_and_saveexec_b32 s3, s2
	s_cbranch_execz .LBB105_44
; %bb.8:
	s_clause 0x1
	s_load_b128 s[4:7], s[0:1], 0x18
	s_load_b64 s[10:11], s[0:1], 0x28
	s_waitcnt lgkmcnt(0)
	s_cmp_eq_u64 s[4:5], 0
	s_cbranch_scc1 .LBB105_10
; %bb.9:
	s_ashr_i32 s9, s8, 31
	s_delay_alu instid0(SALU_CYCLE_1) | instskip(NEXT) | instid1(SALU_CYCLE_1)
	s_lshl_b64 s[2:3], s[8:9], 2
	s_add_u32 s2, s4, s2
	s_addc_u32 s3, s5, s3
	s_load_b32 s2, s[2:3], 0x0
	s_waitcnt lgkmcnt(0)
	s_sub_i32 s8, s2, s12
.LBB105_10:
	s_load_b32 s3, s[0:1], 0x4
	v_mul_u32_u24_e32 v1, 0x9d9, v0
	v_mov_b32_e32 v2, 0
	v_lshlrev_b32_e32 v12, 3, v0
	s_delay_alu instid0(VALU_DEP_3) | instskip(NEXT) | instid1(VALU_DEP_1)
	v_lshrrev_b32_e32 v3, 16, v1
	v_mul_lo_u16 v1, v3, 26
	s_delay_alu instid0(VALU_DEP_1)
	v_sub_nc_u16 v13, v0, v1
	v_mov_b32_e32 v1, 0
	s_waitcnt lgkmcnt(0)
	s_cmp_eq_u32 s3, 1
	s_cselect_b32 s2, -1, 0
	s_cmp_lg_u32 s3, 1
	s_cselect_b32 s3, -1, 0
	s_ashr_i32 s9, s8, 31
	s_delay_alu instid0(SALU_CYCLE_1) | instskip(NEXT) | instid1(SALU_CYCLE_1)
	s_lshl_b64 s[4:5], s[8:9], 3
	s_add_u32 s6, s6, s4
	s_addc_u32 s7, s7, s5
	s_add_u32 s9, s6, 8
	s_addc_u32 s13, s7, 0
	;; [unrolled: 2-line block ×3, first 2 shown]
	s_cmp_eq_u64 s[10:11], 0
	s_load_b64 s[10:11], s[0:1], 0x50
	s_cselect_b32 s5, s13, s5
	s_cselect_b32 s4, s9, s4
	s_load_b64 s[18:19], s[6:7], 0x0
	s_load_b64 s[14:15], s[4:5], 0x0
	s_waitcnt lgkmcnt(0)
	v_cmp_ge_i64_e64 s4, s[18:19], s[14:15]
	s_delay_alu instid0(VALU_DEP_1)
	s_and_b32 vcc_lo, exec_lo, s4
	s_cbranch_vccnz .LBB105_18
; %bb.11:
	v_and_b32_e32 v1, 0xffff, v3
	v_cmp_lt_u32_e32 vcc_lo, 0x2a3, v0
	v_and_b32_e32 v2, 0xffff, v13
	s_clause 0x1
	s_load_b128 s[4:7], s[0:1], 0x30
	s_load_b64 s[0:1], s[0:1], 0x40
	s_sub_u32 s14, s14, s12
	v_subrev_nc_u32_e32 v3, 26, v1
	v_cndmask_b32_e64 v14, 0, 1, vcc_lo
	v_cmp_gt_u32_e32 vcc_lo, 0x2a4, v0
	s_subb_u32 s15, s15, 0
	s_sub_u32 s16, s18, s12
	v_lshlrev_b32_e32 v4, 3, v0
	s_subb_u32 s17, s19, 0
	v_cndmask_b32_e32 v1, v3, v1, vcc_lo
	s_mul_hi_u32 s9, s16, 0x1520
	s_mul_i32 s13, s17, 0x1520
	s_delay_alu instid0(SALU_CYCLE_1) | instskip(NEXT) | instid1(VALU_DEP_1)
	s_add_i32 s9, s9, s13
	v_cndmask_b32_e64 v3, v2, v1, s2
	v_add_co_u32 v1, s2, s18, v14
	s_delay_alu instid0(VALU_DEP_1) | instskip(SKIP_1) | instid1(VALU_DEP_2)
	v_add_co_ci_u32_e64 v2, null, s19, 0, s2
	s_mul_i32 s2, s16, 0x1520
	v_sub_co_u32 v1, vcc_lo, v1, s12
	s_delay_alu instid0(VALU_DEP_2)
	v_subrev_co_ci_u32_e32 v2, vcc_lo, 0, v2, vcc_lo
	s_waitcnt lgkmcnt(0)
	s_add_u32 s2, s6, s2
	s_addc_u32 s6, s7, s9
	v_add_co_u32 v4, s2, s2, v4
	v_lshlrev_b64 v[6:7], 2, v[1:2]
	v_mov_b32_e32 v2, 0
	v_add_co_ci_u32_e64 v5, null, s6, 0, s2
	s_delay_alu instid0(VALU_DEP_3) | instskip(NEXT) | instid1(VALU_DEP_4)
	v_add_co_u32 v6, vcc_lo, s4, v6
	v_add_co_ci_u32_e32 v7, vcc_lo, s5, v7, vcc_lo
	s_delay_alu instid0(VALU_DEP_4)
	v_mov_b32_e32 v1, v2
	s_set_inst_prefetch_distance 0x1
	s_branch .LBB105_13
	.p2align	6
.LBB105_12:                             ;   in Loop: Header=BB105_13 Depth=1
	s_or_b32 exec_lo, exec_lo, s2
	s_add_u32 s16, s16, 1
	s_addc_u32 s17, s17, 0
	v_add_co_u32 v6, vcc_lo, v6, 4
	v_cmp_lt_i64_e64 s2, s[16:17], s[14:15]
	v_add_co_ci_u32_e32 v7, vcc_lo, 0, v7, vcc_lo
	s_delay_alu instid0(VALU_DEP_2)
	s_and_b32 vcc_lo, exec_lo, s2
	s_cbranch_vccz .LBB105_18
.LBB105_13:                             ; =>This Inner Loop Header: Depth=1
	v_add_co_u32 v15, s2, v14, s16
	s_delay_alu instid0(VALU_DEP_1) | instskip(SKIP_1) | instid1(VALU_DEP_1)
	v_add_co_ci_u32_e64 v16, null, 0, s17, s2
	s_mov_b32 s2, exec_lo
	v_cmpx_gt_i64_e64 s[14:15], v[15:16]
	s_cbranch_execz .LBB105_12
; %bb.14:                               ;   in Loop: Header=BB105_13 Depth=1
	global_load_b32 v15, v[6:7], off
	s_waitcnt vmcnt(0)
	v_subrev_nc_u32_e32 v17, s12, v15
	s_delay_alu instid0(VALU_DEP_1) | instskip(NEXT) | instid1(VALU_DEP_1)
	v_mad_u64_u32 v[15:16], null, v17, 26, v[3:4]
	v_ashrrev_i32_e32 v16, 31, v15
	s_delay_alu instid0(VALU_DEP_1) | instskip(NEXT) | instid1(VALU_DEP_1)
	v_lshlrev_b64 v[15:16], 3, v[15:16]
	v_add_co_u32 v15, vcc_lo, s0, v15
	s_delay_alu instid0(VALU_DEP_2)
	v_add_co_ci_u32_e32 v16, vcc_lo, s1, v16, vcc_lo
	global_load_b64 v[17:18], v[4:5], off
	global_load_b64 v[15:16], v[15:16], off
	v_add_co_u32 v4, vcc_lo, 0x1520, v4
	v_add_co_ci_u32_e32 v5, vcc_lo, 0, v5, vcc_lo
	s_waitcnt vmcnt(0)
	v_fmac_f32_e32 v1, v17, v15
	v_fmac_f32_e32 v2, v18, v15
	s_delay_alu instid0(VALU_DEP_2) | instskip(NEXT) | instid1(VALU_DEP_2)
	v_fma_f32 v1, -v18, v16, v1
	v_fmac_f32_e32 v2, v17, v16
	s_branch .LBB105_12
.LBB105_15:
	v_dual_mov_b32 v1, s4 :: v_dual_mov_b32 v2, s5
	flat_load_b32 v10, v[1:2]
	v_cndmask_b32_e64 v1, 0, 1, s6
	v_mov_b32_e32 v11, s5
	s_and_not1_b32 vcc_lo, exec_lo, s6
	s_cbranch_vccnz .LBB105_2
.LBB105_16:
	v_dual_mov_b32 v2, s4 :: v_dual_mov_b32 v3, s5
	flat_load_b32 v11, v[2:3] offset:4
	v_cmp_ne_u32_e32 vcc_lo, 1, v1
	v_mov_b32_e32 v8, s2
	s_cbranch_vccnz .LBB105_3
.LBB105_17:
	v_dual_mov_b32 v2, s2 :: v_dual_mov_b32 v3, s3
	flat_load_b32 v8, v[2:3]
	v_cmp_ne_u32_e32 vcc_lo, 1, v1
	v_mov_b32_e32 v9, s3
	s_cbranch_vccz .LBB105_4
	s_branch .LBB105_5
.LBB105_18:
	s_set_inst_prefetch_distance 0x2
	s_and_b32 vcc_lo, exec_lo, s3
	ds_store_b64 v12, v[1:2]
	s_waitcnt lgkmcnt(0)
	s_barrier
	buffer_gl0_inv
	s_cbranch_vccz .LBB105_30
; %bb.19:
	s_mov_b32 s0, exec_lo
	v_cmpx_gt_u16_e32 10, v13
	s_cbranch_execz .LBB105_21
; %bb.20:
	ds_load_2addr_b64 v[3:6], v12 offset1:16
	s_waitcnt lgkmcnt(0)
	v_dual_add_f32 v3, v5, v3 :: v_dual_add_f32 v4, v6, v4
	ds_store_b64 v12, v[3:4]
.LBB105_21:
	s_or_b32 exec_lo, exec_lo, s0
	s_delay_alu instid0(SALU_CYCLE_1)
	s_mov_b32 s0, exec_lo
	s_waitcnt lgkmcnt(0)
	s_barrier
	buffer_gl0_inv
	v_cmpx_gt_u16_e32 8, v13
	s_cbranch_execz .LBB105_23
; %bb.22:
	ds_load_2addr_b64 v[3:6], v12 offset1:8
	s_waitcnt lgkmcnt(0)
	v_dual_add_f32 v3, v5, v3 :: v_dual_add_f32 v4, v6, v4
	ds_store_b64 v12, v[3:4]
.LBB105_23:
	s_or_b32 exec_lo, exec_lo, s0
	s_delay_alu instid0(SALU_CYCLE_1)
	s_mov_b32 s0, exec_lo
	s_waitcnt lgkmcnt(0)
	s_barrier
	buffer_gl0_inv
	;; [unrolled: 14-line block ×3, first 2 shown]
	v_cmpx_gt_u16_e32 2, v13
	s_cbranch_execz .LBB105_27
; %bb.26:
	ds_load_2addr_b64 v[3:6], v12 offset1:2
	s_waitcnt lgkmcnt(0)
	v_dual_add_f32 v3, v5, v3 :: v_dual_add_f32 v4, v6, v4
	ds_store_b64 v12, v[3:4]
.LBB105_27:
	s_or_b32 exec_lo, exec_lo, s0
	s_mov_b32 s1, 0
	s_mov_b32 s0, 0
	s_mov_b32 s2, exec_lo
	s_waitcnt lgkmcnt(0)
	s_barrier
	buffer_gl0_inv
                                        ; implicit-def: $vgpr4
                                        ; implicit-def: $vgpr3
	v_cmpx_gt_u32_e32 26, v0
	s_xor_b32 s2, exec_lo, s2
; %bb.28:
	v_mul_u32_u24_e32 v3, 26, v0
	s_mov_b32 s0, exec_lo
	s_delay_alu instid0(VALU_DEP_1)
	v_lshlrev_b32_e32 v4, 3, v3
	v_or_b32_e32 v3, 1, v3
; %bb.29:
	s_or_b32 exec_lo, exec_lo, s2
	s_delay_alu instid0(SALU_CYCLE_1)
	s_and_b32 vcc_lo, exec_lo, s1
	s_cbranch_vccnz .LBB105_31
	s_branch .LBB105_42
.LBB105_30:
	s_mov_b32 s0, 0
                                        ; implicit-def: $vgpr4
                                        ; implicit-def: $vgpr3
	s_cbranch_execz .LBB105_42
.LBB105_31:
	s_mov_b32 s1, exec_lo
	v_cmpx_gt_u32_e32 0x104, v0
	s_cbranch_execz .LBB105_33
; %bb.32:
	ds_load_b64 v[3:4], v12 offset:3328
	ds_load_b64 v[5:6], v12
	s_waitcnt lgkmcnt(0)
	v_dual_add_f32 v3, v3, v5 :: v_dual_add_f32 v4, v4, v6
	ds_store_b64 v12, v[3:4]
.LBB105_33:
	s_or_b32 exec_lo, exec_lo, s1
	s_delay_alu instid0(SALU_CYCLE_1)
	s_mov_b32 s1, exec_lo
	s_waitcnt lgkmcnt(0)
	s_barrier
	buffer_gl0_inv
	v_cmpx_gt_u32_e32 0xd0, v0
	s_cbranch_execz .LBB105_35
; %bb.34:
	ds_load_2addr_b64 v[3:6], v12 offset1:208
	s_waitcnt lgkmcnt(0)
	v_dual_add_f32 v3, v5, v3 :: v_dual_add_f32 v4, v6, v4
	ds_store_b64 v12, v[3:4]
.LBB105_35:
	s_or_b32 exec_lo, exec_lo, s1
	s_delay_alu instid0(SALU_CYCLE_1)
	s_mov_b32 s1, exec_lo
	s_waitcnt lgkmcnt(0)
	s_barrier
	buffer_gl0_inv
	v_cmpx_gt_u32_e32 0x68, v0
	s_cbranch_execz .LBB105_37
; %bb.36:
	ds_load_2addr_b64 v[3:6], v12 offset1:104
	s_waitcnt lgkmcnt(0)
	v_dual_add_f32 v3, v5, v3 :: v_dual_add_f32 v4, v6, v4
	ds_store_b64 v12, v[3:4]
.LBB105_37:
	;; [unrolled: 14-line block ×3, first 2 shown]
	s_or_b32 exec_lo, exec_lo, s1
	s_delay_alu instid0(SALU_CYCLE_1)
	s_mov_b32 s1, exec_lo
	s_waitcnt lgkmcnt(0)
	buffer_gl0_inv
                                        ; implicit-def: $vgpr3
	v_cmpx_gt_u32_e32 26, v0
; %bb.40:
	v_add_nc_u32_e32 v3, 26, v0
                                        ; kill: def $vgpr1 killed $sgpr0 killed $exec
	s_or_b32 s0, s0, exec_lo
                                        ; implicit-def: $vgpr2
; %bb.41:
	s_or_b32 exec_lo, exec_lo, s1
	v_mov_b32_e32 v4, v12
.LBB105_42:
	s_and_saveexec_b32 s1, s0
	s_cbranch_execnz .LBB105_45
; %bb.43:
	s_or_b32 exec_lo, exec_lo, s1
	v_cmp_gt_u32_e32 vcc_lo, 26, v0
	s_and_b32 exec_lo, exec_lo, vcc_lo
	s_cbranch_execnz .LBB105_46
.LBB105_44:
	s_nop 0
	s_sendmsg sendmsg(MSG_DEALLOC_VGPRS)
	s_endpgm
.LBB105_45:
	v_lshlrev_b32_e32 v3, 3, v3
	ds_load_2addr_b32 v[1:2], v4 offset1:1
	ds_load_b64 v[3:4], v3
	s_waitcnt lgkmcnt(0)
	v_dual_add_f32 v2, v4, v2 :: v_dual_add_f32 v1, v3, v1
	s_or_b32 exec_lo, exec_lo, s1
	v_cmp_gt_u32_e32 vcc_lo, 26, v0
	s_and_b32 exec_lo, exec_lo, vcc_lo
	s_cbranch_execz .LBB105_44
.LBB105_46:
	v_mul_f32_e64 v3, v2, -v11
	v_mul_f32_e32 v4, v2, v10
	v_cmp_eq_f32_e32 vcc_lo, 0, v8
	v_cmp_eq_f32_e64 s0, 0, v9
	s_delay_alu instid0(VALU_DEP_4) | instskip(NEXT) | instid1(VALU_DEP_4)
	v_fmac_f32_e32 v3, v10, v1
	v_fmac_f32_e32 v4, v11, v1
	s_delay_alu instid0(VALU_DEP_3) | instskip(NEXT) | instid1(SALU_CYCLE_1)
	s_and_b32 s0, vcc_lo, s0
	s_and_saveexec_b32 s1, s0
	s_delay_alu instid0(SALU_CYCLE_1)
	s_xor_b32 s0, exec_lo, s1
	s_cbranch_execz .LBB105_48
; %bb.47:
	v_mad_u64_u32 v[1:2], null, s8, 26, v[0:1]
	v_mov_b32_e32 v2, 0
                                        ; implicit-def: $vgpr8
                                        ; implicit-def: $vgpr9
	s_delay_alu instid0(VALU_DEP_1) | instskip(NEXT) | instid1(VALU_DEP_1)
	v_lshlrev_b64 v[0:1], 3, v[1:2]
	v_add_co_u32 v0, vcc_lo, s10, v0
	s_delay_alu instid0(VALU_DEP_2)
	v_add_co_ci_u32_e32 v1, vcc_lo, s11, v1, vcc_lo
	global_store_b64 v[0:1], v[3:4], off
                                        ; implicit-def: $vgpr0
                                        ; implicit-def: $vgpr3
.LBB105_48:
	s_and_not1_saveexec_b32 s0, s0
	s_cbranch_execz .LBB105_44
; %bb.49:
	v_mad_u64_u32 v[1:2], null, s8, 26, v[0:1]
	v_mov_b32_e32 v2, 0
	s_delay_alu instid0(VALU_DEP_1) | instskip(NEXT) | instid1(VALU_DEP_1)
	v_lshlrev_b64 v[0:1], 3, v[1:2]
	v_add_co_u32 v0, vcc_lo, s10, v0
	s_delay_alu instid0(VALU_DEP_2) | instskip(SKIP_4) | instid1(VALU_DEP_2)
	v_add_co_ci_u32_e32 v1, vcc_lo, s11, v1, vcc_lo
	global_load_b64 v[5:6], v[0:1], off
	s_waitcnt vmcnt(0)
	v_fmac_f32_e32 v3, v8, v5
	v_fmac_f32_e32 v4, v9, v5
	v_fma_f32 v3, -v9, v6, v3
	s_delay_alu instid0(VALU_DEP_2)
	v_fmac_f32_e32 v4, v8, v6
	global_store_b64 v[0:1], v[3:4], off
	s_nop 0
	s_sendmsg sendmsg(MSG_DEALLOC_VGPRS)
	s_endpgm
	.section	.rodata,"a",@progbits
	.p2align	6, 0x0
	.amdhsa_kernel _ZN9rocsparseL20bsrxmvn_17_32_kernelILj26E21rocsparse_complex_numIfEliS2_S2_S2_EEvT2_20rocsparse_direction_NS_24const_host_device_scalarIT0_EES3_PKS3_PKT1_SC_S9_PKT3_PKT4_S7_PT5_21rocsparse_index_base_b
		.amdhsa_group_segment_fixed_size 5408
		.amdhsa_private_segment_fixed_size 0
		.amdhsa_kernarg_size 96
		.amdhsa_user_sgpr_count 15
		.amdhsa_user_sgpr_dispatch_ptr 0
		.amdhsa_user_sgpr_queue_ptr 0
		.amdhsa_user_sgpr_kernarg_segment_ptr 1
		.amdhsa_user_sgpr_dispatch_id 0
		.amdhsa_user_sgpr_private_segment_size 0
		.amdhsa_wavefront_size32 1
		.amdhsa_uses_dynamic_stack 0
		.amdhsa_enable_private_segment 0
		.amdhsa_system_sgpr_workgroup_id_x 1
		.amdhsa_system_sgpr_workgroup_id_y 0
		.amdhsa_system_sgpr_workgroup_id_z 0
		.amdhsa_system_sgpr_workgroup_info 0
		.amdhsa_system_vgpr_workitem_id 0
		.amdhsa_next_free_vgpr 19
		.amdhsa_next_free_sgpr 20
		.amdhsa_reserve_vcc 1
		.amdhsa_float_round_mode_32 0
		.amdhsa_float_round_mode_16_64 0
		.amdhsa_float_denorm_mode_32 3
		.amdhsa_float_denorm_mode_16_64 3
		.amdhsa_dx10_clamp 1
		.amdhsa_ieee_mode 1
		.amdhsa_fp16_overflow 0
		.amdhsa_workgroup_processor_mode 1
		.amdhsa_memory_ordered 1
		.amdhsa_forward_progress 0
		.amdhsa_shared_vgpr_count 0
		.amdhsa_exception_fp_ieee_invalid_op 0
		.amdhsa_exception_fp_denorm_src 0
		.amdhsa_exception_fp_ieee_div_zero 0
		.amdhsa_exception_fp_ieee_overflow 0
		.amdhsa_exception_fp_ieee_underflow 0
		.amdhsa_exception_fp_ieee_inexact 0
		.amdhsa_exception_int_div_zero 0
	.end_amdhsa_kernel
	.section	.text._ZN9rocsparseL20bsrxmvn_17_32_kernelILj26E21rocsparse_complex_numIfEliS2_S2_S2_EEvT2_20rocsparse_direction_NS_24const_host_device_scalarIT0_EES3_PKS3_PKT1_SC_S9_PKT3_PKT4_S7_PT5_21rocsparse_index_base_b,"axG",@progbits,_ZN9rocsparseL20bsrxmvn_17_32_kernelILj26E21rocsparse_complex_numIfEliS2_S2_S2_EEvT2_20rocsparse_direction_NS_24const_host_device_scalarIT0_EES3_PKS3_PKT1_SC_S9_PKT3_PKT4_S7_PT5_21rocsparse_index_base_b,comdat
.Lfunc_end105:
	.size	_ZN9rocsparseL20bsrxmvn_17_32_kernelILj26E21rocsparse_complex_numIfEliS2_S2_S2_EEvT2_20rocsparse_direction_NS_24const_host_device_scalarIT0_EES3_PKS3_PKT1_SC_S9_PKT3_PKT4_S7_PT5_21rocsparse_index_base_b, .Lfunc_end105-_ZN9rocsparseL20bsrxmvn_17_32_kernelILj26E21rocsparse_complex_numIfEliS2_S2_S2_EEvT2_20rocsparse_direction_NS_24const_host_device_scalarIT0_EES3_PKS3_PKT1_SC_S9_PKT3_PKT4_S7_PT5_21rocsparse_index_base_b
                                        ; -- End function
	.section	.AMDGPU.csdata,"",@progbits
; Kernel info:
; codeLenInByte = 1920
; NumSgprs: 22
; NumVgprs: 19
; ScratchSize: 0
; MemoryBound: 0
; FloatMode: 240
; IeeeMode: 1
; LDSByteSize: 5408 bytes/workgroup (compile time only)
; SGPRBlocks: 2
; VGPRBlocks: 2
; NumSGPRsForWavesPerEU: 22
; NumVGPRsForWavesPerEU: 19
; Occupancy: 11
; WaveLimiterHint : 1
; COMPUTE_PGM_RSRC2:SCRATCH_EN: 0
; COMPUTE_PGM_RSRC2:USER_SGPR: 15
; COMPUTE_PGM_RSRC2:TRAP_HANDLER: 0
; COMPUTE_PGM_RSRC2:TGID_X_EN: 1
; COMPUTE_PGM_RSRC2:TGID_Y_EN: 0
; COMPUTE_PGM_RSRC2:TGID_Z_EN: 0
; COMPUTE_PGM_RSRC2:TIDIG_COMP_CNT: 0
	.section	.text._ZN9rocsparseL20bsrxmvn_17_32_kernelILj27E21rocsparse_complex_numIfEliS2_S2_S2_EEvT2_20rocsparse_direction_NS_24const_host_device_scalarIT0_EES3_PKS3_PKT1_SC_S9_PKT3_PKT4_S7_PT5_21rocsparse_index_base_b,"axG",@progbits,_ZN9rocsparseL20bsrxmvn_17_32_kernelILj27E21rocsparse_complex_numIfEliS2_S2_S2_EEvT2_20rocsparse_direction_NS_24const_host_device_scalarIT0_EES3_PKS3_PKT1_SC_S9_PKT3_PKT4_S7_PT5_21rocsparse_index_base_b,comdat
	.globl	_ZN9rocsparseL20bsrxmvn_17_32_kernelILj27E21rocsparse_complex_numIfEliS2_S2_S2_EEvT2_20rocsparse_direction_NS_24const_host_device_scalarIT0_EES3_PKS3_PKT1_SC_S9_PKT3_PKT4_S7_PT5_21rocsparse_index_base_b ; -- Begin function _ZN9rocsparseL20bsrxmvn_17_32_kernelILj27E21rocsparse_complex_numIfEliS2_S2_S2_EEvT2_20rocsparse_direction_NS_24const_host_device_scalarIT0_EES3_PKS3_PKT1_SC_S9_PKT3_PKT4_S7_PT5_21rocsparse_index_base_b
	.p2align	8
	.type	_ZN9rocsparseL20bsrxmvn_17_32_kernelILj27E21rocsparse_complex_numIfEliS2_S2_S2_EEvT2_20rocsparse_direction_NS_24const_host_device_scalarIT0_EES3_PKS3_PKT1_SC_S9_PKT3_PKT4_S7_PT5_21rocsparse_index_base_b,@function
_ZN9rocsparseL20bsrxmvn_17_32_kernelILj27E21rocsparse_complex_numIfEliS2_S2_S2_EEvT2_20rocsparse_direction_NS_24const_host_device_scalarIT0_EES3_PKS3_PKT1_SC_S9_PKT3_PKT4_S7_PT5_21rocsparse_index_base_b: ; @_ZN9rocsparseL20bsrxmvn_17_32_kernelILj27E21rocsparse_complex_numIfEliS2_S2_S2_EEvT2_20rocsparse_direction_NS_24const_host_device_scalarIT0_EES3_PKS3_PKT1_SC_S9_PKT3_PKT4_S7_PT5_21rocsparse_index_base_b
; %bb.0:
	s_clause 0x2
	s_load_b64 s[12:13], s[0:1], 0x58
	s_load_b64 s[4:5], s[0:1], 0x8
	;; [unrolled: 1-line block ×3, first 2 shown]
	s_mov_b32 s8, s15
	s_waitcnt lgkmcnt(0)
	s_bitcmp1_b32 s13, 0
	v_mov_b32_e32 v10, s4
	s_cselect_b32 s6, -1, 0
	s_delay_alu instid0(SALU_CYCLE_1)
	s_and_b32 vcc_lo, exec_lo, s6
	s_xor_b32 s6, s6, -1
	s_cbranch_vccz .LBB106_15
; %bb.1:
	v_cndmask_b32_e64 v1, 0, 1, s6
	v_mov_b32_e32 v11, s5
	s_and_not1_b32 vcc_lo, exec_lo, s6
	s_cbranch_vccz .LBB106_16
.LBB106_2:
	s_delay_alu instid0(VALU_DEP_2)
	v_cmp_ne_u32_e32 vcc_lo, 1, v1
	v_mov_b32_e32 v8, s2
	s_cbranch_vccz .LBB106_17
.LBB106_3:
	v_cmp_ne_u32_e32 vcc_lo, 1, v1
	v_mov_b32_e32 v9, s3
	s_cbranch_vccnz .LBB106_5
.LBB106_4:
	v_dual_mov_b32 v1, s2 :: v_dual_mov_b32 v2, s3
	flat_load_b32 v9, v[1:2] offset:4
.LBB106_5:
	s_waitcnt vmcnt(0) lgkmcnt(0)
	v_cmp_eq_f32_e32 vcc_lo, 0, v10
	v_cmp_eq_f32_e64 s2, 0, v11
	s_delay_alu instid0(VALU_DEP_1)
	s_and_b32 s4, vcc_lo, s2
	s_mov_b32 s2, -1
	s_and_saveexec_b32 s3, s4
; %bb.6:
	v_cmp_neq_f32_e32 vcc_lo, 1.0, v8
	v_cmp_neq_f32_e64 s2, 0, v9
	s_delay_alu instid0(VALU_DEP_1) | instskip(NEXT) | instid1(SALU_CYCLE_1)
	s_or_b32 s2, vcc_lo, s2
	s_or_not1_b32 s2, s2, exec_lo
; %bb.7:
	s_or_b32 exec_lo, exec_lo, s3
	s_and_saveexec_b32 s3, s2
	s_cbranch_execz .LBB106_44
; %bb.8:
	s_clause 0x1
	s_load_b128 s[4:7], s[0:1], 0x18
	s_load_b64 s[10:11], s[0:1], 0x28
	s_waitcnt lgkmcnt(0)
	s_cmp_eq_u64 s[4:5], 0
	s_cbranch_scc1 .LBB106_10
; %bb.9:
	s_ashr_i32 s9, s8, 31
	s_delay_alu instid0(SALU_CYCLE_1) | instskip(NEXT) | instid1(SALU_CYCLE_1)
	s_lshl_b64 s[2:3], s[8:9], 2
	s_add_u32 s2, s4, s2
	s_addc_u32 s3, s5, s3
	s_load_b32 s2, s[2:3], 0x0
	s_waitcnt lgkmcnt(0)
	s_sub_i32 s8, s2, s12
.LBB106_10:
	s_load_b32 s3, s[0:1], 0x4
	v_mul_u32_u24_e32 v1, 0x97c, v0
	v_mov_b32_e32 v2, 0
	v_lshlrev_b32_e32 v12, 3, v0
	s_delay_alu instid0(VALU_DEP_3) | instskip(NEXT) | instid1(VALU_DEP_1)
	v_lshrrev_b32_e32 v3, 16, v1
	v_mul_lo_u16 v1, v3, 27
	s_delay_alu instid0(VALU_DEP_1)
	v_sub_nc_u16 v13, v0, v1
	v_mov_b32_e32 v1, 0
	s_waitcnt lgkmcnt(0)
	s_cmp_eq_u32 s3, 1
	s_cselect_b32 s2, -1, 0
	s_cmp_lg_u32 s3, 1
	s_cselect_b32 s3, -1, 0
	s_ashr_i32 s9, s8, 31
	s_delay_alu instid0(SALU_CYCLE_1) | instskip(NEXT) | instid1(SALU_CYCLE_1)
	s_lshl_b64 s[4:5], s[8:9], 3
	s_add_u32 s6, s6, s4
	s_addc_u32 s7, s7, s5
	s_add_u32 s9, s6, 8
	s_addc_u32 s13, s7, 0
	s_add_u32 s4, s10, s4
	s_addc_u32 s5, s11, s5
	s_cmp_eq_u64 s[10:11], 0
	s_load_b64 s[10:11], s[0:1], 0x50
	s_cselect_b32 s5, s13, s5
	s_cselect_b32 s4, s9, s4
	s_load_b64 s[18:19], s[6:7], 0x0
	s_load_b64 s[14:15], s[4:5], 0x0
	s_waitcnt lgkmcnt(0)
	v_cmp_ge_i64_e64 s4, s[18:19], s[14:15]
	s_delay_alu instid0(VALU_DEP_1)
	s_and_b32 vcc_lo, exec_lo, s4
	s_cbranch_vccnz .LBB106_18
; %bb.11:
	v_and_b32_e32 v1, 0xffff, v3
	v_cmp_lt_u32_e32 vcc_lo, 0x2d8, v0
	v_and_b32_e32 v2, 0xffff, v13
	s_clause 0x1
	s_load_b128 s[4:7], s[0:1], 0x30
	s_load_b64 s[0:1], s[0:1], 0x40
	s_sub_u32 s14, s14, s12
	v_subrev_nc_u32_e32 v3, 27, v1
	v_cndmask_b32_e64 v14, 0, 1, vcc_lo
	v_cmp_gt_u32_e32 vcc_lo, 0x2d9, v0
	s_subb_u32 s15, s15, 0
	s_sub_u32 s16, s18, s12
	v_lshlrev_b32_e32 v4, 3, v0
	s_subb_u32 s17, s19, 0
	v_cndmask_b32_e32 v1, v3, v1, vcc_lo
	s_mul_hi_u32 s9, s16, 0x16c8
	s_mul_i32 s13, s17, 0x16c8
	s_delay_alu instid0(SALU_CYCLE_1) | instskip(NEXT) | instid1(VALU_DEP_1)
	s_add_i32 s9, s9, s13
	v_cndmask_b32_e64 v3, v2, v1, s2
	v_add_co_u32 v1, s2, s18, v14
	s_delay_alu instid0(VALU_DEP_1) | instskip(SKIP_1) | instid1(VALU_DEP_2)
	v_add_co_ci_u32_e64 v2, null, s19, 0, s2
	s_mul_i32 s2, s16, 0x16c8
	v_sub_co_u32 v1, vcc_lo, v1, s12
	s_delay_alu instid0(VALU_DEP_2)
	v_subrev_co_ci_u32_e32 v2, vcc_lo, 0, v2, vcc_lo
	s_waitcnt lgkmcnt(0)
	s_add_u32 s2, s6, s2
	s_addc_u32 s6, s7, s9
	v_add_co_u32 v4, s2, s2, v4
	v_lshlrev_b64 v[6:7], 2, v[1:2]
	v_mov_b32_e32 v2, 0
	v_add_co_ci_u32_e64 v5, null, s6, 0, s2
	s_delay_alu instid0(VALU_DEP_3) | instskip(NEXT) | instid1(VALU_DEP_4)
	v_add_co_u32 v6, vcc_lo, s4, v6
	v_add_co_ci_u32_e32 v7, vcc_lo, s5, v7, vcc_lo
	s_delay_alu instid0(VALU_DEP_4)
	v_mov_b32_e32 v1, v2
	s_set_inst_prefetch_distance 0x1
	s_branch .LBB106_13
	.p2align	6
.LBB106_12:                             ;   in Loop: Header=BB106_13 Depth=1
	s_or_b32 exec_lo, exec_lo, s2
	s_add_u32 s16, s16, 1
	s_addc_u32 s17, s17, 0
	v_add_co_u32 v6, vcc_lo, v6, 4
	v_cmp_lt_i64_e64 s2, s[16:17], s[14:15]
	v_add_co_ci_u32_e32 v7, vcc_lo, 0, v7, vcc_lo
	s_delay_alu instid0(VALU_DEP_2)
	s_and_b32 vcc_lo, exec_lo, s2
	s_cbranch_vccz .LBB106_18
.LBB106_13:                             ; =>This Inner Loop Header: Depth=1
	v_add_co_u32 v15, s2, v14, s16
	s_delay_alu instid0(VALU_DEP_1) | instskip(SKIP_1) | instid1(VALU_DEP_1)
	v_add_co_ci_u32_e64 v16, null, 0, s17, s2
	s_mov_b32 s2, exec_lo
	v_cmpx_gt_i64_e64 s[14:15], v[15:16]
	s_cbranch_execz .LBB106_12
; %bb.14:                               ;   in Loop: Header=BB106_13 Depth=1
	global_load_b32 v15, v[6:7], off
	s_waitcnt vmcnt(0)
	v_subrev_nc_u32_e32 v17, s12, v15
	s_delay_alu instid0(VALU_DEP_1) | instskip(NEXT) | instid1(VALU_DEP_1)
	v_mad_u64_u32 v[15:16], null, v17, 27, v[3:4]
	v_ashrrev_i32_e32 v16, 31, v15
	s_delay_alu instid0(VALU_DEP_1) | instskip(NEXT) | instid1(VALU_DEP_1)
	v_lshlrev_b64 v[15:16], 3, v[15:16]
	v_add_co_u32 v15, vcc_lo, s0, v15
	s_delay_alu instid0(VALU_DEP_2)
	v_add_co_ci_u32_e32 v16, vcc_lo, s1, v16, vcc_lo
	global_load_b64 v[17:18], v[4:5], off
	global_load_b64 v[15:16], v[15:16], off
	v_add_co_u32 v4, vcc_lo, 0x16c8, v4
	v_add_co_ci_u32_e32 v5, vcc_lo, 0, v5, vcc_lo
	s_waitcnt vmcnt(0)
	v_fmac_f32_e32 v1, v17, v15
	v_fmac_f32_e32 v2, v18, v15
	s_delay_alu instid0(VALU_DEP_2) | instskip(NEXT) | instid1(VALU_DEP_2)
	v_fma_f32 v1, -v18, v16, v1
	v_fmac_f32_e32 v2, v17, v16
	s_branch .LBB106_12
.LBB106_15:
	v_dual_mov_b32 v1, s4 :: v_dual_mov_b32 v2, s5
	flat_load_b32 v10, v[1:2]
	v_cndmask_b32_e64 v1, 0, 1, s6
	v_mov_b32_e32 v11, s5
	s_and_not1_b32 vcc_lo, exec_lo, s6
	s_cbranch_vccnz .LBB106_2
.LBB106_16:
	v_dual_mov_b32 v2, s4 :: v_dual_mov_b32 v3, s5
	flat_load_b32 v11, v[2:3] offset:4
	v_cmp_ne_u32_e32 vcc_lo, 1, v1
	v_mov_b32_e32 v8, s2
	s_cbranch_vccnz .LBB106_3
.LBB106_17:
	v_dual_mov_b32 v2, s2 :: v_dual_mov_b32 v3, s3
	flat_load_b32 v8, v[2:3]
	v_cmp_ne_u32_e32 vcc_lo, 1, v1
	v_mov_b32_e32 v9, s3
	s_cbranch_vccz .LBB106_4
	s_branch .LBB106_5
.LBB106_18:
	s_set_inst_prefetch_distance 0x2
	s_and_b32 vcc_lo, exec_lo, s3
	ds_store_b64 v12, v[1:2]
	s_waitcnt lgkmcnt(0)
	s_barrier
	buffer_gl0_inv
	s_cbranch_vccz .LBB106_30
; %bb.19:
	s_mov_b32 s0, exec_lo
	v_cmpx_gt_u16_e32 11, v13
	s_cbranch_execz .LBB106_21
; %bb.20:
	ds_load_2addr_b64 v[3:6], v12 offset1:16
	s_waitcnt lgkmcnt(0)
	v_dual_add_f32 v3, v5, v3 :: v_dual_add_f32 v4, v6, v4
	ds_store_b64 v12, v[3:4]
.LBB106_21:
	s_or_b32 exec_lo, exec_lo, s0
	s_delay_alu instid0(SALU_CYCLE_1)
	s_mov_b32 s0, exec_lo
	s_waitcnt lgkmcnt(0)
	s_barrier
	buffer_gl0_inv
	v_cmpx_gt_u16_e32 8, v13
	s_cbranch_execz .LBB106_23
; %bb.22:
	ds_load_2addr_b64 v[3:6], v12 offset1:8
	s_waitcnt lgkmcnt(0)
	v_dual_add_f32 v3, v5, v3 :: v_dual_add_f32 v4, v6, v4
	ds_store_b64 v12, v[3:4]
.LBB106_23:
	s_or_b32 exec_lo, exec_lo, s0
	s_delay_alu instid0(SALU_CYCLE_1)
	s_mov_b32 s0, exec_lo
	s_waitcnt lgkmcnt(0)
	s_barrier
	buffer_gl0_inv
	;; [unrolled: 14-line block ×3, first 2 shown]
	v_cmpx_gt_u16_e32 2, v13
	s_cbranch_execz .LBB106_27
; %bb.26:
	ds_load_2addr_b64 v[3:6], v12 offset1:2
	s_waitcnt lgkmcnt(0)
	v_dual_add_f32 v3, v5, v3 :: v_dual_add_f32 v4, v6, v4
	ds_store_b64 v12, v[3:4]
.LBB106_27:
	s_or_b32 exec_lo, exec_lo, s0
	s_mov_b32 s1, 0
	s_mov_b32 s0, 0
	s_mov_b32 s2, exec_lo
	s_waitcnt lgkmcnt(0)
	s_barrier
	buffer_gl0_inv
                                        ; implicit-def: $vgpr4
                                        ; implicit-def: $vgpr3
	v_cmpx_gt_u32_e32 27, v0
	s_xor_b32 s2, exec_lo, s2
; %bb.28:
	v_mul_u32_u24_e32 v4, 27, v0
	v_mad_u32_u24 v3, v0, 27, 1
	s_mov_b32 s0, exec_lo
	s_delay_alu instid0(VALU_DEP_2)
	v_lshlrev_b32_e32 v4, 3, v4
; %bb.29:
	s_or_b32 exec_lo, exec_lo, s2
	s_delay_alu instid0(SALU_CYCLE_1)
	s_and_b32 vcc_lo, exec_lo, s1
	s_cbranch_vccnz .LBB106_31
	s_branch .LBB106_42
.LBB106_30:
	s_mov_b32 s0, 0
                                        ; implicit-def: $vgpr4
                                        ; implicit-def: $vgpr3
	s_cbranch_execz .LBB106_42
.LBB106_31:
	s_mov_b32 s1, exec_lo
	v_cmpx_gt_u32_e32 0x129, v0
	s_cbranch_execz .LBB106_33
; %bb.32:
	ds_load_b64 v[3:4], v12 offset:3456
	ds_load_b64 v[5:6], v12
	s_waitcnt lgkmcnt(0)
	v_dual_add_f32 v3, v3, v5 :: v_dual_add_f32 v4, v4, v6
	ds_store_b64 v12, v[3:4]
.LBB106_33:
	s_or_b32 exec_lo, exec_lo, s1
	s_delay_alu instid0(SALU_CYCLE_1)
	s_mov_b32 s1, exec_lo
	s_waitcnt lgkmcnt(0)
	s_barrier
	buffer_gl0_inv
	v_cmpx_gt_u32_e32 0xd8, v0
	s_cbranch_execz .LBB106_35
; %bb.34:
	ds_load_2addr_b64 v[3:6], v12 offset1:216
	s_waitcnt lgkmcnt(0)
	v_dual_add_f32 v3, v5, v3 :: v_dual_add_f32 v4, v6, v4
	ds_store_b64 v12, v[3:4]
.LBB106_35:
	s_or_b32 exec_lo, exec_lo, s1
	s_delay_alu instid0(SALU_CYCLE_1)
	s_mov_b32 s1, exec_lo
	s_waitcnt lgkmcnt(0)
	s_barrier
	buffer_gl0_inv
	v_cmpx_gt_u32_e32 0x6c, v0
	s_cbranch_execz .LBB106_37
; %bb.36:
	ds_load_2addr_b64 v[3:6], v12 offset1:108
	s_waitcnt lgkmcnt(0)
	v_dual_add_f32 v3, v5, v3 :: v_dual_add_f32 v4, v6, v4
	ds_store_b64 v12, v[3:4]
.LBB106_37:
	;; [unrolled: 14-line block ×3, first 2 shown]
	s_or_b32 exec_lo, exec_lo, s1
	s_delay_alu instid0(SALU_CYCLE_1)
	s_mov_b32 s1, exec_lo
	s_waitcnt lgkmcnt(0)
	buffer_gl0_inv
                                        ; implicit-def: $vgpr3
	v_cmpx_gt_u32_e32 27, v0
; %bb.40:
	v_add_nc_u32_e32 v3, 27, v0
                                        ; kill: def $vgpr1 killed $sgpr0 killed $exec
	s_or_b32 s0, s0, exec_lo
                                        ; implicit-def: $vgpr2
; %bb.41:
	s_or_b32 exec_lo, exec_lo, s1
	v_mov_b32_e32 v4, v12
.LBB106_42:
	s_and_saveexec_b32 s1, s0
	s_cbranch_execnz .LBB106_45
; %bb.43:
	s_or_b32 exec_lo, exec_lo, s1
	v_cmp_gt_u32_e32 vcc_lo, 27, v0
	s_and_b32 exec_lo, exec_lo, vcc_lo
	s_cbranch_execnz .LBB106_46
.LBB106_44:
	s_nop 0
	s_sendmsg sendmsg(MSG_DEALLOC_VGPRS)
	s_endpgm
.LBB106_45:
	v_lshlrev_b32_e32 v3, 3, v3
	ds_load_2addr_b32 v[1:2], v4 offset1:1
	ds_load_b64 v[3:4], v3
	s_waitcnt lgkmcnt(0)
	v_dual_add_f32 v2, v4, v2 :: v_dual_add_f32 v1, v3, v1
	s_or_b32 exec_lo, exec_lo, s1
	v_cmp_gt_u32_e32 vcc_lo, 27, v0
	s_and_b32 exec_lo, exec_lo, vcc_lo
	s_cbranch_execz .LBB106_44
.LBB106_46:
	v_mul_f32_e64 v3, v2, -v11
	v_mul_f32_e32 v4, v2, v10
	v_cmp_eq_f32_e32 vcc_lo, 0, v8
	v_cmp_eq_f32_e64 s0, 0, v9
	s_delay_alu instid0(VALU_DEP_4) | instskip(NEXT) | instid1(VALU_DEP_4)
	v_fmac_f32_e32 v3, v10, v1
	v_fmac_f32_e32 v4, v11, v1
	s_delay_alu instid0(VALU_DEP_3) | instskip(NEXT) | instid1(SALU_CYCLE_1)
	s_and_b32 s0, vcc_lo, s0
	s_and_saveexec_b32 s1, s0
	s_delay_alu instid0(SALU_CYCLE_1)
	s_xor_b32 s0, exec_lo, s1
	s_cbranch_execz .LBB106_48
; %bb.47:
	v_mad_u64_u32 v[1:2], null, s8, 27, v[0:1]
	v_mov_b32_e32 v2, 0
                                        ; implicit-def: $vgpr8
                                        ; implicit-def: $vgpr9
	s_delay_alu instid0(VALU_DEP_1) | instskip(NEXT) | instid1(VALU_DEP_1)
	v_lshlrev_b64 v[0:1], 3, v[1:2]
	v_add_co_u32 v0, vcc_lo, s10, v0
	s_delay_alu instid0(VALU_DEP_2)
	v_add_co_ci_u32_e32 v1, vcc_lo, s11, v1, vcc_lo
	global_store_b64 v[0:1], v[3:4], off
                                        ; implicit-def: $vgpr0
                                        ; implicit-def: $vgpr3
.LBB106_48:
	s_and_not1_saveexec_b32 s0, s0
	s_cbranch_execz .LBB106_44
; %bb.49:
	v_mad_u64_u32 v[1:2], null, s8, 27, v[0:1]
	v_mov_b32_e32 v2, 0
	s_delay_alu instid0(VALU_DEP_1) | instskip(NEXT) | instid1(VALU_DEP_1)
	v_lshlrev_b64 v[0:1], 3, v[1:2]
	v_add_co_u32 v0, vcc_lo, s10, v0
	s_delay_alu instid0(VALU_DEP_2) | instskip(SKIP_4) | instid1(VALU_DEP_2)
	v_add_co_ci_u32_e32 v1, vcc_lo, s11, v1, vcc_lo
	global_load_b64 v[5:6], v[0:1], off
	s_waitcnt vmcnt(0)
	v_fmac_f32_e32 v3, v8, v5
	v_fmac_f32_e32 v4, v9, v5
	v_fma_f32 v3, -v9, v6, v3
	s_delay_alu instid0(VALU_DEP_2)
	v_fmac_f32_e32 v4, v8, v6
	global_store_b64 v[0:1], v[3:4], off
	s_nop 0
	s_sendmsg sendmsg(MSG_DEALLOC_VGPRS)
	s_endpgm
	.section	.rodata,"a",@progbits
	.p2align	6, 0x0
	.amdhsa_kernel _ZN9rocsparseL20bsrxmvn_17_32_kernelILj27E21rocsparse_complex_numIfEliS2_S2_S2_EEvT2_20rocsparse_direction_NS_24const_host_device_scalarIT0_EES3_PKS3_PKT1_SC_S9_PKT3_PKT4_S7_PT5_21rocsparse_index_base_b
		.amdhsa_group_segment_fixed_size 5832
		.amdhsa_private_segment_fixed_size 0
		.amdhsa_kernarg_size 96
		.amdhsa_user_sgpr_count 15
		.amdhsa_user_sgpr_dispatch_ptr 0
		.amdhsa_user_sgpr_queue_ptr 0
		.amdhsa_user_sgpr_kernarg_segment_ptr 1
		.amdhsa_user_sgpr_dispatch_id 0
		.amdhsa_user_sgpr_private_segment_size 0
		.amdhsa_wavefront_size32 1
		.amdhsa_uses_dynamic_stack 0
		.amdhsa_enable_private_segment 0
		.amdhsa_system_sgpr_workgroup_id_x 1
		.amdhsa_system_sgpr_workgroup_id_y 0
		.amdhsa_system_sgpr_workgroup_id_z 0
		.amdhsa_system_sgpr_workgroup_info 0
		.amdhsa_system_vgpr_workitem_id 0
		.amdhsa_next_free_vgpr 19
		.amdhsa_next_free_sgpr 20
		.amdhsa_reserve_vcc 1
		.amdhsa_float_round_mode_32 0
		.amdhsa_float_round_mode_16_64 0
		.amdhsa_float_denorm_mode_32 3
		.amdhsa_float_denorm_mode_16_64 3
		.amdhsa_dx10_clamp 1
		.amdhsa_ieee_mode 1
		.amdhsa_fp16_overflow 0
		.amdhsa_workgroup_processor_mode 1
		.amdhsa_memory_ordered 1
		.amdhsa_forward_progress 0
		.amdhsa_shared_vgpr_count 0
		.amdhsa_exception_fp_ieee_invalid_op 0
		.amdhsa_exception_fp_denorm_src 0
		.amdhsa_exception_fp_ieee_div_zero 0
		.amdhsa_exception_fp_ieee_overflow 0
		.amdhsa_exception_fp_ieee_underflow 0
		.amdhsa_exception_fp_ieee_inexact 0
		.amdhsa_exception_int_div_zero 0
	.end_amdhsa_kernel
	.section	.text._ZN9rocsparseL20bsrxmvn_17_32_kernelILj27E21rocsparse_complex_numIfEliS2_S2_S2_EEvT2_20rocsparse_direction_NS_24const_host_device_scalarIT0_EES3_PKS3_PKT1_SC_S9_PKT3_PKT4_S7_PT5_21rocsparse_index_base_b,"axG",@progbits,_ZN9rocsparseL20bsrxmvn_17_32_kernelILj27E21rocsparse_complex_numIfEliS2_S2_S2_EEvT2_20rocsparse_direction_NS_24const_host_device_scalarIT0_EES3_PKS3_PKT1_SC_S9_PKT3_PKT4_S7_PT5_21rocsparse_index_base_b,comdat
.Lfunc_end106:
	.size	_ZN9rocsparseL20bsrxmvn_17_32_kernelILj27E21rocsparse_complex_numIfEliS2_S2_S2_EEvT2_20rocsparse_direction_NS_24const_host_device_scalarIT0_EES3_PKS3_PKT1_SC_S9_PKT3_PKT4_S7_PT5_21rocsparse_index_base_b, .Lfunc_end106-_ZN9rocsparseL20bsrxmvn_17_32_kernelILj27E21rocsparse_complex_numIfEliS2_S2_S2_EEvT2_20rocsparse_direction_NS_24const_host_device_scalarIT0_EES3_PKS3_PKT1_SC_S9_PKT3_PKT4_S7_PT5_21rocsparse_index_base_b
                                        ; -- End function
	.section	.AMDGPU.csdata,"",@progbits
; Kernel info:
; codeLenInByte = 1924
; NumSgprs: 22
; NumVgprs: 19
; ScratchSize: 0
; MemoryBound: 0
; FloatMode: 240
; IeeeMode: 1
; LDSByteSize: 5832 bytes/workgroup (compile time only)
; SGPRBlocks: 2
; VGPRBlocks: 2
; NumSGPRsForWavesPerEU: 22
; NumVGPRsForWavesPerEU: 19
; Occupancy: 12
; WaveLimiterHint : 1
; COMPUTE_PGM_RSRC2:SCRATCH_EN: 0
; COMPUTE_PGM_RSRC2:USER_SGPR: 15
; COMPUTE_PGM_RSRC2:TRAP_HANDLER: 0
; COMPUTE_PGM_RSRC2:TGID_X_EN: 1
; COMPUTE_PGM_RSRC2:TGID_Y_EN: 0
; COMPUTE_PGM_RSRC2:TGID_Z_EN: 0
; COMPUTE_PGM_RSRC2:TIDIG_COMP_CNT: 0
	.section	.text._ZN9rocsparseL20bsrxmvn_17_32_kernelILj28E21rocsparse_complex_numIfEliS2_S2_S2_EEvT2_20rocsparse_direction_NS_24const_host_device_scalarIT0_EES3_PKS3_PKT1_SC_S9_PKT3_PKT4_S7_PT5_21rocsparse_index_base_b,"axG",@progbits,_ZN9rocsparseL20bsrxmvn_17_32_kernelILj28E21rocsparse_complex_numIfEliS2_S2_S2_EEvT2_20rocsparse_direction_NS_24const_host_device_scalarIT0_EES3_PKS3_PKT1_SC_S9_PKT3_PKT4_S7_PT5_21rocsparse_index_base_b,comdat
	.globl	_ZN9rocsparseL20bsrxmvn_17_32_kernelILj28E21rocsparse_complex_numIfEliS2_S2_S2_EEvT2_20rocsparse_direction_NS_24const_host_device_scalarIT0_EES3_PKS3_PKT1_SC_S9_PKT3_PKT4_S7_PT5_21rocsparse_index_base_b ; -- Begin function _ZN9rocsparseL20bsrxmvn_17_32_kernelILj28E21rocsparse_complex_numIfEliS2_S2_S2_EEvT2_20rocsparse_direction_NS_24const_host_device_scalarIT0_EES3_PKS3_PKT1_SC_S9_PKT3_PKT4_S7_PT5_21rocsparse_index_base_b
	.p2align	8
	.type	_ZN9rocsparseL20bsrxmvn_17_32_kernelILj28E21rocsparse_complex_numIfEliS2_S2_S2_EEvT2_20rocsparse_direction_NS_24const_host_device_scalarIT0_EES3_PKS3_PKT1_SC_S9_PKT3_PKT4_S7_PT5_21rocsparse_index_base_b,@function
_ZN9rocsparseL20bsrxmvn_17_32_kernelILj28E21rocsparse_complex_numIfEliS2_S2_S2_EEvT2_20rocsparse_direction_NS_24const_host_device_scalarIT0_EES3_PKS3_PKT1_SC_S9_PKT3_PKT4_S7_PT5_21rocsparse_index_base_b: ; @_ZN9rocsparseL20bsrxmvn_17_32_kernelILj28E21rocsparse_complex_numIfEliS2_S2_S2_EEvT2_20rocsparse_direction_NS_24const_host_device_scalarIT0_EES3_PKS3_PKT1_SC_S9_PKT3_PKT4_S7_PT5_21rocsparse_index_base_b
; %bb.0:
	s_clause 0x2
	s_load_b64 s[12:13], s[0:1], 0x58
	s_load_b64 s[4:5], s[0:1], 0x8
	;; [unrolled: 1-line block ×3, first 2 shown]
	s_mov_b32 s8, s15
	s_waitcnt lgkmcnt(0)
	s_bitcmp1_b32 s13, 0
	v_mov_b32_e32 v10, s4
	s_cselect_b32 s6, -1, 0
	s_delay_alu instid0(SALU_CYCLE_1)
	s_and_b32 vcc_lo, exec_lo, s6
	s_xor_b32 s6, s6, -1
	s_cbranch_vccz .LBB107_15
; %bb.1:
	v_cndmask_b32_e64 v1, 0, 1, s6
	v_mov_b32_e32 v11, s5
	s_and_not1_b32 vcc_lo, exec_lo, s6
	s_cbranch_vccz .LBB107_16
.LBB107_2:
	s_delay_alu instid0(VALU_DEP_2)
	v_cmp_ne_u32_e32 vcc_lo, 1, v1
	v_mov_b32_e32 v8, s2
	s_cbranch_vccz .LBB107_17
.LBB107_3:
	v_cmp_ne_u32_e32 vcc_lo, 1, v1
	v_mov_b32_e32 v9, s3
	s_cbranch_vccnz .LBB107_5
.LBB107_4:
	v_dual_mov_b32 v1, s2 :: v_dual_mov_b32 v2, s3
	flat_load_b32 v9, v[1:2] offset:4
.LBB107_5:
	s_waitcnt vmcnt(0) lgkmcnt(0)
	v_cmp_eq_f32_e32 vcc_lo, 0, v10
	v_cmp_eq_f32_e64 s2, 0, v11
	s_delay_alu instid0(VALU_DEP_1)
	s_and_b32 s4, vcc_lo, s2
	s_mov_b32 s2, -1
	s_and_saveexec_b32 s3, s4
; %bb.6:
	v_cmp_neq_f32_e32 vcc_lo, 1.0, v8
	v_cmp_neq_f32_e64 s2, 0, v9
	s_delay_alu instid0(VALU_DEP_1) | instskip(NEXT) | instid1(SALU_CYCLE_1)
	s_or_b32 s2, vcc_lo, s2
	s_or_not1_b32 s2, s2, exec_lo
; %bb.7:
	s_or_b32 exec_lo, exec_lo, s3
	s_and_saveexec_b32 s3, s2
	s_cbranch_execz .LBB107_44
; %bb.8:
	s_clause 0x1
	s_load_b128 s[4:7], s[0:1], 0x18
	s_load_b64 s[10:11], s[0:1], 0x28
	s_waitcnt lgkmcnt(0)
	s_cmp_eq_u64 s[4:5], 0
	s_cbranch_scc1 .LBB107_10
; %bb.9:
	s_ashr_i32 s9, s8, 31
	s_delay_alu instid0(SALU_CYCLE_1) | instskip(NEXT) | instid1(SALU_CYCLE_1)
	s_lshl_b64 s[2:3], s[8:9], 2
	s_add_u32 s2, s4, s2
	s_addc_u32 s3, s5, s3
	s_load_b32 s2, s[2:3], 0x0
	s_waitcnt lgkmcnt(0)
	s_sub_i32 s8, s2, s12
.LBB107_10:
	s_load_b32 s3, s[0:1], 0x4
	v_mul_u32_u24_e32 v1, 0x925, v0
	v_mov_b32_e32 v2, 0
	v_lshlrev_b32_e32 v12, 3, v0
	s_delay_alu instid0(VALU_DEP_3) | instskip(NEXT) | instid1(VALU_DEP_1)
	v_lshrrev_b32_e32 v3, 16, v1
	v_mul_lo_u16 v1, v3, 28
	s_delay_alu instid0(VALU_DEP_1)
	v_sub_nc_u16 v13, v0, v1
	v_mov_b32_e32 v1, 0
	s_waitcnt lgkmcnt(0)
	s_cmp_eq_u32 s3, 1
	s_cselect_b32 s2, -1, 0
	s_cmp_lg_u32 s3, 1
	s_cselect_b32 s3, -1, 0
	s_ashr_i32 s9, s8, 31
	s_delay_alu instid0(SALU_CYCLE_1) | instskip(NEXT) | instid1(SALU_CYCLE_1)
	s_lshl_b64 s[4:5], s[8:9], 3
	s_add_u32 s6, s6, s4
	s_addc_u32 s7, s7, s5
	s_add_u32 s9, s6, 8
	s_addc_u32 s13, s7, 0
	;; [unrolled: 2-line block ×3, first 2 shown]
	s_cmp_eq_u64 s[10:11], 0
	s_load_b64 s[10:11], s[0:1], 0x50
	s_cselect_b32 s5, s13, s5
	s_cselect_b32 s4, s9, s4
	s_load_b64 s[18:19], s[6:7], 0x0
	s_load_b64 s[14:15], s[4:5], 0x0
	s_waitcnt lgkmcnt(0)
	v_cmp_ge_i64_e64 s4, s[18:19], s[14:15]
	s_delay_alu instid0(VALU_DEP_1)
	s_and_b32 vcc_lo, exec_lo, s4
	s_cbranch_vccnz .LBB107_18
; %bb.11:
	v_and_b32_e32 v1, 0xffff, v3
	v_cmp_lt_u32_e32 vcc_lo, 0x30f, v0
	v_and_b32_e32 v2, 0xffff, v13
	s_clause 0x1
	s_load_b128 s[4:7], s[0:1], 0x30
	s_load_b64 s[0:1], s[0:1], 0x40
	s_sub_u32 s14, s14, s12
	v_subrev_nc_u32_e32 v3, 28, v1
	v_cndmask_b32_e64 v14, 0, 1, vcc_lo
	v_cmp_gt_u32_e32 vcc_lo, 0x310, v0
	s_subb_u32 s15, s15, 0
	s_sub_u32 s16, s18, s12
	v_lshlrev_b32_e32 v4, 3, v0
	s_subb_u32 s17, s19, 0
	v_cndmask_b32_e32 v1, v3, v1, vcc_lo
	s_mul_hi_u32 s9, s16, 0x1880
	s_mul_i32 s13, s17, 0x1880
	s_delay_alu instid0(SALU_CYCLE_1) | instskip(NEXT) | instid1(VALU_DEP_1)
	s_add_i32 s9, s9, s13
	v_cndmask_b32_e64 v3, v2, v1, s2
	v_add_co_u32 v1, s2, s18, v14
	s_delay_alu instid0(VALU_DEP_1) | instskip(SKIP_1) | instid1(VALU_DEP_2)
	v_add_co_ci_u32_e64 v2, null, s19, 0, s2
	s_mul_i32 s2, s16, 0x1880
	v_sub_co_u32 v1, vcc_lo, v1, s12
	s_delay_alu instid0(VALU_DEP_2)
	v_subrev_co_ci_u32_e32 v2, vcc_lo, 0, v2, vcc_lo
	s_waitcnt lgkmcnt(0)
	s_add_u32 s2, s6, s2
	s_addc_u32 s6, s7, s9
	v_add_co_u32 v4, s2, s2, v4
	v_lshlrev_b64 v[6:7], 2, v[1:2]
	v_mov_b32_e32 v2, 0
	v_add_co_ci_u32_e64 v5, null, s6, 0, s2
	s_delay_alu instid0(VALU_DEP_3) | instskip(NEXT) | instid1(VALU_DEP_4)
	v_add_co_u32 v6, vcc_lo, s4, v6
	v_add_co_ci_u32_e32 v7, vcc_lo, s5, v7, vcc_lo
	s_delay_alu instid0(VALU_DEP_4)
	v_mov_b32_e32 v1, v2
	s_set_inst_prefetch_distance 0x1
	s_branch .LBB107_13
	.p2align	6
.LBB107_12:                             ;   in Loop: Header=BB107_13 Depth=1
	s_or_b32 exec_lo, exec_lo, s2
	s_add_u32 s16, s16, 1
	s_addc_u32 s17, s17, 0
	v_add_co_u32 v6, vcc_lo, v6, 4
	v_cmp_lt_i64_e64 s2, s[16:17], s[14:15]
	v_add_co_ci_u32_e32 v7, vcc_lo, 0, v7, vcc_lo
	s_delay_alu instid0(VALU_DEP_2)
	s_and_b32 vcc_lo, exec_lo, s2
	s_cbranch_vccz .LBB107_18
.LBB107_13:                             ; =>This Inner Loop Header: Depth=1
	v_add_co_u32 v15, s2, v14, s16
	s_delay_alu instid0(VALU_DEP_1) | instskip(SKIP_1) | instid1(VALU_DEP_1)
	v_add_co_ci_u32_e64 v16, null, 0, s17, s2
	s_mov_b32 s2, exec_lo
	v_cmpx_gt_i64_e64 s[14:15], v[15:16]
	s_cbranch_execz .LBB107_12
; %bb.14:                               ;   in Loop: Header=BB107_13 Depth=1
	global_load_b32 v15, v[6:7], off
	s_waitcnt vmcnt(0)
	v_subrev_nc_u32_e32 v17, s12, v15
	s_delay_alu instid0(VALU_DEP_1) | instskip(NEXT) | instid1(VALU_DEP_1)
	v_mad_u64_u32 v[15:16], null, v17, 28, v[3:4]
	v_ashrrev_i32_e32 v16, 31, v15
	s_delay_alu instid0(VALU_DEP_1) | instskip(NEXT) | instid1(VALU_DEP_1)
	v_lshlrev_b64 v[15:16], 3, v[15:16]
	v_add_co_u32 v15, vcc_lo, s0, v15
	s_delay_alu instid0(VALU_DEP_2)
	v_add_co_ci_u32_e32 v16, vcc_lo, s1, v16, vcc_lo
	global_load_b64 v[17:18], v[4:5], off
	global_load_b64 v[15:16], v[15:16], off
	v_add_co_u32 v4, vcc_lo, 0x1880, v4
	v_add_co_ci_u32_e32 v5, vcc_lo, 0, v5, vcc_lo
	s_waitcnt vmcnt(0)
	v_fmac_f32_e32 v1, v17, v15
	v_fmac_f32_e32 v2, v18, v15
	s_delay_alu instid0(VALU_DEP_2) | instskip(NEXT) | instid1(VALU_DEP_2)
	v_fma_f32 v1, -v18, v16, v1
	v_fmac_f32_e32 v2, v17, v16
	s_branch .LBB107_12
.LBB107_15:
	v_dual_mov_b32 v1, s4 :: v_dual_mov_b32 v2, s5
	flat_load_b32 v10, v[1:2]
	v_cndmask_b32_e64 v1, 0, 1, s6
	v_mov_b32_e32 v11, s5
	s_and_not1_b32 vcc_lo, exec_lo, s6
	s_cbranch_vccnz .LBB107_2
.LBB107_16:
	v_dual_mov_b32 v2, s4 :: v_dual_mov_b32 v3, s5
	flat_load_b32 v11, v[2:3] offset:4
	v_cmp_ne_u32_e32 vcc_lo, 1, v1
	v_mov_b32_e32 v8, s2
	s_cbranch_vccnz .LBB107_3
.LBB107_17:
	v_dual_mov_b32 v2, s2 :: v_dual_mov_b32 v3, s3
	flat_load_b32 v8, v[2:3]
	v_cmp_ne_u32_e32 vcc_lo, 1, v1
	v_mov_b32_e32 v9, s3
	s_cbranch_vccz .LBB107_4
	s_branch .LBB107_5
.LBB107_18:
	s_set_inst_prefetch_distance 0x2
	s_and_b32 vcc_lo, exec_lo, s3
	ds_store_b64 v12, v[1:2]
	s_waitcnt lgkmcnt(0)
	s_barrier
	buffer_gl0_inv
	s_cbranch_vccz .LBB107_30
; %bb.19:
	s_mov_b32 s0, exec_lo
	v_cmpx_gt_u16_e32 12, v13
	s_cbranch_execz .LBB107_21
; %bb.20:
	ds_load_2addr_b64 v[3:6], v12 offset1:16
	s_waitcnt lgkmcnt(0)
	v_dual_add_f32 v3, v5, v3 :: v_dual_add_f32 v4, v6, v4
	ds_store_b64 v12, v[3:4]
.LBB107_21:
	s_or_b32 exec_lo, exec_lo, s0
	s_delay_alu instid0(SALU_CYCLE_1)
	s_mov_b32 s0, exec_lo
	s_waitcnt lgkmcnt(0)
	s_barrier
	buffer_gl0_inv
	v_cmpx_gt_u16_e32 8, v13
	s_cbranch_execz .LBB107_23
; %bb.22:
	ds_load_2addr_b64 v[3:6], v12 offset1:8
	s_waitcnt lgkmcnt(0)
	v_dual_add_f32 v3, v5, v3 :: v_dual_add_f32 v4, v6, v4
	ds_store_b64 v12, v[3:4]
.LBB107_23:
	s_or_b32 exec_lo, exec_lo, s0
	s_delay_alu instid0(SALU_CYCLE_1)
	s_mov_b32 s0, exec_lo
	s_waitcnt lgkmcnt(0)
	s_barrier
	buffer_gl0_inv
	;; [unrolled: 14-line block ×3, first 2 shown]
	v_cmpx_gt_u16_e32 2, v13
	s_cbranch_execz .LBB107_27
; %bb.26:
	ds_load_2addr_b64 v[3:6], v12 offset1:2
	s_waitcnt lgkmcnt(0)
	v_dual_add_f32 v3, v5, v3 :: v_dual_add_f32 v4, v6, v4
	ds_store_b64 v12, v[3:4]
.LBB107_27:
	s_or_b32 exec_lo, exec_lo, s0
	s_mov_b32 s1, 0
	s_mov_b32 s0, 0
	s_mov_b32 s2, exec_lo
	s_waitcnt lgkmcnt(0)
	s_barrier
	buffer_gl0_inv
                                        ; implicit-def: $vgpr4
                                        ; implicit-def: $vgpr3
	v_cmpx_gt_u32_e32 28, v0
	s_xor_b32 s2, exec_lo, s2
; %bb.28:
	v_mul_u32_u24_e32 v3, 28, v0
	s_mov_b32 s0, exec_lo
	s_delay_alu instid0(VALU_DEP_1)
	v_lshlrev_b32_e32 v4, 3, v3
	v_or_b32_e32 v3, 1, v3
; %bb.29:
	s_or_b32 exec_lo, exec_lo, s2
	s_delay_alu instid0(SALU_CYCLE_1)
	s_and_b32 vcc_lo, exec_lo, s1
	s_cbranch_vccnz .LBB107_31
	s_branch .LBB107_42
.LBB107_30:
	s_mov_b32 s0, 0
                                        ; implicit-def: $vgpr4
                                        ; implicit-def: $vgpr3
	s_cbranch_execz .LBB107_42
.LBB107_31:
	s_mov_b32 s1, exec_lo
	v_cmpx_gt_u32_e32 0x150, v0
	s_cbranch_execz .LBB107_33
; %bb.32:
	ds_load_2addr_stride64_b64 v[3:6], v12 offset1:7
	s_waitcnt lgkmcnt(0)
	v_dual_add_f32 v3, v5, v3 :: v_dual_add_f32 v4, v6, v4
	ds_store_b64 v12, v[3:4]
.LBB107_33:
	s_or_b32 exec_lo, exec_lo, s1
	s_delay_alu instid0(SALU_CYCLE_1)
	s_mov_b32 s1, exec_lo
	s_waitcnt lgkmcnt(0)
	s_barrier
	buffer_gl0_inv
	v_cmpx_gt_u32_e32 0xe0, v0
	s_cbranch_execz .LBB107_35
; %bb.34:
	ds_load_2addr_b64 v[3:6], v12 offset1:224
	s_waitcnt lgkmcnt(0)
	v_dual_add_f32 v3, v5, v3 :: v_dual_add_f32 v4, v6, v4
	ds_store_b64 v12, v[3:4]
.LBB107_35:
	s_or_b32 exec_lo, exec_lo, s1
	s_delay_alu instid0(SALU_CYCLE_1)
	s_mov_b32 s1, exec_lo
	s_waitcnt lgkmcnt(0)
	s_barrier
	buffer_gl0_inv
	v_cmpx_gt_u32_e32 0x70, v0
	s_cbranch_execz .LBB107_37
; %bb.36:
	ds_load_2addr_b64 v[3:6], v12 offset1:112
	s_waitcnt lgkmcnt(0)
	v_dual_add_f32 v3, v5, v3 :: v_dual_add_f32 v4, v6, v4
	ds_store_b64 v12, v[3:4]
.LBB107_37:
	;; [unrolled: 14-line block ×3, first 2 shown]
	s_or_b32 exec_lo, exec_lo, s1
	s_delay_alu instid0(SALU_CYCLE_1)
	s_mov_b32 s1, exec_lo
	s_waitcnt lgkmcnt(0)
	buffer_gl0_inv
                                        ; implicit-def: $vgpr3
	v_cmpx_gt_u32_e32 28, v0
; %bb.40:
	v_add_nc_u32_e32 v3, 28, v0
                                        ; kill: def $vgpr1 killed $sgpr0 killed $exec
	s_or_b32 s0, s0, exec_lo
                                        ; implicit-def: $vgpr2
; %bb.41:
	s_or_b32 exec_lo, exec_lo, s1
	v_mov_b32_e32 v4, v12
.LBB107_42:
	s_and_saveexec_b32 s1, s0
	s_cbranch_execnz .LBB107_45
; %bb.43:
	s_or_b32 exec_lo, exec_lo, s1
	v_cmp_gt_u32_e32 vcc_lo, 28, v0
	s_and_b32 exec_lo, exec_lo, vcc_lo
	s_cbranch_execnz .LBB107_46
.LBB107_44:
	s_nop 0
	s_sendmsg sendmsg(MSG_DEALLOC_VGPRS)
	s_endpgm
.LBB107_45:
	v_lshlrev_b32_e32 v3, 3, v3
	ds_load_2addr_b32 v[1:2], v4 offset1:1
	ds_load_b64 v[3:4], v3
	s_waitcnt lgkmcnt(0)
	v_dual_add_f32 v2, v4, v2 :: v_dual_add_f32 v1, v3, v1
	s_or_b32 exec_lo, exec_lo, s1
	v_cmp_gt_u32_e32 vcc_lo, 28, v0
	s_and_b32 exec_lo, exec_lo, vcc_lo
	s_cbranch_execz .LBB107_44
.LBB107_46:
	v_mul_f32_e64 v3, v2, -v11
	v_mul_f32_e32 v4, v2, v10
	v_cmp_eq_f32_e32 vcc_lo, 0, v8
	v_cmp_eq_f32_e64 s0, 0, v9
	s_delay_alu instid0(VALU_DEP_4) | instskip(NEXT) | instid1(VALU_DEP_4)
	v_fmac_f32_e32 v3, v10, v1
	v_fmac_f32_e32 v4, v11, v1
	s_delay_alu instid0(VALU_DEP_3) | instskip(NEXT) | instid1(SALU_CYCLE_1)
	s_and_b32 s0, vcc_lo, s0
	s_and_saveexec_b32 s1, s0
	s_delay_alu instid0(SALU_CYCLE_1)
	s_xor_b32 s0, exec_lo, s1
	s_cbranch_execz .LBB107_48
; %bb.47:
	v_mad_u64_u32 v[1:2], null, s8, 28, v[0:1]
	v_mov_b32_e32 v2, 0
                                        ; implicit-def: $vgpr8
                                        ; implicit-def: $vgpr9
	s_delay_alu instid0(VALU_DEP_1) | instskip(NEXT) | instid1(VALU_DEP_1)
	v_lshlrev_b64 v[0:1], 3, v[1:2]
	v_add_co_u32 v0, vcc_lo, s10, v0
	s_delay_alu instid0(VALU_DEP_2)
	v_add_co_ci_u32_e32 v1, vcc_lo, s11, v1, vcc_lo
	global_store_b64 v[0:1], v[3:4], off
                                        ; implicit-def: $vgpr0
                                        ; implicit-def: $vgpr3
.LBB107_48:
	s_and_not1_saveexec_b32 s0, s0
	s_cbranch_execz .LBB107_44
; %bb.49:
	v_mad_u64_u32 v[1:2], null, s8, 28, v[0:1]
	v_mov_b32_e32 v2, 0
	s_delay_alu instid0(VALU_DEP_1) | instskip(NEXT) | instid1(VALU_DEP_1)
	v_lshlrev_b64 v[0:1], 3, v[1:2]
	v_add_co_u32 v0, vcc_lo, s10, v0
	s_delay_alu instid0(VALU_DEP_2) | instskip(SKIP_4) | instid1(VALU_DEP_2)
	v_add_co_ci_u32_e32 v1, vcc_lo, s11, v1, vcc_lo
	global_load_b64 v[5:6], v[0:1], off
	s_waitcnt vmcnt(0)
	v_fmac_f32_e32 v3, v8, v5
	v_fmac_f32_e32 v4, v9, v5
	v_fma_f32 v3, -v9, v6, v3
	s_delay_alu instid0(VALU_DEP_2)
	v_fmac_f32_e32 v4, v8, v6
	global_store_b64 v[0:1], v[3:4], off
	s_nop 0
	s_sendmsg sendmsg(MSG_DEALLOC_VGPRS)
	s_endpgm
	.section	.rodata,"a",@progbits
	.p2align	6, 0x0
	.amdhsa_kernel _ZN9rocsparseL20bsrxmvn_17_32_kernelILj28E21rocsparse_complex_numIfEliS2_S2_S2_EEvT2_20rocsparse_direction_NS_24const_host_device_scalarIT0_EES3_PKS3_PKT1_SC_S9_PKT3_PKT4_S7_PT5_21rocsparse_index_base_b
		.amdhsa_group_segment_fixed_size 6272
		.amdhsa_private_segment_fixed_size 0
		.amdhsa_kernarg_size 96
		.amdhsa_user_sgpr_count 15
		.amdhsa_user_sgpr_dispatch_ptr 0
		.amdhsa_user_sgpr_queue_ptr 0
		.amdhsa_user_sgpr_kernarg_segment_ptr 1
		.amdhsa_user_sgpr_dispatch_id 0
		.amdhsa_user_sgpr_private_segment_size 0
		.amdhsa_wavefront_size32 1
		.amdhsa_uses_dynamic_stack 0
		.amdhsa_enable_private_segment 0
		.amdhsa_system_sgpr_workgroup_id_x 1
		.amdhsa_system_sgpr_workgroup_id_y 0
		.amdhsa_system_sgpr_workgroup_id_z 0
		.amdhsa_system_sgpr_workgroup_info 0
		.amdhsa_system_vgpr_workitem_id 0
		.amdhsa_next_free_vgpr 19
		.amdhsa_next_free_sgpr 20
		.amdhsa_reserve_vcc 1
		.amdhsa_float_round_mode_32 0
		.amdhsa_float_round_mode_16_64 0
		.amdhsa_float_denorm_mode_32 3
		.amdhsa_float_denorm_mode_16_64 3
		.amdhsa_dx10_clamp 1
		.amdhsa_ieee_mode 1
		.amdhsa_fp16_overflow 0
		.amdhsa_workgroup_processor_mode 1
		.amdhsa_memory_ordered 1
		.amdhsa_forward_progress 0
		.amdhsa_shared_vgpr_count 0
		.amdhsa_exception_fp_ieee_invalid_op 0
		.amdhsa_exception_fp_denorm_src 0
		.amdhsa_exception_fp_ieee_div_zero 0
		.amdhsa_exception_fp_ieee_overflow 0
		.amdhsa_exception_fp_ieee_underflow 0
		.amdhsa_exception_fp_ieee_inexact 0
		.amdhsa_exception_int_div_zero 0
	.end_amdhsa_kernel
	.section	.text._ZN9rocsparseL20bsrxmvn_17_32_kernelILj28E21rocsparse_complex_numIfEliS2_S2_S2_EEvT2_20rocsparse_direction_NS_24const_host_device_scalarIT0_EES3_PKS3_PKT1_SC_S9_PKT3_PKT4_S7_PT5_21rocsparse_index_base_b,"axG",@progbits,_ZN9rocsparseL20bsrxmvn_17_32_kernelILj28E21rocsparse_complex_numIfEliS2_S2_S2_EEvT2_20rocsparse_direction_NS_24const_host_device_scalarIT0_EES3_PKS3_PKT1_SC_S9_PKT3_PKT4_S7_PT5_21rocsparse_index_base_b,comdat
.Lfunc_end107:
	.size	_ZN9rocsparseL20bsrxmvn_17_32_kernelILj28E21rocsparse_complex_numIfEliS2_S2_S2_EEvT2_20rocsparse_direction_NS_24const_host_device_scalarIT0_EES3_PKS3_PKT1_SC_S9_PKT3_PKT4_S7_PT5_21rocsparse_index_base_b, .Lfunc_end107-_ZN9rocsparseL20bsrxmvn_17_32_kernelILj28E21rocsparse_complex_numIfEliS2_S2_S2_EEvT2_20rocsparse_direction_NS_24const_host_device_scalarIT0_EES3_PKS3_PKT1_SC_S9_PKT3_PKT4_S7_PT5_21rocsparse_index_base_b
                                        ; -- End function
	.section	.AMDGPU.csdata,"",@progbits
; Kernel info:
; codeLenInByte = 1912
; NumSgprs: 22
; NumVgprs: 19
; ScratchSize: 0
; MemoryBound: 0
; FloatMode: 240
; IeeeMode: 1
; LDSByteSize: 6272 bytes/workgroup (compile time only)
; SGPRBlocks: 2
; VGPRBlocks: 2
; NumSGPRsForWavesPerEU: 22
; NumVGPRsForWavesPerEU: 19
; Occupancy: 13
; WaveLimiterHint : 1
; COMPUTE_PGM_RSRC2:SCRATCH_EN: 0
; COMPUTE_PGM_RSRC2:USER_SGPR: 15
; COMPUTE_PGM_RSRC2:TRAP_HANDLER: 0
; COMPUTE_PGM_RSRC2:TGID_X_EN: 1
; COMPUTE_PGM_RSRC2:TGID_Y_EN: 0
; COMPUTE_PGM_RSRC2:TGID_Z_EN: 0
; COMPUTE_PGM_RSRC2:TIDIG_COMP_CNT: 0
	.section	.text._ZN9rocsparseL20bsrxmvn_17_32_kernelILj29E21rocsparse_complex_numIfEliS2_S2_S2_EEvT2_20rocsparse_direction_NS_24const_host_device_scalarIT0_EES3_PKS3_PKT1_SC_S9_PKT3_PKT4_S7_PT5_21rocsparse_index_base_b,"axG",@progbits,_ZN9rocsparseL20bsrxmvn_17_32_kernelILj29E21rocsparse_complex_numIfEliS2_S2_S2_EEvT2_20rocsparse_direction_NS_24const_host_device_scalarIT0_EES3_PKS3_PKT1_SC_S9_PKT3_PKT4_S7_PT5_21rocsparse_index_base_b,comdat
	.globl	_ZN9rocsparseL20bsrxmvn_17_32_kernelILj29E21rocsparse_complex_numIfEliS2_S2_S2_EEvT2_20rocsparse_direction_NS_24const_host_device_scalarIT0_EES3_PKS3_PKT1_SC_S9_PKT3_PKT4_S7_PT5_21rocsparse_index_base_b ; -- Begin function _ZN9rocsparseL20bsrxmvn_17_32_kernelILj29E21rocsparse_complex_numIfEliS2_S2_S2_EEvT2_20rocsparse_direction_NS_24const_host_device_scalarIT0_EES3_PKS3_PKT1_SC_S9_PKT3_PKT4_S7_PT5_21rocsparse_index_base_b
	.p2align	8
	.type	_ZN9rocsparseL20bsrxmvn_17_32_kernelILj29E21rocsparse_complex_numIfEliS2_S2_S2_EEvT2_20rocsparse_direction_NS_24const_host_device_scalarIT0_EES3_PKS3_PKT1_SC_S9_PKT3_PKT4_S7_PT5_21rocsparse_index_base_b,@function
_ZN9rocsparseL20bsrxmvn_17_32_kernelILj29E21rocsparse_complex_numIfEliS2_S2_S2_EEvT2_20rocsparse_direction_NS_24const_host_device_scalarIT0_EES3_PKS3_PKT1_SC_S9_PKT3_PKT4_S7_PT5_21rocsparse_index_base_b: ; @_ZN9rocsparseL20bsrxmvn_17_32_kernelILj29E21rocsparse_complex_numIfEliS2_S2_S2_EEvT2_20rocsparse_direction_NS_24const_host_device_scalarIT0_EES3_PKS3_PKT1_SC_S9_PKT3_PKT4_S7_PT5_21rocsparse_index_base_b
; %bb.0:
	s_clause 0x2
	s_load_b64 s[12:13], s[0:1], 0x58
	s_load_b64 s[4:5], s[0:1], 0x8
	;; [unrolled: 1-line block ×3, first 2 shown]
	s_mov_b32 s8, s15
	s_waitcnt lgkmcnt(0)
	s_bitcmp1_b32 s13, 0
	v_mov_b32_e32 v10, s4
	s_cselect_b32 s6, -1, 0
	s_delay_alu instid0(SALU_CYCLE_1)
	s_and_b32 vcc_lo, exec_lo, s6
	s_xor_b32 s6, s6, -1
	s_cbranch_vccz .LBB108_15
; %bb.1:
	v_cndmask_b32_e64 v1, 0, 1, s6
	v_mov_b32_e32 v11, s5
	s_and_not1_b32 vcc_lo, exec_lo, s6
	s_cbranch_vccz .LBB108_16
.LBB108_2:
	s_delay_alu instid0(VALU_DEP_2)
	v_cmp_ne_u32_e32 vcc_lo, 1, v1
	v_mov_b32_e32 v8, s2
	s_cbranch_vccz .LBB108_17
.LBB108_3:
	v_cmp_ne_u32_e32 vcc_lo, 1, v1
	v_mov_b32_e32 v9, s3
	s_cbranch_vccnz .LBB108_5
.LBB108_4:
	v_dual_mov_b32 v1, s2 :: v_dual_mov_b32 v2, s3
	flat_load_b32 v9, v[1:2] offset:4
.LBB108_5:
	s_waitcnt vmcnt(0) lgkmcnt(0)
	v_cmp_eq_f32_e32 vcc_lo, 0, v10
	v_cmp_eq_f32_e64 s2, 0, v11
	s_delay_alu instid0(VALU_DEP_1)
	s_and_b32 s4, vcc_lo, s2
	s_mov_b32 s2, -1
	s_and_saveexec_b32 s3, s4
; %bb.6:
	v_cmp_neq_f32_e32 vcc_lo, 1.0, v8
	v_cmp_neq_f32_e64 s2, 0, v9
	s_delay_alu instid0(VALU_DEP_1) | instskip(NEXT) | instid1(SALU_CYCLE_1)
	s_or_b32 s2, vcc_lo, s2
	s_or_not1_b32 s2, s2, exec_lo
; %bb.7:
	s_or_b32 exec_lo, exec_lo, s3
	s_and_saveexec_b32 s3, s2
	s_cbranch_execz .LBB108_44
; %bb.8:
	s_clause 0x1
	s_load_b128 s[4:7], s[0:1], 0x18
	s_load_b64 s[10:11], s[0:1], 0x28
	s_waitcnt lgkmcnt(0)
	s_cmp_eq_u64 s[4:5], 0
	s_cbranch_scc1 .LBB108_10
; %bb.9:
	s_ashr_i32 s9, s8, 31
	s_delay_alu instid0(SALU_CYCLE_1) | instskip(NEXT) | instid1(SALU_CYCLE_1)
	s_lshl_b64 s[2:3], s[8:9], 2
	s_add_u32 s2, s4, s2
	s_addc_u32 s3, s5, s3
	s_load_b32 s2, s[2:3], 0x0
	s_waitcnt lgkmcnt(0)
	s_sub_i32 s8, s2, s12
.LBB108_10:
	s_load_b32 s3, s[0:1], 0x4
	v_mul_u32_u24_e32 v1, 0x8d4, v0
	v_mov_b32_e32 v2, 0
	v_lshlrev_b32_e32 v12, 3, v0
	s_delay_alu instid0(VALU_DEP_3) | instskip(NEXT) | instid1(VALU_DEP_1)
	v_lshrrev_b32_e32 v3, 16, v1
	v_mul_lo_u16 v1, v3, 29
	s_delay_alu instid0(VALU_DEP_1)
	v_sub_nc_u16 v13, v0, v1
	v_mov_b32_e32 v1, 0
	s_waitcnt lgkmcnt(0)
	s_cmp_eq_u32 s3, 1
	s_cselect_b32 s2, -1, 0
	s_cmp_lg_u32 s3, 1
	s_cselect_b32 s3, -1, 0
	s_ashr_i32 s9, s8, 31
	s_delay_alu instid0(SALU_CYCLE_1) | instskip(NEXT) | instid1(SALU_CYCLE_1)
	s_lshl_b64 s[4:5], s[8:9], 3
	s_add_u32 s6, s6, s4
	s_addc_u32 s7, s7, s5
	s_add_u32 s9, s6, 8
	s_addc_u32 s13, s7, 0
	;; [unrolled: 2-line block ×3, first 2 shown]
	s_cmp_eq_u64 s[10:11], 0
	s_load_b64 s[10:11], s[0:1], 0x50
	s_cselect_b32 s5, s13, s5
	s_cselect_b32 s4, s9, s4
	s_load_b64 s[18:19], s[6:7], 0x0
	s_load_b64 s[14:15], s[4:5], 0x0
	s_waitcnt lgkmcnt(0)
	v_cmp_ge_i64_e64 s4, s[18:19], s[14:15]
	s_delay_alu instid0(VALU_DEP_1)
	s_and_b32 vcc_lo, exec_lo, s4
	s_cbranch_vccnz .LBB108_18
; %bb.11:
	v_and_b32_e32 v1, 0xffff, v3
	v_cmp_lt_u32_e32 vcc_lo, 0x348, v0
	v_and_b32_e32 v2, 0xffff, v13
	s_clause 0x1
	s_load_b128 s[4:7], s[0:1], 0x30
	s_load_b64 s[0:1], s[0:1], 0x40
	s_sub_u32 s14, s14, s12
	v_subrev_nc_u32_e32 v3, 29, v1
	v_cndmask_b32_e64 v14, 0, 1, vcc_lo
	v_cmp_gt_u32_e32 vcc_lo, 0x349, v0
	s_subb_u32 s15, s15, 0
	s_sub_u32 s16, s18, s12
	v_lshlrev_b32_e32 v4, 3, v0
	s_subb_u32 s17, s19, 0
	v_cndmask_b32_e32 v1, v3, v1, vcc_lo
	s_mul_hi_u32 s9, s16, 0x1a48
	s_mul_i32 s13, s17, 0x1a48
	s_delay_alu instid0(SALU_CYCLE_1) | instskip(NEXT) | instid1(VALU_DEP_1)
	s_add_i32 s9, s9, s13
	v_cndmask_b32_e64 v3, v2, v1, s2
	v_add_co_u32 v1, s2, s18, v14
	s_delay_alu instid0(VALU_DEP_1) | instskip(SKIP_1) | instid1(VALU_DEP_2)
	v_add_co_ci_u32_e64 v2, null, s19, 0, s2
	s_mul_i32 s2, s16, 0x1a48
	v_sub_co_u32 v1, vcc_lo, v1, s12
	s_delay_alu instid0(VALU_DEP_2)
	v_subrev_co_ci_u32_e32 v2, vcc_lo, 0, v2, vcc_lo
	s_waitcnt lgkmcnt(0)
	s_add_u32 s2, s6, s2
	s_addc_u32 s6, s7, s9
	v_add_co_u32 v4, s2, s2, v4
	v_lshlrev_b64 v[6:7], 2, v[1:2]
	v_mov_b32_e32 v2, 0
	v_add_co_ci_u32_e64 v5, null, s6, 0, s2
	s_delay_alu instid0(VALU_DEP_3) | instskip(NEXT) | instid1(VALU_DEP_4)
	v_add_co_u32 v6, vcc_lo, s4, v6
	v_add_co_ci_u32_e32 v7, vcc_lo, s5, v7, vcc_lo
	s_delay_alu instid0(VALU_DEP_4)
	v_mov_b32_e32 v1, v2
	s_set_inst_prefetch_distance 0x1
	s_branch .LBB108_13
	.p2align	6
.LBB108_12:                             ;   in Loop: Header=BB108_13 Depth=1
	s_or_b32 exec_lo, exec_lo, s2
	s_add_u32 s16, s16, 1
	s_addc_u32 s17, s17, 0
	v_add_co_u32 v6, vcc_lo, v6, 4
	v_cmp_lt_i64_e64 s2, s[16:17], s[14:15]
	v_add_co_ci_u32_e32 v7, vcc_lo, 0, v7, vcc_lo
	s_delay_alu instid0(VALU_DEP_2)
	s_and_b32 vcc_lo, exec_lo, s2
	s_cbranch_vccz .LBB108_18
.LBB108_13:                             ; =>This Inner Loop Header: Depth=1
	v_add_co_u32 v15, s2, v14, s16
	s_delay_alu instid0(VALU_DEP_1) | instskip(SKIP_1) | instid1(VALU_DEP_1)
	v_add_co_ci_u32_e64 v16, null, 0, s17, s2
	s_mov_b32 s2, exec_lo
	v_cmpx_gt_i64_e64 s[14:15], v[15:16]
	s_cbranch_execz .LBB108_12
; %bb.14:                               ;   in Loop: Header=BB108_13 Depth=1
	global_load_b32 v15, v[6:7], off
	s_waitcnt vmcnt(0)
	v_subrev_nc_u32_e32 v17, s12, v15
	s_delay_alu instid0(VALU_DEP_1) | instskip(NEXT) | instid1(VALU_DEP_1)
	v_mad_u64_u32 v[15:16], null, v17, 29, v[3:4]
	v_ashrrev_i32_e32 v16, 31, v15
	s_delay_alu instid0(VALU_DEP_1) | instskip(NEXT) | instid1(VALU_DEP_1)
	v_lshlrev_b64 v[15:16], 3, v[15:16]
	v_add_co_u32 v15, vcc_lo, s0, v15
	s_delay_alu instid0(VALU_DEP_2)
	v_add_co_ci_u32_e32 v16, vcc_lo, s1, v16, vcc_lo
	global_load_b64 v[17:18], v[4:5], off
	global_load_b64 v[15:16], v[15:16], off
	v_add_co_u32 v4, vcc_lo, 0x1a48, v4
	v_add_co_ci_u32_e32 v5, vcc_lo, 0, v5, vcc_lo
	s_waitcnt vmcnt(0)
	v_fmac_f32_e32 v1, v17, v15
	v_fmac_f32_e32 v2, v18, v15
	s_delay_alu instid0(VALU_DEP_2) | instskip(NEXT) | instid1(VALU_DEP_2)
	v_fma_f32 v1, -v18, v16, v1
	v_fmac_f32_e32 v2, v17, v16
	s_branch .LBB108_12
.LBB108_15:
	v_dual_mov_b32 v1, s4 :: v_dual_mov_b32 v2, s5
	flat_load_b32 v10, v[1:2]
	v_cndmask_b32_e64 v1, 0, 1, s6
	v_mov_b32_e32 v11, s5
	s_and_not1_b32 vcc_lo, exec_lo, s6
	s_cbranch_vccnz .LBB108_2
.LBB108_16:
	v_dual_mov_b32 v2, s4 :: v_dual_mov_b32 v3, s5
	flat_load_b32 v11, v[2:3] offset:4
	v_cmp_ne_u32_e32 vcc_lo, 1, v1
	v_mov_b32_e32 v8, s2
	s_cbranch_vccnz .LBB108_3
.LBB108_17:
	v_dual_mov_b32 v2, s2 :: v_dual_mov_b32 v3, s3
	flat_load_b32 v8, v[2:3]
	v_cmp_ne_u32_e32 vcc_lo, 1, v1
	v_mov_b32_e32 v9, s3
	s_cbranch_vccz .LBB108_4
	s_branch .LBB108_5
.LBB108_18:
	s_set_inst_prefetch_distance 0x2
	s_and_b32 vcc_lo, exec_lo, s3
	ds_store_b64 v12, v[1:2]
	s_waitcnt lgkmcnt(0)
	s_barrier
	buffer_gl0_inv
	s_cbranch_vccz .LBB108_30
; %bb.19:
	s_mov_b32 s0, exec_lo
	v_cmpx_gt_u16_e32 13, v13
	s_cbranch_execz .LBB108_21
; %bb.20:
	ds_load_2addr_b64 v[3:6], v12 offset1:16
	s_waitcnt lgkmcnt(0)
	v_dual_add_f32 v3, v5, v3 :: v_dual_add_f32 v4, v6, v4
	ds_store_b64 v12, v[3:4]
.LBB108_21:
	s_or_b32 exec_lo, exec_lo, s0
	s_delay_alu instid0(SALU_CYCLE_1)
	s_mov_b32 s0, exec_lo
	s_waitcnt lgkmcnt(0)
	s_barrier
	buffer_gl0_inv
	v_cmpx_gt_u16_e32 8, v13
	s_cbranch_execz .LBB108_23
; %bb.22:
	ds_load_2addr_b64 v[3:6], v12 offset1:8
	s_waitcnt lgkmcnt(0)
	v_dual_add_f32 v3, v5, v3 :: v_dual_add_f32 v4, v6, v4
	ds_store_b64 v12, v[3:4]
.LBB108_23:
	s_or_b32 exec_lo, exec_lo, s0
	s_delay_alu instid0(SALU_CYCLE_1)
	s_mov_b32 s0, exec_lo
	s_waitcnt lgkmcnt(0)
	s_barrier
	buffer_gl0_inv
	;; [unrolled: 14-line block ×3, first 2 shown]
	v_cmpx_gt_u16_e32 2, v13
	s_cbranch_execz .LBB108_27
; %bb.26:
	ds_load_2addr_b64 v[3:6], v12 offset1:2
	s_waitcnt lgkmcnt(0)
	v_dual_add_f32 v3, v5, v3 :: v_dual_add_f32 v4, v6, v4
	ds_store_b64 v12, v[3:4]
.LBB108_27:
	s_or_b32 exec_lo, exec_lo, s0
	s_mov_b32 s1, 0
	s_mov_b32 s0, 0
	s_mov_b32 s2, exec_lo
	s_waitcnt lgkmcnt(0)
	s_barrier
	buffer_gl0_inv
                                        ; implicit-def: $vgpr4
                                        ; implicit-def: $vgpr3
	v_cmpx_gt_u32_e32 29, v0
	s_xor_b32 s2, exec_lo, s2
; %bb.28:
	v_mul_u32_u24_e32 v4, 29, v0
	v_mad_u32_u24 v3, v0, 29, 1
	s_mov_b32 s0, exec_lo
	s_delay_alu instid0(VALU_DEP_2)
	v_lshlrev_b32_e32 v4, 3, v4
; %bb.29:
	s_or_b32 exec_lo, exec_lo, s2
	s_delay_alu instid0(SALU_CYCLE_1)
	s_and_b32 vcc_lo, exec_lo, s1
	s_cbranch_vccnz .LBB108_31
	s_branch .LBB108_42
.LBB108_30:
	s_mov_b32 s0, 0
                                        ; implicit-def: $vgpr4
                                        ; implicit-def: $vgpr3
	s_cbranch_execz .LBB108_42
.LBB108_31:
	s_mov_b32 s1, exec_lo
	v_cmpx_gt_u32_e32 0x179, v0
	s_cbranch_execz .LBB108_33
; %bb.32:
	ds_load_b64 v[3:4], v12 offset:3712
	ds_load_b64 v[5:6], v12
	s_waitcnt lgkmcnt(0)
	v_dual_add_f32 v3, v3, v5 :: v_dual_add_f32 v4, v4, v6
	ds_store_b64 v12, v[3:4]
.LBB108_33:
	s_or_b32 exec_lo, exec_lo, s1
	s_delay_alu instid0(SALU_CYCLE_1)
	s_mov_b32 s1, exec_lo
	s_waitcnt lgkmcnt(0)
	s_barrier
	buffer_gl0_inv
	v_cmpx_gt_u32_e32 0xe8, v0
	s_cbranch_execz .LBB108_35
; %bb.34:
	ds_load_2addr_b64 v[3:6], v12 offset1:232
	s_waitcnt lgkmcnt(0)
	v_dual_add_f32 v3, v5, v3 :: v_dual_add_f32 v4, v6, v4
	ds_store_b64 v12, v[3:4]
.LBB108_35:
	s_or_b32 exec_lo, exec_lo, s1
	s_delay_alu instid0(SALU_CYCLE_1)
	s_mov_b32 s1, exec_lo
	s_waitcnt lgkmcnt(0)
	s_barrier
	buffer_gl0_inv
	v_cmpx_gt_u32_e32 0x74, v0
	s_cbranch_execz .LBB108_37
; %bb.36:
	ds_load_2addr_b64 v[3:6], v12 offset1:116
	s_waitcnt lgkmcnt(0)
	v_dual_add_f32 v3, v5, v3 :: v_dual_add_f32 v4, v6, v4
	ds_store_b64 v12, v[3:4]
.LBB108_37:
	;; [unrolled: 14-line block ×3, first 2 shown]
	s_or_b32 exec_lo, exec_lo, s1
	s_delay_alu instid0(SALU_CYCLE_1)
	s_mov_b32 s1, exec_lo
	s_waitcnt lgkmcnt(0)
	buffer_gl0_inv
                                        ; implicit-def: $vgpr3
	v_cmpx_gt_u32_e32 29, v0
; %bb.40:
	v_add_nc_u32_e32 v3, 29, v0
                                        ; kill: def $vgpr1 killed $sgpr0 killed $exec
	s_or_b32 s0, s0, exec_lo
                                        ; implicit-def: $vgpr2
; %bb.41:
	s_or_b32 exec_lo, exec_lo, s1
	v_mov_b32_e32 v4, v12
.LBB108_42:
	s_and_saveexec_b32 s1, s0
	s_cbranch_execnz .LBB108_45
; %bb.43:
	s_or_b32 exec_lo, exec_lo, s1
	v_cmp_gt_u32_e32 vcc_lo, 29, v0
	s_and_b32 exec_lo, exec_lo, vcc_lo
	s_cbranch_execnz .LBB108_46
.LBB108_44:
	s_nop 0
	s_sendmsg sendmsg(MSG_DEALLOC_VGPRS)
	s_endpgm
.LBB108_45:
	v_lshlrev_b32_e32 v3, 3, v3
	ds_load_2addr_b32 v[1:2], v4 offset1:1
	ds_load_b64 v[3:4], v3
	s_waitcnt lgkmcnt(0)
	v_dual_add_f32 v2, v4, v2 :: v_dual_add_f32 v1, v3, v1
	s_or_b32 exec_lo, exec_lo, s1
	v_cmp_gt_u32_e32 vcc_lo, 29, v0
	s_and_b32 exec_lo, exec_lo, vcc_lo
	s_cbranch_execz .LBB108_44
.LBB108_46:
	v_mul_f32_e64 v3, v2, -v11
	v_mul_f32_e32 v4, v2, v10
	v_cmp_eq_f32_e32 vcc_lo, 0, v8
	v_cmp_eq_f32_e64 s0, 0, v9
	s_delay_alu instid0(VALU_DEP_4) | instskip(NEXT) | instid1(VALU_DEP_4)
	v_fmac_f32_e32 v3, v10, v1
	v_fmac_f32_e32 v4, v11, v1
	s_delay_alu instid0(VALU_DEP_3) | instskip(NEXT) | instid1(SALU_CYCLE_1)
	s_and_b32 s0, vcc_lo, s0
	s_and_saveexec_b32 s1, s0
	s_delay_alu instid0(SALU_CYCLE_1)
	s_xor_b32 s0, exec_lo, s1
	s_cbranch_execz .LBB108_48
; %bb.47:
	v_mad_u64_u32 v[1:2], null, s8, 29, v[0:1]
	v_mov_b32_e32 v2, 0
                                        ; implicit-def: $vgpr8
                                        ; implicit-def: $vgpr9
	s_delay_alu instid0(VALU_DEP_1) | instskip(NEXT) | instid1(VALU_DEP_1)
	v_lshlrev_b64 v[0:1], 3, v[1:2]
	v_add_co_u32 v0, vcc_lo, s10, v0
	s_delay_alu instid0(VALU_DEP_2)
	v_add_co_ci_u32_e32 v1, vcc_lo, s11, v1, vcc_lo
	global_store_b64 v[0:1], v[3:4], off
                                        ; implicit-def: $vgpr0
                                        ; implicit-def: $vgpr3
.LBB108_48:
	s_and_not1_saveexec_b32 s0, s0
	s_cbranch_execz .LBB108_44
; %bb.49:
	v_mad_u64_u32 v[1:2], null, s8, 29, v[0:1]
	v_mov_b32_e32 v2, 0
	s_delay_alu instid0(VALU_DEP_1) | instskip(NEXT) | instid1(VALU_DEP_1)
	v_lshlrev_b64 v[0:1], 3, v[1:2]
	v_add_co_u32 v0, vcc_lo, s10, v0
	s_delay_alu instid0(VALU_DEP_2) | instskip(SKIP_4) | instid1(VALU_DEP_2)
	v_add_co_ci_u32_e32 v1, vcc_lo, s11, v1, vcc_lo
	global_load_b64 v[5:6], v[0:1], off
	s_waitcnt vmcnt(0)
	v_fmac_f32_e32 v3, v8, v5
	v_fmac_f32_e32 v4, v9, v5
	v_fma_f32 v3, -v9, v6, v3
	s_delay_alu instid0(VALU_DEP_2)
	v_fmac_f32_e32 v4, v8, v6
	global_store_b64 v[0:1], v[3:4], off
	s_nop 0
	s_sendmsg sendmsg(MSG_DEALLOC_VGPRS)
	s_endpgm
	.section	.rodata,"a",@progbits
	.p2align	6, 0x0
	.amdhsa_kernel _ZN9rocsparseL20bsrxmvn_17_32_kernelILj29E21rocsparse_complex_numIfEliS2_S2_S2_EEvT2_20rocsparse_direction_NS_24const_host_device_scalarIT0_EES3_PKS3_PKT1_SC_S9_PKT3_PKT4_S7_PT5_21rocsparse_index_base_b
		.amdhsa_group_segment_fixed_size 6728
		.amdhsa_private_segment_fixed_size 0
		.amdhsa_kernarg_size 96
		.amdhsa_user_sgpr_count 15
		.amdhsa_user_sgpr_dispatch_ptr 0
		.amdhsa_user_sgpr_queue_ptr 0
		.amdhsa_user_sgpr_kernarg_segment_ptr 1
		.amdhsa_user_sgpr_dispatch_id 0
		.amdhsa_user_sgpr_private_segment_size 0
		.amdhsa_wavefront_size32 1
		.amdhsa_uses_dynamic_stack 0
		.amdhsa_enable_private_segment 0
		.amdhsa_system_sgpr_workgroup_id_x 1
		.amdhsa_system_sgpr_workgroup_id_y 0
		.amdhsa_system_sgpr_workgroup_id_z 0
		.amdhsa_system_sgpr_workgroup_info 0
		.amdhsa_system_vgpr_workitem_id 0
		.amdhsa_next_free_vgpr 19
		.amdhsa_next_free_sgpr 20
		.amdhsa_reserve_vcc 1
		.amdhsa_float_round_mode_32 0
		.amdhsa_float_round_mode_16_64 0
		.amdhsa_float_denorm_mode_32 3
		.amdhsa_float_denorm_mode_16_64 3
		.amdhsa_dx10_clamp 1
		.amdhsa_ieee_mode 1
		.amdhsa_fp16_overflow 0
		.amdhsa_workgroup_processor_mode 1
		.amdhsa_memory_ordered 1
		.amdhsa_forward_progress 0
		.amdhsa_shared_vgpr_count 0
		.amdhsa_exception_fp_ieee_invalid_op 0
		.amdhsa_exception_fp_denorm_src 0
		.amdhsa_exception_fp_ieee_div_zero 0
		.amdhsa_exception_fp_ieee_overflow 0
		.amdhsa_exception_fp_ieee_underflow 0
		.amdhsa_exception_fp_ieee_inexact 0
		.amdhsa_exception_int_div_zero 0
	.end_amdhsa_kernel
	.section	.text._ZN9rocsparseL20bsrxmvn_17_32_kernelILj29E21rocsparse_complex_numIfEliS2_S2_S2_EEvT2_20rocsparse_direction_NS_24const_host_device_scalarIT0_EES3_PKS3_PKT1_SC_S9_PKT3_PKT4_S7_PT5_21rocsparse_index_base_b,"axG",@progbits,_ZN9rocsparseL20bsrxmvn_17_32_kernelILj29E21rocsparse_complex_numIfEliS2_S2_S2_EEvT2_20rocsparse_direction_NS_24const_host_device_scalarIT0_EES3_PKS3_PKT1_SC_S9_PKT3_PKT4_S7_PT5_21rocsparse_index_base_b,comdat
.Lfunc_end108:
	.size	_ZN9rocsparseL20bsrxmvn_17_32_kernelILj29E21rocsparse_complex_numIfEliS2_S2_S2_EEvT2_20rocsparse_direction_NS_24const_host_device_scalarIT0_EES3_PKS3_PKT1_SC_S9_PKT3_PKT4_S7_PT5_21rocsparse_index_base_b, .Lfunc_end108-_ZN9rocsparseL20bsrxmvn_17_32_kernelILj29E21rocsparse_complex_numIfEliS2_S2_S2_EEvT2_20rocsparse_direction_NS_24const_host_device_scalarIT0_EES3_PKS3_PKT1_SC_S9_PKT3_PKT4_S7_PT5_21rocsparse_index_base_b
                                        ; -- End function
	.section	.AMDGPU.csdata,"",@progbits
; Kernel info:
; codeLenInByte = 1924
; NumSgprs: 22
; NumVgprs: 19
; ScratchSize: 0
; MemoryBound: 0
; FloatMode: 240
; IeeeMode: 1
; LDSByteSize: 6728 bytes/workgroup (compile time only)
; SGPRBlocks: 2
; VGPRBlocks: 2
; NumSGPRsForWavesPerEU: 22
; NumVGPRsForWavesPerEU: 19
; Occupancy: 14
; WaveLimiterHint : 1
; COMPUTE_PGM_RSRC2:SCRATCH_EN: 0
; COMPUTE_PGM_RSRC2:USER_SGPR: 15
; COMPUTE_PGM_RSRC2:TRAP_HANDLER: 0
; COMPUTE_PGM_RSRC2:TGID_X_EN: 1
; COMPUTE_PGM_RSRC2:TGID_Y_EN: 0
; COMPUTE_PGM_RSRC2:TGID_Z_EN: 0
; COMPUTE_PGM_RSRC2:TIDIG_COMP_CNT: 0
	.section	.text._ZN9rocsparseL20bsrxmvn_17_32_kernelILj30E21rocsparse_complex_numIfEliS2_S2_S2_EEvT2_20rocsparse_direction_NS_24const_host_device_scalarIT0_EES3_PKS3_PKT1_SC_S9_PKT3_PKT4_S7_PT5_21rocsparse_index_base_b,"axG",@progbits,_ZN9rocsparseL20bsrxmvn_17_32_kernelILj30E21rocsparse_complex_numIfEliS2_S2_S2_EEvT2_20rocsparse_direction_NS_24const_host_device_scalarIT0_EES3_PKS3_PKT1_SC_S9_PKT3_PKT4_S7_PT5_21rocsparse_index_base_b,comdat
	.globl	_ZN9rocsparseL20bsrxmvn_17_32_kernelILj30E21rocsparse_complex_numIfEliS2_S2_S2_EEvT2_20rocsparse_direction_NS_24const_host_device_scalarIT0_EES3_PKS3_PKT1_SC_S9_PKT3_PKT4_S7_PT5_21rocsparse_index_base_b ; -- Begin function _ZN9rocsparseL20bsrxmvn_17_32_kernelILj30E21rocsparse_complex_numIfEliS2_S2_S2_EEvT2_20rocsparse_direction_NS_24const_host_device_scalarIT0_EES3_PKS3_PKT1_SC_S9_PKT3_PKT4_S7_PT5_21rocsparse_index_base_b
	.p2align	8
	.type	_ZN9rocsparseL20bsrxmvn_17_32_kernelILj30E21rocsparse_complex_numIfEliS2_S2_S2_EEvT2_20rocsparse_direction_NS_24const_host_device_scalarIT0_EES3_PKS3_PKT1_SC_S9_PKT3_PKT4_S7_PT5_21rocsparse_index_base_b,@function
_ZN9rocsparseL20bsrxmvn_17_32_kernelILj30E21rocsparse_complex_numIfEliS2_S2_S2_EEvT2_20rocsparse_direction_NS_24const_host_device_scalarIT0_EES3_PKS3_PKT1_SC_S9_PKT3_PKT4_S7_PT5_21rocsparse_index_base_b: ; @_ZN9rocsparseL20bsrxmvn_17_32_kernelILj30E21rocsparse_complex_numIfEliS2_S2_S2_EEvT2_20rocsparse_direction_NS_24const_host_device_scalarIT0_EES3_PKS3_PKT1_SC_S9_PKT3_PKT4_S7_PT5_21rocsparse_index_base_b
; %bb.0:
	s_clause 0x2
	s_load_b64 s[12:13], s[0:1], 0x58
	s_load_b64 s[4:5], s[0:1], 0x8
	s_load_b64 s[2:3], s[0:1], 0x48
	s_mov_b32 s8, s15
	s_waitcnt lgkmcnt(0)
	s_bitcmp1_b32 s13, 0
	v_mov_b32_e32 v10, s4
	s_cselect_b32 s6, -1, 0
	s_delay_alu instid0(SALU_CYCLE_1)
	s_and_b32 vcc_lo, exec_lo, s6
	s_xor_b32 s6, s6, -1
	s_cbranch_vccz .LBB109_15
; %bb.1:
	v_cndmask_b32_e64 v1, 0, 1, s6
	v_mov_b32_e32 v11, s5
	s_and_not1_b32 vcc_lo, exec_lo, s6
	s_cbranch_vccz .LBB109_16
.LBB109_2:
	s_delay_alu instid0(VALU_DEP_2)
	v_cmp_ne_u32_e32 vcc_lo, 1, v1
	v_mov_b32_e32 v8, s2
	s_cbranch_vccz .LBB109_17
.LBB109_3:
	v_cmp_ne_u32_e32 vcc_lo, 1, v1
	v_mov_b32_e32 v9, s3
	s_cbranch_vccnz .LBB109_5
.LBB109_4:
	v_dual_mov_b32 v1, s2 :: v_dual_mov_b32 v2, s3
	flat_load_b32 v9, v[1:2] offset:4
.LBB109_5:
	s_waitcnt vmcnt(0) lgkmcnt(0)
	v_cmp_eq_f32_e32 vcc_lo, 0, v10
	v_cmp_eq_f32_e64 s2, 0, v11
	s_delay_alu instid0(VALU_DEP_1)
	s_and_b32 s4, vcc_lo, s2
	s_mov_b32 s2, -1
	s_and_saveexec_b32 s3, s4
; %bb.6:
	v_cmp_neq_f32_e32 vcc_lo, 1.0, v8
	v_cmp_neq_f32_e64 s2, 0, v9
	s_delay_alu instid0(VALU_DEP_1) | instskip(NEXT) | instid1(SALU_CYCLE_1)
	s_or_b32 s2, vcc_lo, s2
	s_or_not1_b32 s2, s2, exec_lo
; %bb.7:
	s_or_b32 exec_lo, exec_lo, s3
	s_and_saveexec_b32 s3, s2
	s_cbranch_execz .LBB109_44
; %bb.8:
	s_clause 0x1
	s_load_b128 s[4:7], s[0:1], 0x18
	s_load_b64 s[10:11], s[0:1], 0x28
	s_waitcnt lgkmcnt(0)
	s_cmp_eq_u64 s[4:5], 0
	s_cbranch_scc1 .LBB109_10
; %bb.9:
	s_ashr_i32 s9, s8, 31
	s_delay_alu instid0(SALU_CYCLE_1) | instskip(NEXT) | instid1(SALU_CYCLE_1)
	s_lshl_b64 s[2:3], s[8:9], 2
	s_add_u32 s2, s4, s2
	s_addc_u32 s3, s5, s3
	s_load_b32 s2, s[2:3], 0x0
	s_waitcnt lgkmcnt(0)
	s_sub_i32 s8, s2, s12
.LBB109_10:
	s_load_b32 s3, s[0:1], 0x4
	v_mul_u32_u24_e32 v1, 0x889, v0
	v_mov_b32_e32 v2, 0
	v_lshlrev_b32_e32 v12, 3, v0
	s_delay_alu instid0(VALU_DEP_3) | instskip(NEXT) | instid1(VALU_DEP_1)
	v_lshrrev_b32_e32 v3, 16, v1
	v_mul_lo_u16 v1, v3, 30
	s_delay_alu instid0(VALU_DEP_1)
	v_sub_nc_u16 v13, v0, v1
	v_mov_b32_e32 v1, 0
	s_waitcnt lgkmcnt(0)
	s_cmp_eq_u32 s3, 1
	s_cselect_b32 s2, -1, 0
	s_cmp_lg_u32 s3, 1
	s_cselect_b32 s3, -1, 0
	s_ashr_i32 s9, s8, 31
	s_delay_alu instid0(SALU_CYCLE_1) | instskip(NEXT) | instid1(SALU_CYCLE_1)
	s_lshl_b64 s[4:5], s[8:9], 3
	s_add_u32 s6, s6, s4
	s_addc_u32 s7, s7, s5
	s_add_u32 s9, s6, 8
	s_addc_u32 s13, s7, 0
	;; [unrolled: 2-line block ×3, first 2 shown]
	s_cmp_eq_u64 s[10:11], 0
	s_load_b64 s[10:11], s[0:1], 0x50
	s_cselect_b32 s5, s13, s5
	s_cselect_b32 s4, s9, s4
	s_load_b64 s[18:19], s[6:7], 0x0
	s_load_b64 s[14:15], s[4:5], 0x0
	s_waitcnt lgkmcnt(0)
	v_cmp_ge_i64_e64 s4, s[18:19], s[14:15]
	s_delay_alu instid0(VALU_DEP_1)
	s_and_b32 vcc_lo, exec_lo, s4
	s_cbranch_vccnz .LBB109_18
; %bb.11:
	v_and_b32_e32 v1, 0xffff, v3
	v_cmp_lt_u32_e32 vcc_lo, 0x383, v0
	v_and_b32_e32 v2, 0xffff, v13
	s_clause 0x1
	s_load_b128 s[4:7], s[0:1], 0x30
	s_load_b64 s[0:1], s[0:1], 0x40
	s_sub_u32 s14, s14, s12
	v_subrev_nc_u32_e32 v3, 30, v1
	v_cndmask_b32_e64 v14, 0, 1, vcc_lo
	v_cmp_gt_u32_e32 vcc_lo, 0x384, v0
	s_subb_u32 s15, s15, 0
	s_sub_u32 s16, s18, s12
	v_lshlrev_b32_e32 v4, 3, v0
	s_subb_u32 s17, s19, 0
	v_cndmask_b32_e32 v1, v3, v1, vcc_lo
	s_mul_hi_u32 s9, s16, 0x1c20
	s_mul_i32 s13, s17, 0x1c20
	s_delay_alu instid0(SALU_CYCLE_1) | instskip(NEXT) | instid1(VALU_DEP_1)
	s_add_i32 s9, s9, s13
	v_cndmask_b32_e64 v3, v2, v1, s2
	v_add_co_u32 v1, s2, s18, v14
	s_delay_alu instid0(VALU_DEP_1) | instskip(SKIP_1) | instid1(VALU_DEP_2)
	v_add_co_ci_u32_e64 v2, null, s19, 0, s2
	s_mul_i32 s2, s16, 0x1c20
	v_sub_co_u32 v1, vcc_lo, v1, s12
	s_delay_alu instid0(VALU_DEP_2)
	v_subrev_co_ci_u32_e32 v2, vcc_lo, 0, v2, vcc_lo
	s_waitcnt lgkmcnt(0)
	s_add_u32 s2, s6, s2
	s_addc_u32 s6, s7, s9
	v_add_co_u32 v4, s2, s2, v4
	v_lshlrev_b64 v[6:7], 2, v[1:2]
	v_mov_b32_e32 v2, 0
	v_add_co_ci_u32_e64 v5, null, s6, 0, s2
	s_delay_alu instid0(VALU_DEP_3) | instskip(NEXT) | instid1(VALU_DEP_4)
	v_add_co_u32 v6, vcc_lo, s4, v6
	v_add_co_ci_u32_e32 v7, vcc_lo, s5, v7, vcc_lo
	s_delay_alu instid0(VALU_DEP_4)
	v_mov_b32_e32 v1, v2
	s_set_inst_prefetch_distance 0x1
	s_branch .LBB109_13
	.p2align	6
.LBB109_12:                             ;   in Loop: Header=BB109_13 Depth=1
	s_or_b32 exec_lo, exec_lo, s2
	s_add_u32 s16, s16, 1
	s_addc_u32 s17, s17, 0
	v_add_co_u32 v6, vcc_lo, v6, 4
	v_cmp_lt_i64_e64 s2, s[16:17], s[14:15]
	v_add_co_ci_u32_e32 v7, vcc_lo, 0, v7, vcc_lo
	s_delay_alu instid0(VALU_DEP_2)
	s_and_b32 vcc_lo, exec_lo, s2
	s_cbranch_vccz .LBB109_18
.LBB109_13:                             ; =>This Inner Loop Header: Depth=1
	v_add_co_u32 v15, s2, v14, s16
	s_delay_alu instid0(VALU_DEP_1) | instskip(SKIP_1) | instid1(VALU_DEP_1)
	v_add_co_ci_u32_e64 v16, null, 0, s17, s2
	s_mov_b32 s2, exec_lo
	v_cmpx_gt_i64_e64 s[14:15], v[15:16]
	s_cbranch_execz .LBB109_12
; %bb.14:                               ;   in Loop: Header=BB109_13 Depth=1
	global_load_b32 v15, v[6:7], off
	s_waitcnt vmcnt(0)
	v_subrev_nc_u32_e32 v17, s12, v15
	s_delay_alu instid0(VALU_DEP_1) | instskip(NEXT) | instid1(VALU_DEP_1)
	v_mad_u64_u32 v[15:16], null, v17, 30, v[3:4]
	v_ashrrev_i32_e32 v16, 31, v15
	s_delay_alu instid0(VALU_DEP_1) | instskip(NEXT) | instid1(VALU_DEP_1)
	v_lshlrev_b64 v[15:16], 3, v[15:16]
	v_add_co_u32 v15, vcc_lo, s0, v15
	s_delay_alu instid0(VALU_DEP_2)
	v_add_co_ci_u32_e32 v16, vcc_lo, s1, v16, vcc_lo
	global_load_b64 v[17:18], v[4:5], off
	global_load_b64 v[15:16], v[15:16], off
	v_add_co_u32 v4, vcc_lo, 0x1c20, v4
	v_add_co_ci_u32_e32 v5, vcc_lo, 0, v5, vcc_lo
	s_waitcnt vmcnt(0)
	v_fmac_f32_e32 v1, v17, v15
	v_fmac_f32_e32 v2, v18, v15
	s_delay_alu instid0(VALU_DEP_2) | instskip(NEXT) | instid1(VALU_DEP_2)
	v_fma_f32 v1, -v18, v16, v1
	v_fmac_f32_e32 v2, v17, v16
	s_branch .LBB109_12
.LBB109_15:
	v_dual_mov_b32 v1, s4 :: v_dual_mov_b32 v2, s5
	flat_load_b32 v10, v[1:2]
	v_cndmask_b32_e64 v1, 0, 1, s6
	v_mov_b32_e32 v11, s5
	s_and_not1_b32 vcc_lo, exec_lo, s6
	s_cbranch_vccnz .LBB109_2
.LBB109_16:
	v_dual_mov_b32 v2, s4 :: v_dual_mov_b32 v3, s5
	flat_load_b32 v11, v[2:3] offset:4
	v_cmp_ne_u32_e32 vcc_lo, 1, v1
	v_mov_b32_e32 v8, s2
	s_cbranch_vccnz .LBB109_3
.LBB109_17:
	v_dual_mov_b32 v2, s2 :: v_dual_mov_b32 v3, s3
	flat_load_b32 v8, v[2:3]
	v_cmp_ne_u32_e32 vcc_lo, 1, v1
	v_mov_b32_e32 v9, s3
	s_cbranch_vccz .LBB109_4
	s_branch .LBB109_5
.LBB109_18:
	s_set_inst_prefetch_distance 0x2
	s_and_b32 vcc_lo, exec_lo, s3
	ds_store_b64 v12, v[1:2]
	s_waitcnt lgkmcnt(0)
	s_barrier
	buffer_gl0_inv
	s_cbranch_vccz .LBB109_30
; %bb.19:
	s_mov_b32 s0, exec_lo
	v_cmpx_gt_u16_e32 14, v13
	s_cbranch_execz .LBB109_21
; %bb.20:
	ds_load_2addr_b64 v[3:6], v12 offset1:16
	s_waitcnt lgkmcnt(0)
	v_dual_add_f32 v3, v5, v3 :: v_dual_add_f32 v4, v6, v4
	ds_store_b64 v12, v[3:4]
.LBB109_21:
	s_or_b32 exec_lo, exec_lo, s0
	s_delay_alu instid0(SALU_CYCLE_1)
	s_mov_b32 s0, exec_lo
	s_waitcnt lgkmcnt(0)
	s_barrier
	buffer_gl0_inv
	v_cmpx_gt_u16_e32 8, v13
	s_cbranch_execz .LBB109_23
; %bb.22:
	ds_load_2addr_b64 v[3:6], v12 offset1:8
	s_waitcnt lgkmcnt(0)
	v_dual_add_f32 v3, v5, v3 :: v_dual_add_f32 v4, v6, v4
	ds_store_b64 v12, v[3:4]
.LBB109_23:
	s_or_b32 exec_lo, exec_lo, s0
	s_delay_alu instid0(SALU_CYCLE_1)
	s_mov_b32 s0, exec_lo
	s_waitcnt lgkmcnt(0)
	s_barrier
	buffer_gl0_inv
	;; [unrolled: 14-line block ×3, first 2 shown]
	v_cmpx_gt_u16_e32 2, v13
	s_cbranch_execz .LBB109_27
; %bb.26:
	ds_load_2addr_b64 v[3:6], v12 offset1:2
	s_waitcnt lgkmcnt(0)
	v_dual_add_f32 v3, v5, v3 :: v_dual_add_f32 v4, v6, v4
	ds_store_b64 v12, v[3:4]
.LBB109_27:
	s_or_b32 exec_lo, exec_lo, s0
	s_mov_b32 s1, 0
	s_mov_b32 s0, 0
	s_mov_b32 s2, exec_lo
	s_waitcnt lgkmcnt(0)
	s_barrier
	buffer_gl0_inv
                                        ; implicit-def: $vgpr4
                                        ; implicit-def: $vgpr3
	v_cmpx_gt_u32_e32 30, v0
	s_xor_b32 s2, exec_lo, s2
; %bb.28:
	v_mul_u32_u24_e32 v3, 30, v0
	s_mov_b32 s0, exec_lo
	s_delay_alu instid0(VALU_DEP_1)
	v_lshlrev_b32_e32 v4, 3, v3
	v_or_b32_e32 v3, 1, v3
; %bb.29:
	s_or_b32 exec_lo, exec_lo, s2
	s_delay_alu instid0(SALU_CYCLE_1)
	s_and_b32 vcc_lo, exec_lo, s1
	s_cbranch_vccnz .LBB109_31
	s_branch .LBB109_42
.LBB109_30:
	s_mov_b32 s0, 0
                                        ; implicit-def: $vgpr4
                                        ; implicit-def: $vgpr3
	s_cbranch_execz .LBB109_42
.LBB109_31:
	s_mov_b32 s1, exec_lo
	v_cmpx_gt_u32_e32 0x1a4, v0
	s_cbranch_execz .LBB109_33
; %bb.32:
	ds_load_b64 v[3:4], v12 offset:3840
	ds_load_b64 v[5:6], v12
	s_waitcnt lgkmcnt(0)
	v_dual_add_f32 v3, v3, v5 :: v_dual_add_f32 v4, v4, v6
	ds_store_b64 v12, v[3:4]
.LBB109_33:
	s_or_b32 exec_lo, exec_lo, s1
	s_delay_alu instid0(SALU_CYCLE_1)
	s_mov_b32 s1, exec_lo
	s_waitcnt lgkmcnt(0)
	s_barrier
	buffer_gl0_inv
	v_cmpx_gt_u32_e32 0xf0, v0
	s_cbranch_execz .LBB109_35
; %bb.34:
	ds_load_2addr_b64 v[3:6], v12 offset1:240
	s_waitcnt lgkmcnt(0)
	v_dual_add_f32 v3, v5, v3 :: v_dual_add_f32 v4, v6, v4
	ds_store_b64 v12, v[3:4]
.LBB109_35:
	s_or_b32 exec_lo, exec_lo, s1
	s_delay_alu instid0(SALU_CYCLE_1)
	s_mov_b32 s1, exec_lo
	s_waitcnt lgkmcnt(0)
	s_barrier
	buffer_gl0_inv
	v_cmpx_gt_u32_e32 0x78, v0
	s_cbranch_execz .LBB109_37
; %bb.36:
	ds_load_2addr_b64 v[3:6], v12 offset1:120
	s_waitcnt lgkmcnt(0)
	v_dual_add_f32 v3, v5, v3 :: v_dual_add_f32 v4, v6, v4
	ds_store_b64 v12, v[3:4]
.LBB109_37:
	;; [unrolled: 14-line block ×3, first 2 shown]
	s_or_b32 exec_lo, exec_lo, s1
	s_delay_alu instid0(SALU_CYCLE_1)
	s_mov_b32 s1, exec_lo
	s_waitcnt lgkmcnt(0)
	buffer_gl0_inv
                                        ; implicit-def: $vgpr3
	v_cmpx_gt_u32_e32 30, v0
; %bb.40:
	v_add_nc_u32_e32 v3, 30, v0
                                        ; kill: def $vgpr1 killed $sgpr0 killed $exec
	s_or_b32 s0, s0, exec_lo
                                        ; implicit-def: $vgpr2
; %bb.41:
	s_or_b32 exec_lo, exec_lo, s1
	v_mov_b32_e32 v4, v12
.LBB109_42:
	s_and_saveexec_b32 s1, s0
	s_cbranch_execnz .LBB109_45
; %bb.43:
	s_or_b32 exec_lo, exec_lo, s1
	v_cmp_gt_u32_e32 vcc_lo, 30, v0
	s_and_b32 exec_lo, exec_lo, vcc_lo
	s_cbranch_execnz .LBB109_46
.LBB109_44:
	s_nop 0
	s_sendmsg sendmsg(MSG_DEALLOC_VGPRS)
	s_endpgm
.LBB109_45:
	v_lshlrev_b32_e32 v3, 3, v3
	ds_load_2addr_b32 v[1:2], v4 offset1:1
	ds_load_b64 v[3:4], v3
	s_waitcnt lgkmcnt(0)
	v_dual_add_f32 v2, v4, v2 :: v_dual_add_f32 v1, v3, v1
	s_or_b32 exec_lo, exec_lo, s1
	v_cmp_gt_u32_e32 vcc_lo, 30, v0
	s_and_b32 exec_lo, exec_lo, vcc_lo
	s_cbranch_execz .LBB109_44
.LBB109_46:
	v_mul_f32_e64 v3, v2, -v11
	v_mul_f32_e32 v4, v2, v10
	v_cmp_eq_f32_e32 vcc_lo, 0, v8
	v_cmp_eq_f32_e64 s0, 0, v9
	s_delay_alu instid0(VALU_DEP_4) | instskip(NEXT) | instid1(VALU_DEP_4)
	v_fmac_f32_e32 v3, v10, v1
	v_fmac_f32_e32 v4, v11, v1
	s_delay_alu instid0(VALU_DEP_3) | instskip(NEXT) | instid1(SALU_CYCLE_1)
	s_and_b32 s0, vcc_lo, s0
	s_and_saveexec_b32 s1, s0
	s_delay_alu instid0(SALU_CYCLE_1)
	s_xor_b32 s0, exec_lo, s1
	s_cbranch_execz .LBB109_48
; %bb.47:
	v_mad_u64_u32 v[1:2], null, s8, 30, v[0:1]
	v_mov_b32_e32 v2, 0
                                        ; implicit-def: $vgpr8
                                        ; implicit-def: $vgpr9
	s_delay_alu instid0(VALU_DEP_1) | instskip(NEXT) | instid1(VALU_DEP_1)
	v_lshlrev_b64 v[0:1], 3, v[1:2]
	v_add_co_u32 v0, vcc_lo, s10, v0
	s_delay_alu instid0(VALU_DEP_2)
	v_add_co_ci_u32_e32 v1, vcc_lo, s11, v1, vcc_lo
	global_store_b64 v[0:1], v[3:4], off
                                        ; implicit-def: $vgpr0
                                        ; implicit-def: $vgpr3
.LBB109_48:
	s_and_not1_saveexec_b32 s0, s0
	s_cbranch_execz .LBB109_44
; %bb.49:
	v_mad_u64_u32 v[1:2], null, s8, 30, v[0:1]
	v_mov_b32_e32 v2, 0
	s_delay_alu instid0(VALU_DEP_1) | instskip(NEXT) | instid1(VALU_DEP_1)
	v_lshlrev_b64 v[0:1], 3, v[1:2]
	v_add_co_u32 v0, vcc_lo, s10, v0
	s_delay_alu instid0(VALU_DEP_2) | instskip(SKIP_4) | instid1(VALU_DEP_2)
	v_add_co_ci_u32_e32 v1, vcc_lo, s11, v1, vcc_lo
	global_load_b64 v[5:6], v[0:1], off
	s_waitcnt vmcnt(0)
	v_fmac_f32_e32 v3, v8, v5
	v_fmac_f32_e32 v4, v9, v5
	v_fma_f32 v3, -v9, v6, v3
	s_delay_alu instid0(VALU_DEP_2)
	v_fmac_f32_e32 v4, v8, v6
	global_store_b64 v[0:1], v[3:4], off
	s_nop 0
	s_sendmsg sendmsg(MSG_DEALLOC_VGPRS)
	s_endpgm
	.section	.rodata,"a",@progbits
	.p2align	6, 0x0
	.amdhsa_kernel _ZN9rocsparseL20bsrxmvn_17_32_kernelILj30E21rocsparse_complex_numIfEliS2_S2_S2_EEvT2_20rocsparse_direction_NS_24const_host_device_scalarIT0_EES3_PKS3_PKT1_SC_S9_PKT3_PKT4_S7_PT5_21rocsparse_index_base_b
		.amdhsa_group_segment_fixed_size 7200
		.amdhsa_private_segment_fixed_size 0
		.amdhsa_kernarg_size 96
		.amdhsa_user_sgpr_count 15
		.amdhsa_user_sgpr_dispatch_ptr 0
		.amdhsa_user_sgpr_queue_ptr 0
		.amdhsa_user_sgpr_kernarg_segment_ptr 1
		.amdhsa_user_sgpr_dispatch_id 0
		.amdhsa_user_sgpr_private_segment_size 0
		.amdhsa_wavefront_size32 1
		.amdhsa_uses_dynamic_stack 0
		.amdhsa_enable_private_segment 0
		.amdhsa_system_sgpr_workgroup_id_x 1
		.amdhsa_system_sgpr_workgroup_id_y 0
		.amdhsa_system_sgpr_workgroup_id_z 0
		.amdhsa_system_sgpr_workgroup_info 0
		.amdhsa_system_vgpr_workitem_id 0
		.amdhsa_next_free_vgpr 19
		.amdhsa_next_free_sgpr 20
		.amdhsa_reserve_vcc 1
		.amdhsa_float_round_mode_32 0
		.amdhsa_float_round_mode_16_64 0
		.amdhsa_float_denorm_mode_32 3
		.amdhsa_float_denorm_mode_16_64 3
		.amdhsa_dx10_clamp 1
		.amdhsa_ieee_mode 1
		.amdhsa_fp16_overflow 0
		.amdhsa_workgroup_processor_mode 1
		.amdhsa_memory_ordered 1
		.amdhsa_forward_progress 0
		.amdhsa_shared_vgpr_count 0
		.amdhsa_exception_fp_ieee_invalid_op 0
		.amdhsa_exception_fp_denorm_src 0
		.amdhsa_exception_fp_ieee_div_zero 0
		.amdhsa_exception_fp_ieee_overflow 0
		.amdhsa_exception_fp_ieee_underflow 0
		.amdhsa_exception_fp_ieee_inexact 0
		.amdhsa_exception_int_div_zero 0
	.end_amdhsa_kernel
	.section	.text._ZN9rocsparseL20bsrxmvn_17_32_kernelILj30E21rocsparse_complex_numIfEliS2_S2_S2_EEvT2_20rocsparse_direction_NS_24const_host_device_scalarIT0_EES3_PKS3_PKT1_SC_S9_PKT3_PKT4_S7_PT5_21rocsparse_index_base_b,"axG",@progbits,_ZN9rocsparseL20bsrxmvn_17_32_kernelILj30E21rocsparse_complex_numIfEliS2_S2_S2_EEvT2_20rocsparse_direction_NS_24const_host_device_scalarIT0_EES3_PKS3_PKT1_SC_S9_PKT3_PKT4_S7_PT5_21rocsparse_index_base_b,comdat
.Lfunc_end109:
	.size	_ZN9rocsparseL20bsrxmvn_17_32_kernelILj30E21rocsparse_complex_numIfEliS2_S2_S2_EEvT2_20rocsparse_direction_NS_24const_host_device_scalarIT0_EES3_PKS3_PKT1_SC_S9_PKT3_PKT4_S7_PT5_21rocsparse_index_base_b, .Lfunc_end109-_ZN9rocsparseL20bsrxmvn_17_32_kernelILj30E21rocsparse_complex_numIfEliS2_S2_S2_EEvT2_20rocsparse_direction_NS_24const_host_device_scalarIT0_EES3_PKS3_PKT1_SC_S9_PKT3_PKT4_S7_PT5_21rocsparse_index_base_b
                                        ; -- End function
	.section	.AMDGPU.csdata,"",@progbits
; Kernel info:
; codeLenInByte = 1920
; NumSgprs: 22
; NumVgprs: 19
; ScratchSize: 0
; MemoryBound: 0
; FloatMode: 240
; IeeeMode: 1
; LDSByteSize: 7200 bytes/workgroup (compile time only)
; SGPRBlocks: 2
; VGPRBlocks: 2
; NumSGPRsForWavesPerEU: 22
; NumVGPRsForWavesPerEU: 19
; Occupancy: 15
; WaveLimiterHint : 1
; COMPUTE_PGM_RSRC2:SCRATCH_EN: 0
; COMPUTE_PGM_RSRC2:USER_SGPR: 15
; COMPUTE_PGM_RSRC2:TRAP_HANDLER: 0
; COMPUTE_PGM_RSRC2:TGID_X_EN: 1
; COMPUTE_PGM_RSRC2:TGID_Y_EN: 0
; COMPUTE_PGM_RSRC2:TGID_Z_EN: 0
; COMPUTE_PGM_RSRC2:TIDIG_COMP_CNT: 0
	.section	.text._ZN9rocsparseL20bsrxmvn_17_32_kernelILj31E21rocsparse_complex_numIfEliS2_S2_S2_EEvT2_20rocsparse_direction_NS_24const_host_device_scalarIT0_EES3_PKS3_PKT1_SC_S9_PKT3_PKT4_S7_PT5_21rocsparse_index_base_b,"axG",@progbits,_ZN9rocsparseL20bsrxmvn_17_32_kernelILj31E21rocsparse_complex_numIfEliS2_S2_S2_EEvT2_20rocsparse_direction_NS_24const_host_device_scalarIT0_EES3_PKS3_PKT1_SC_S9_PKT3_PKT4_S7_PT5_21rocsparse_index_base_b,comdat
	.globl	_ZN9rocsparseL20bsrxmvn_17_32_kernelILj31E21rocsparse_complex_numIfEliS2_S2_S2_EEvT2_20rocsparse_direction_NS_24const_host_device_scalarIT0_EES3_PKS3_PKT1_SC_S9_PKT3_PKT4_S7_PT5_21rocsparse_index_base_b ; -- Begin function _ZN9rocsparseL20bsrxmvn_17_32_kernelILj31E21rocsparse_complex_numIfEliS2_S2_S2_EEvT2_20rocsparse_direction_NS_24const_host_device_scalarIT0_EES3_PKS3_PKT1_SC_S9_PKT3_PKT4_S7_PT5_21rocsparse_index_base_b
	.p2align	8
	.type	_ZN9rocsparseL20bsrxmvn_17_32_kernelILj31E21rocsparse_complex_numIfEliS2_S2_S2_EEvT2_20rocsparse_direction_NS_24const_host_device_scalarIT0_EES3_PKS3_PKT1_SC_S9_PKT3_PKT4_S7_PT5_21rocsparse_index_base_b,@function
_ZN9rocsparseL20bsrxmvn_17_32_kernelILj31E21rocsparse_complex_numIfEliS2_S2_S2_EEvT2_20rocsparse_direction_NS_24const_host_device_scalarIT0_EES3_PKS3_PKT1_SC_S9_PKT3_PKT4_S7_PT5_21rocsparse_index_base_b: ; @_ZN9rocsparseL20bsrxmvn_17_32_kernelILj31E21rocsparse_complex_numIfEliS2_S2_S2_EEvT2_20rocsparse_direction_NS_24const_host_device_scalarIT0_EES3_PKS3_PKT1_SC_S9_PKT3_PKT4_S7_PT5_21rocsparse_index_base_b
; %bb.0:
	s_clause 0x2
	s_load_b64 s[12:13], s[0:1], 0x58
	s_load_b64 s[4:5], s[0:1], 0x8
	s_load_b64 s[2:3], s[0:1], 0x48
	s_mov_b32 s8, s15
	s_waitcnt lgkmcnt(0)
	s_bitcmp1_b32 s13, 0
	v_mov_b32_e32 v10, s4
	s_cselect_b32 s6, -1, 0
	s_delay_alu instid0(SALU_CYCLE_1)
	s_and_b32 vcc_lo, exec_lo, s6
	s_xor_b32 s6, s6, -1
	s_cbranch_vccz .LBB110_15
; %bb.1:
	v_cndmask_b32_e64 v1, 0, 1, s6
	v_mov_b32_e32 v11, s5
	s_and_not1_b32 vcc_lo, exec_lo, s6
	s_cbranch_vccz .LBB110_16
.LBB110_2:
	s_delay_alu instid0(VALU_DEP_2)
	v_cmp_ne_u32_e32 vcc_lo, 1, v1
	v_mov_b32_e32 v8, s2
	s_cbranch_vccz .LBB110_17
.LBB110_3:
	v_cmp_ne_u32_e32 vcc_lo, 1, v1
	v_mov_b32_e32 v9, s3
	s_cbranch_vccnz .LBB110_5
.LBB110_4:
	v_dual_mov_b32 v1, s2 :: v_dual_mov_b32 v2, s3
	flat_load_b32 v9, v[1:2] offset:4
.LBB110_5:
	s_waitcnt vmcnt(0) lgkmcnt(0)
	v_cmp_eq_f32_e32 vcc_lo, 0, v10
	v_cmp_eq_f32_e64 s2, 0, v11
	s_delay_alu instid0(VALU_DEP_1)
	s_and_b32 s4, vcc_lo, s2
	s_mov_b32 s2, -1
	s_and_saveexec_b32 s3, s4
; %bb.6:
	v_cmp_neq_f32_e32 vcc_lo, 1.0, v8
	v_cmp_neq_f32_e64 s2, 0, v9
	s_delay_alu instid0(VALU_DEP_1) | instskip(NEXT) | instid1(SALU_CYCLE_1)
	s_or_b32 s2, vcc_lo, s2
	s_or_not1_b32 s2, s2, exec_lo
; %bb.7:
	s_or_b32 exec_lo, exec_lo, s3
	s_and_saveexec_b32 s3, s2
	s_cbranch_execz .LBB110_44
; %bb.8:
	s_clause 0x1
	s_load_b128 s[4:7], s[0:1], 0x18
	s_load_b64 s[10:11], s[0:1], 0x28
	s_waitcnt lgkmcnt(0)
	s_cmp_eq_u64 s[4:5], 0
	s_cbranch_scc1 .LBB110_10
; %bb.9:
	s_ashr_i32 s9, s8, 31
	s_delay_alu instid0(SALU_CYCLE_1) | instskip(NEXT) | instid1(SALU_CYCLE_1)
	s_lshl_b64 s[2:3], s[8:9], 2
	s_add_u32 s2, s4, s2
	s_addc_u32 s3, s5, s3
	s_load_b32 s2, s[2:3], 0x0
	s_waitcnt lgkmcnt(0)
	s_sub_i32 s8, s2, s12
.LBB110_10:
	s_load_b32 s3, s[0:1], 0x4
	v_mul_u32_u24_e32 v1, 0x843, v0
	v_mov_b32_e32 v2, 0
	v_lshlrev_b32_e32 v12, 3, v0
	s_delay_alu instid0(VALU_DEP_3) | instskip(NEXT) | instid1(VALU_DEP_1)
	v_lshrrev_b32_e32 v3, 16, v1
	v_mul_lo_u16 v1, v3, 31
	s_delay_alu instid0(VALU_DEP_1)
	v_sub_nc_u16 v13, v0, v1
	v_mov_b32_e32 v1, 0
	s_waitcnt lgkmcnt(0)
	s_cmp_eq_u32 s3, 1
	s_cselect_b32 s2, -1, 0
	s_cmp_lg_u32 s3, 1
	s_cselect_b32 s3, -1, 0
	s_ashr_i32 s9, s8, 31
	s_delay_alu instid0(SALU_CYCLE_1) | instskip(NEXT) | instid1(SALU_CYCLE_1)
	s_lshl_b64 s[4:5], s[8:9], 3
	s_add_u32 s6, s6, s4
	s_addc_u32 s7, s7, s5
	s_add_u32 s9, s6, 8
	s_addc_u32 s13, s7, 0
	;; [unrolled: 2-line block ×3, first 2 shown]
	s_cmp_eq_u64 s[10:11], 0
	s_load_b64 s[10:11], s[0:1], 0x50
	s_cselect_b32 s5, s13, s5
	s_cselect_b32 s4, s9, s4
	s_load_b64 s[18:19], s[6:7], 0x0
	s_load_b64 s[14:15], s[4:5], 0x0
	s_waitcnt lgkmcnt(0)
	v_cmp_ge_i64_e64 s4, s[18:19], s[14:15]
	s_delay_alu instid0(VALU_DEP_1)
	s_and_b32 vcc_lo, exec_lo, s4
	s_cbranch_vccnz .LBB110_18
; %bb.11:
	v_and_b32_e32 v1, 0xffff, v3
	v_cmp_lt_u32_e32 vcc_lo, 0x3c0, v0
	v_and_b32_e32 v2, 0xffff, v13
	s_clause 0x1
	s_load_b128 s[4:7], s[0:1], 0x30
	s_load_b64 s[0:1], s[0:1], 0x40
	s_sub_u32 s14, s14, s12
	v_subrev_nc_u32_e32 v3, 31, v1
	v_cndmask_b32_e64 v14, 0, 1, vcc_lo
	v_cmp_gt_u32_e32 vcc_lo, 0x3c1, v0
	s_subb_u32 s15, s15, 0
	s_sub_u32 s16, s18, s12
	v_lshlrev_b32_e32 v4, 3, v0
	s_subb_u32 s17, s19, 0
	v_cndmask_b32_e32 v1, v3, v1, vcc_lo
	s_mul_hi_u32 s9, s16, 0x1e08
	s_mul_i32 s13, s17, 0x1e08
	s_delay_alu instid0(SALU_CYCLE_1) | instskip(NEXT) | instid1(VALU_DEP_1)
	s_add_i32 s9, s9, s13
	v_cndmask_b32_e64 v3, v2, v1, s2
	v_add_co_u32 v1, s2, s18, v14
	s_delay_alu instid0(VALU_DEP_1) | instskip(SKIP_1) | instid1(VALU_DEP_2)
	v_add_co_ci_u32_e64 v2, null, s19, 0, s2
	s_mul_i32 s2, s16, 0x1e08
	v_sub_co_u32 v1, vcc_lo, v1, s12
	s_delay_alu instid0(VALU_DEP_2)
	v_subrev_co_ci_u32_e32 v2, vcc_lo, 0, v2, vcc_lo
	s_waitcnt lgkmcnt(0)
	s_add_u32 s2, s6, s2
	s_addc_u32 s6, s7, s9
	v_add_co_u32 v4, s2, s2, v4
	v_lshlrev_b64 v[6:7], 2, v[1:2]
	v_mov_b32_e32 v2, 0
	v_add_co_ci_u32_e64 v5, null, s6, 0, s2
	s_delay_alu instid0(VALU_DEP_3) | instskip(NEXT) | instid1(VALU_DEP_4)
	v_add_co_u32 v6, vcc_lo, s4, v6
	v_add_co_ci_u32_e32 v7, vcc_lo, s5, v7, vcc_lo
	s_delay_alu instid0(VALU_DEP_4)
	v_mov_b32_e32 v1, v2
	s_set_inst_prefetch_distance 0x1
	s_branch .LBB110_13
	.p2align	6
.LBB110_12:                             ;   in Loop: Header=BB110_13 Depth=1
	s_or_b32 exec_lo, exec_lo, s2
	s_add_u32 s16, s16, 1
	s_addc_u32 s17, s17, 0
	v_add_co_u32 v6, vcc_lo, v6, 4
	v_cmp_lt_i64_e64 s2, s[16:17], s[14:15]
	v_add_co_ci_u32_e32 v7, vcc_lo, 0, v7, vcc_lo
	s_delay_alu instid0(VALU_DEP_2)
	s_and_b32 vcc_lo, exec_lo, s2
	s_cbranch_vccz .LBB110_18
.LBB110_13:                             ; =>This Inner Loop Header: Depth=1
	v_add_co_u32 v15, s2, v14, s16
	s_delay_alu instid0(VALU_DEP_1) | instskip(SKIP_1) | instid1(VALU_DEP_1)
	v_add_co_ci_u32_e64 v16, null, 0, s17, s2
	s_mov_b32 s2, exec_lo
	v_cmpx_gt_i64_e64 s[14:15], v[15:16]
	s_cbranch_execz .LBB110_12
; %bb.14:                               ;   in Loop: Header=BB110_13 Depth=1
	global_load_b32 v15, v[6:7], off
	s_waitcnt vmcnt(0)
	v_subrev_nc_u32_e32 v17, s12, v15
	s_delay_alu instid0(VALU_DEP_1) | instskip(NEXT) | instid1(VALU_DEP_1)
	v_mad_u64_u32 v[15:16], null, v17, 31, v[3:4]
	v_ashrrev_i32_e32 v16, 31, v15
	s_delay_alu instid0(VALU_DEP_1) | instskip(NEXT) | instid1(VALU_DEP_1)
	v_lshlrev_b64 v[15:16], 3, v[15:16]
	v_add_co_u32 v15, vcc_lo, s0, v15
	s_delay_alu instid0(VALU_DEP_2)
	v_add_co_ci_u32_e32 v16, vcc_lo, s1, v16, vcc_lo
	global_load_b64 v[17:18], v[4:5], off
	global_load_b64 v[15:16], v[15:16], off
	v_add_co_u32 v4, vcc_lo, 0x1e08, v4
	v_add_co_ci_u32_e32 v5, vcc_lo, 0, v5, vcc_lo
	s_waitcnt vmcnt(0)
	v_fmac_f32_e32 v1, v17, v15
	v_fmac_f32_e32 v2, v18, v15
	s_delay_alu instid0(VALU_DEP_2) | instskip(NEXT) | instid1(VALU_DEP_2)
	v_fma_f32 v1, -v18, v16, v1
	v_fmac_f32_e32 v2, v17, v16
	s_branch .LBB110_12
.LBB110_15:
	v_dual_mov_b32 v1, s4 :: v_dual_mov_b32 v2, s5
	flat_load_b32 v10, v[1:2]
	v_cndmask_b32_e64 v1, 0, 1, s6
	v_mov_b32_e32 v11, s5
	s_and_not1_b32 vcc_lo, exec_lo, s6
	s_cbranch_vccnz .LBB110_2
.LBB110_16:
	v_dual_mov_b32 v2, s4 :: v_dual_mov_b32 v3, s5
	flat_load_b32 v11, v[2:3] offset:4
	v_cmp_ne_u32_e32 vcc_lo, 1, v1
	v_mov_b32_e32 v8, s2
	s_cbranch_vccnz .LBB110_3
.LBB110_17:
	v_dual_mov_b32 v2, s2 :: v_dual_mov_b32 v3, s3
	flat_load_b32 v8, v[2:3]
	v_cmp_ne_u32_e32 vcc_lo, 1, v1
	v_mov_b32_e32 v9, s3
	s_cbranch_vccz .LBB110_4
	s_branch .LBB110_5
.LBB110_18:
	s_set_inst_prefetch_distance 0x2
	s_and_b32 vcc_lo, exec_lo, s3
	ds_store_b64 v12, v[1:2]
	s_waitcnt lgkmcnt(0)
	s_barrier
	buffer_gl0_inv
	s_cbranch_vccz .LBB110_30
; %bb.19:
	s_mov_b32 s0, exec_lo
	v_cmpx_gt_u16_e32 15, v13
	s_cbranch_execz .LBB110_21
; %bb.20:
	ds_load_2addr_b64 v[3:6], v12 offset1:16
	s_waitcnt lgkmcnt(0)
	v_dual_add_f32 v3, v5, v3 :: v_dual_add_f32 v4, v6, v4
	ds_store_b64 v12, v[3:4]
.LBB110_21:
	s_or_b32 exec_lo, exec_lo, s0
	s_delay_alu instid0(SALU_CYCLE_1)
	s_mov_b32 s0, exec_lo
	s_waitcnt lgkmcnt(0)
	s_barrier
	buffer_gl0_inv
	v_cmpx_gt_u16_e32 8, v13
	s_cbranch_execz .LBB110_23
; %bb.22:
	ds_load_2addr_b64 v[3:6], v12 offset1:8
	s_waitcnt lgkmcnt(0)
	v_dual_add_f32 v3, v5, v3 :: v_dual_add_f32 v4, v6, v4
	ds_store_b64 v12, v[3:4]
.LBB110_23:
	s_or_b32 exec_lo, exec_lo, s0
	s_delay_alu instid0(SALU_CYCLE_1)
	s_mov_b32 s0, exec_lo
	s_waitcnt lgkmcnt(0)
	s_barrier
	buffer_gl0_inv
	;; [unrolled: 14-line block ×3, first 2 shown]
	v_cmpx_gt_u16_e32 2, v13
	s_cbranch_execz .LBB110_27
; %bb.26:
	ds_load_2addr_b64 v[3:6], v12 offset1:2
	s_waitcnt lgkmcnt(0)
	v_dual_add_f32 v3, v5, v3 :: v_dual_add_f32 v4, v6, v4
	ds_store_b64 v12, v[3:4]
.LBB110_27:
	s_or_b32 exec_lo, exec_lo, s0
	s_mov_b32 s1, 0
	s_mov_b32 s0, 0
	s_mov_b32 s2, exec_lo
	s_waitcnt lgkmcnt(0)
	s_barrier
	buffer_gl0_inv
                                        ; implicit-def: $vgpr4
                                        ; implicit-def: $vgpr3
	v_cmpx_gt_u32_e32 31, v0
	s_xor_b32 s2, exec_lo, s2
; %bb.28:
	v_mul_u32_u24_e32 v4, 31, v0
	v_mad_u32_u24 v3, v0, 31, 1
	s_mov_b32 s0, exec_lo
	s_delay_alu instid0(VALU_DEP_2)
	v_lshlrev_b32_e32 v4, 3, v4
; %bb.29:
	s_or_b32 exec_lo, exec_lo, s2
	s_delay_alu instid0(SALU_CYCLE_1)
	s_and_b32 vcc_lo, exec_lo, s1
	s_cbranch_vccnz .LBB110_31
	s_branch .LBB110_42
.LBB110_30:
	s_mov_b32 s0, 0
                                        ; implicit-def: $vgpr4
                                        ; implicit-def: $vgpr3
	s_cbranch_execz .LBB110_42
.LBB110_31:
	s_mov_b32 s1, exec_lo
	v_cmpx_gt_u32_e32 0x1d1, v0
	s_cbranch_execz .LBB110_33
; %bb.32:
	ds_load_b64 v[3:4], v12 offset:3968
	ds_load_b64 v[5:6], v12
	s_waitcnt lgkmcnt(0)
	v_dual_add_f32 v3, v3, v5 :: v_dual_add_f32 v4, v4, v6
	ds_store_b64 v12, v[3:4]
.LBB110_33:
	s_or_b32 exec_lo, exec_lo, s1
	s_delay_alu instid0(SALU_CYCLE_1)
	s_mov_b32 s1, exec_lo
	s_waitcnt lgkmcnt(0)
	s_barrier
	buffer_gl0_inv
	v_cmpx_gt_u32_e32 0xf8, v0
	s_cbranch_execz .LBB110_35
; %bb.34:
	ds_load_2addr_b64 v[3:6], v12 offset1:248
	s_waitcnt lgkmcnt(0)
	v_dual_add_f32 v3, v5, v3 :: v_dual_add_f32 v4, v6, v4
	ds_store_b64 v12, v[3:4]
.LBB110_35:
	s_or_b32 exec_lo, exec_lo, s1
	s_delay_alu instid0(SALU_CYCLE_1)
	s_mov_b32 s1, exec_lo
	s_waitcnt lgkmcnt(0)
	s_barrier
	buffer_gl0_inv
	v_cmpx_gt_u32_e32 0x7c, v0
	s_cbranch_execz .LBB110_37
; %bb.36:
	ds_load_2addr_b64 v[3:6], v12 offset1:124
	s_waitcnt lgkmcnt(0)
	v_dual_add_f32 v3, v5, v3 :: v_dual_add_f32 v4, v6, v4
	ds_store_b64 v12, v[3:4]
.LBB110_37:
	;; [unrolled: 14-line block ×3, first 2 shown]
	s_or_b32 exec_lo, exec_lo, s1
	s_delay_alu instid0(SALU_CYCLE_1)
	s_mov_b32 s1, exec_lo
	s_waitcnt lgkmcnt(0)
	buffer_gl0_inv
                                        ; implicit-def: $vgpr3
	v_cmpx_gt_u32_e32 31, v0
; %bb.40:
	v_add_nc_u32_e32 v3, 31, v0
                                        ; kill: def $vgpr1 killed $sgpr0 killed $exec
	s_or_b32 s0, s0, exec_lo
                                        ; implicit-def: $vgpr2
; %bb.41:
	s_or_b32 exec_lo, exec_lo, s1
	v_mov_b32_e32 v4, v12
.LBB110_42:
	s_and_saveexec_b32 s1, s0
	s_cbranch_execnz .LBB110_45
; %bb.43:
	s_or_b32 exec_lo, exec_lo, s1
	v_cmp_gt_u32_e32 vcc_lo, 31, v0
	s_and_b32 exec_lo, exec_lo, vcc_lo
	s_cbranch_execnz .LBB110_46
.LBB110_44:
	s_nop 0
	s_sendmsg sendmsg(MSG_DEALLOC_VGPRS)
	s_endpgm
.LBB110_45:
	v_lshlrev_b32_e32 v3, 3, v3
	ds_load_2addr_b32 v[1:2], v4 offset1:1
	ds_load_b64 v[3:4], v3
	s_waitcnt lgkmcnt(0)
	v_dual_add_f32 v2, v4, v2 :: v_dual_add_f32 v1, v3, v1
	s_or_b32 exec_lo, exec_lo, s1
	v_cmp_gt_u32_e32 vcc_lo, 31, v0
	s_and_b32 exec_lo, exec_lo, vcc_lo
	s_cbranch_execz .LBB110_44
.LBB110_46:
	v_mul_f32_e64 v3, v2, -v11
	v_mul_f32_e32 v4, v2, v10
	v_cmp_eq_f32_e32 vcc_lo, 0, v8
	v_cmp_eq_f32_e64 s0, 0, v9
	s_delay_alu instid0(VALU_DEP_4) | instskip(NEXT) | instid1(VALU_DEP_4)
	v_fmac_f32_e32 v3, v10, v1
	v_fmac_f32_e32 v4, v11, v1
	s_delay_alu instid0(VALU_DEP_3) | instskip(NEXT) | instid1(SALU_CYCLE_1)
	s_and_b32 s0, vcc_lo, s0
	s_and_saveexec_b32 s1, s0
	s_delay_alu instid0(SALU_CYCLE_1)
	s_xor_b32 s0, exec_lo, s1
	s_cbranch_execz .LBB110_48
; %bb.47:
	v_mad_u64_u32 v[1:2], null, s8, 31, v[0:1]
	v_mov_b32_e32 v2, 0
                                        ; implicit-def: $vgpr8
                                        ; implicit-def: $vgpr9
	s_delay_alu instid0(VALU_DEP_1) | instskip(NEXT) | instid1(VALU_DEP_1)
	v_lshlrev_b64 v[0:1], 3, v[1:2]
	v_add_co_u32 v0, vcc_lo, s10, v0
	s_delay_alu instid0(VALU_DEP_2)
	v_add_co_ci_u32_e32 v1, vcc_lo, s11, v1, vcc_lo
	global_store_b64 v[0:1], v[3:4], off
                                        ; implicit-def: $vgpr0
                                        ; implicit-def: $vgpr3
.LBB110_48:
	s_and_not1_saveexec_b32 s0, s0
	s_cbranch_execz .LBB110_44
; %bb.49:
	v_mad_u64_u32 v[1:2], null, s8, 31, v[0:1]
	v_mov_b32_e32 v2, 0
	s_delay_alu instid0(VALU_DEP_1) | instskip(NEXT) | instid1(VALU_DEP_1)
	v_lshlrev_b64 v[0:1], 3, v[1:2]
	v_add_co_u32 v0, vcc_lo, s10, v0
	s_delay_alu instid0(VALU_DEP_2) | instskip(SKIP_4) | instid1(VALU_DEP_2)
	v_add_co_ci_u32_e32 v1, vcc_lo, s11, v1, vcc_lo
	global_load_b64 v[5:6], v[0:1], off
	s_waitcnt vmcnt(0)
	v_fmac_f32_e32 v3, v8, v5
	v_fmac_f32_e32 v4, v9, v5
	v_fma_f32 v3, -v9, v6, v3
	s_delay_alu instid0(VALU_DEP_2)
	v_fmac_f32_e32 v4, v8, v6
	global_store_b64 v[0:1], v[3:4], off
	s_nop 0
	s_sendmsg sendmsg(MSG_DEALLOC_VGPRS)
	s_endpgm
	.section	.rodata,"a",@progbits
	.p2align	6, 0x0
	.amdhsa_kernel _ZN9rocsparseL20bsrxmvn_17_32_kernelILj31E21rocsparse_complex_numIfEliS2_S2_S2_EEvT2_20rocsparse_direction_NS_24const_host_device_scalarIT0_EES3_PKS3_PKT1_SC_S9_PKT3_PKT4_S7_PT5_21rocsparse_index_base_b
		.amdhsa_group_segment_fixed_size 7688
		.amdhsa_private_segment_fixed_size 0
		.amdhsa_kernarg_size 96
		.amdhsa_user_sgpr_count 15
		.amdhsa_user_sgpr_dispatch_ptr 0
		.amdhsa_user_sgpr_queue_ptr 0
		.amdhsa_user_sgpr_kernarg_segment_ptr 1
		.amdhsa_user_sgpr_dispatch_id 0
		.amdhsa_user_sgpr_private_segment_size 0
		.amdhsa_wavefront_size32 1
		.amdhsa_uses_dynamic_stack 0
		.amdhsa_enable_private_segment 0
		.amdhsa_system_sgpr_workgroup_id_x 1
		.amdhsa_system_sgpr_workgroup_id_y 0
		.amdhsa_system_sgpr_workgroup_id_z 0
		.amdhsa_system_sgpr_workgroup_info 0
		.amdhsa_system_vgpr_workitem_id 0
		.amdhsa_next_free_vgpr 19
		.amdhsa_next_free_sgpr 20
		.amdhsa_reserve_vcc 1
		.amdhsa_float_round_mode_32 0
		.amdhsa_float_round_mode_16_64 0
		.amdhsa_float_denorm_mode_32 3
		.amdhsa_float_denorm_mode_16_64 3
		.amdhsa_dx10_clamp 1
		.amdhsa_ieee_mode 1
		.amdhsa_fp16_overflow 0
		.amdhsa_workgroup_processor_mode 1
		.amdhsa_memory_ordered 1
		.amdhsa_forward_progress 0
		.amdhsa_shared_vgpr_count 0
		.amdhsa_exception_fp_ieee_invalid_op 0
		.amdhsa_exception_fp_denorm_src 0
		.amdhsa_exception_fp_ieee_div_zero 0
		.amdhsa_exception_fp_ieee_overflow 0
		.amdhsa_exception_fp_ieee_underflow 0
		.amdhsa_exception_fp_ieee_inexact 0
		.amdhsa_exception_int_div_zero 0
	.end_amdhsa_kernel
	.section	.text._ZN9rocsparseL20bsrxmvn_17_32_kernelILj31E21rocsparse_complex_numIfEliS2_S2_S2_EEvT2_20rocsparse_direction_NS_24const_host_device_scalarIT0_EES3_PKS3_PKT1_SC_S9_PKT3_PKT4_S7_PT5_21rocsparse_index_base_b,"axG",@progbits,_ZN9rocsparseL20bsrxmvn_17_32_kernelILj31E21rocsparse_complex_numIfEliS2_S2_S2_EEvT2_20rocsparse_direction_NS_24const_host_device_scalarIT0_EES3_PKS3_PKT1_SC_S9_PKT3_PKT4_S7_PT5_21rocsparse_index_base_b,comdat
.Lfunc_end110:
	.size	_ZN9rocsparseL20bsrxmvn_17_32_kernelILj31E21rocsparse_complex_numIfEliS2_S2_S2_EEvT2_20rocsparse_direction_NS_24const_host_device_scalarIT0_EES3_PKS3_PKT1_SC_S9_PKT3_PKT4_S7_PT5_21rocsparse_index_base_b, .Lfunc_end110-_ZN9rocsparseL20bsrxmvn_17_32_kernelILj31E21rocsparse_complex_numIfEliS2_S2_S2_EEvT2_20rocsparse_direction_NS_24const_host_device_scalarIT0_EES3_PKS3_PKT1_SC_S9_PKT3_PKT4_S7_PT5_21rocsparse_index_base_b
                                        ; -- End function
	.section	.AMDGPU.csdata,"",@progbits
; Kernel info:
; codeLenInByte = 1924
; NumSgprs: 22
; NumVgprs: 19
; ScratchSize: 0
; MemoryBound: 0
; FloatMode: 240
; IeeeMode: 1
; LDSByteSize: 7688 bytes/workgroup (compile time only)
; SGPRBlocks: 2
; VGPRBlocks: 2
; NumSGPRsForWavesPerEU: 22
; NumVGPRsForWavesPerEU: 19
; Occupancy: 16
; WaveLimiterHint : 1
; COMPUTE_PGM_RSRC2:SCRATCH_EN: 0
; COMPUTE_PGM_RSRC2:USER_SGPR: 15
; COMPUTE_PGM_RSRC2:TRAP_HANDLER: 0
; COMPUTE_PGM_RSRC2:TGID_X_EN: 1
; COMPUTE_PGM_RSRC2:TGID_Y_EN: 0
; COMPUTE_PGM_RSRC2:TGID_Z_EN: 0
; COMPUTE_PGM_RSRC2:TIDIG_COMP_CNT: 0
	.section	.text._ZN9rocsparseL20bsrxmvn_17_32_kernelILj32E21rocsparse_complex_numIfEliS2_S2_S2_EEvT2_20rocsparse_direction_NS_24const_host_device_scalarIT0_EES3_PKS3_PKT1_SC_S9_PKT3_PKT4_S7_PT5_21rocsparse_index_base_b,"axG",@progbits,_ZN9rocsparseL20bsrxmvn_17_32_kernelILj32E21rocsparse_complex_numIfEliS2_S2_S2_EEvT2_20rocsparse_direction_NS_24const_host_device_scalarIT0_EES3_PKS3_PKT1_SC_S9_PKT3_PKT4_S7_PT5_21rocsparse_index_base_b,comdat
	.globl	_ZN9rocsparseL20bsrxmvn_17_32_kernelILj32E21rocsparse_complex_numIfEliS2_S2_S2_EEvT2_20rocsparse_direction_NS_24const_host_device_scalarIT0_EES3_PKS3_PKT1_SC_S9_PKT3_PKT4_S7_PT5_21rocsparse_index_base_b ; -- Begin function _ZN9rocsparseL20bsrxmvn_17_32_kernelILj32E21rocsparse_complex_numIfEliS2_S2_S2_EEvT2_20rocsparse_direction_NS_24const_host_device_scalarIT0_EES3_PKS3_PKT1_SC_S9_PKT3_PKT4_S7_PT5_21rocsparse_index_base_b
	.p2align	8
	.type	_ZN9rocsparseL20bsrxmvn_17_32_kernelILj32E21rocsparse_complex_numIfEliS2_S2_S2_EEvT2_20rocsparse_direction_NS_24const_host_device_scalarIT0_EES3_PKS3_PKT1_SC_S9_PKT3_PKT4_S7_PT5_21rocsparse_index_base_b,@function
_ZN9rocsparseL20bsrxmvn_17_32_kernelILj32E21rocsparse_complex_numIfEliS2_S2_S2_EEvT2_20rocsparse_direction_NS_24const_host_device_scalarIT0_EES3_PKS3_PKT1_SC_S9_PKT3_PKT4_S7_PT5_21rocsparse_index_base_b: ; @_ZN9rocsparseL20bsrxmvn_17_32_kernelILj32E21rocsparse_complex_numIfEliS2_S2_S2_EEvT2_20rocsparse_direction_NS_24const_host_device_scalarIT0_EES3_PKS3_PKT1_SC_S9_PKT3_PKT4_S7_PT5_21rocsparse_index_base_b
; %bb.0:
	s_clause 0x2
	s_load_b64 s[12:13], s[0:1], 0x58
	s_load_b64 s[4:5], s[0:1], 0x8
	;; [unrolled: 1-line block ×3, first 2 shown]
	s_mov_b32 s8, s15
	s_waitcnt lgkmcnt(0)
	s_bitcmp1_b32 s13, 0
	v_mov_b32_e32 v7, s4
	s_cselect_b32 s6, -1, 0
	s_delay_alu instid0(SALU_CYCLE_1)
	s_and_b32 vcc_lo, exec_lo, s6
	s_xor_b32 s6, s6, -1
	s_cbranch_vccz .LBB111_25
; %bb.1:
	v_cndmask_b32_e64 v1, 0, 1, s6
	v_mov_b32_e32 v8, s5
	s_and_not1_b32 vcc_lo, exec_lo, s6
	s_cbranch_vccz .LBB111_26
.LBB111_2:
	s_delay_alu instid0(VALU_DEP_2)
	v_cmp_ne_u32_e32 vcc_lo, 1, v1
	v_mov_b32_e32 v5, s2
	s_cbranch_vccz .LBB111_27
.LBB111_3:
	v_cmp_ne_u32_e32 vcc_lo, 1, v1
	v_mov_b32_e32 v6, s3
	s_cbranch_vccnz .LBB111_5
.LBB111_4:
	v_dual_mov_b32 v1, s2 :: v_dual_mov_b32 v2, s3
	flat_load_b32 v6, v[1:2] offset:4
.LBB111_5:
	s_waitcnt vmcnt(0) lgkmcnt(0)
	v_cmp_eq_f32_e32 vcc_lo, 0, v7
	v_cmp_eq_f32_e64 s2, 0, v8
	s_delay_alu instid0(VALU_DEP_1)
	s_and_b32 s4, vcc_lo, s2
	s_mov_b32 s2, -1
	s_and_saveexec_b32 s3, s4
; %bb.6:
	v_cmp_neq_f32_e32 vcc_lo, 1.0, v5
	v_cmp_neq_f32_e64 s2, 0, v6
	s_delay_alu instid0(VALU_DEP_1) | instskip(NEXT) | instid1(SALU_CYCLE_1)
	s_or_b32 s2, vcc_lo, s2
	s_or_not1_b32 s2, s2, exec_lo
; %bb.7:
	s_or_b32 exec_lo, exec_lo, s3
	s_and_saveexec_b32 s3, s2
	s_cbranch_execz .LBB111_42
; %bb.8:
	s_clause 0x1
	s_load_b128 s[4:7], s[0:1], 0x18
	s_load_b64 s[10:11], s[0:1], 0x28
	s_waitcnt lgkmcnt(0)
	s_cmp_eq_u64 s[4:5], 0
	s_cbranch_scc1 .LBB111_10
; %bb.9:
	s_ashr_i32 s9, s8, 31
	s_delay_alu instid0(SALU_CYCLE_1) | instskip(NEXT) | instid1(SALU_CYCLE_1)
	s_lshl_b64 s[2:3], s[8:9], 2
	s_add_u32 s2, s4, s2
	s_addc_u32 s3, s5, s3
	s_load_b32 s2, s[2:3], 0x0
	s_waitcnt lgkmcnt(0)
	s_sub_i32 s8, s2, s12
.LBB111_10:
	s_load_b32 s3, s[0:1], 0x4
	v_dual_mov_b32 v2, 0 :: v_dual_and_b32 v9, 31, v0
	v_mov_b32_e32 v1, 0
	s_mov_b32 s13, 0
	s_waitcnt lgkmcnt(0)
	s_cmp_eq_u32 s3, 1
	s_cselect_b32 s2, -1, 0
	s_cmp_lg_u32 s3, 1
	s_cselect_b32 s20, -1, 0
	s_ashr_i32 s9, s8, 31
	s_delay_alu instid0(SALU_CYCLE_1) | instskip(NEXT) | instid1(SALU_CYCLE_1)
	s_lshl_b64 s[4:5], s[8:9], 3
	s_add_u32 s6, s6, s4
	s_addc_u32 s7, s7, s5
	s_add_u32 s3, s6, 8
	s_addc_u32 s9, s7, 0
	;; [unrolled: 2-line block ×3, first 2 shown]
	s_cmp_eq_u64 s[10:11], 0
	s_cselect_b32 s5, s9, s5
	s_cselect_b32 s4, s3, s4
	s_load_b64 s[18:19], s[6:7], 0x0
	s_load_b64 s[14:15], s[4:5], 0x0
	s_load_b64 s[10:11], s[0:1], 0x50
	s_waitcnt lgkmcnt(0)
	v_cmp_ge_i64_e64 s3, s[18:19], s[14:15]
	s_delay_alu instid0(VALU_DEP_1)
	s_and_b32 vcc_lo, exec_lo, s3
	s_cbranch_vccnz .LBB111_13
; %bb.11:
	s_clause 0x1
	s_load_b128 s[4:7], s[0:1], 0x30
	s_load_b64 s[0:1], s[0:1], 0x40
	s_sub_u32 s14, s14, s12
	s_subb_u32 s15, s15, 0
	s_sub_u32 s16, s18, s12
	s_subb_u32 s17, s19, 0
	v_lshrrev_b32_e32 v1, 5, v0
	s_lshl_b64 s[22:23], s[16:17], 13
	v_mov_b32_e32 v2, 0
	v_lshl_or_b32 v3, v0, 3, s22
	s_lshl_b64 s[18:19], s[18:19], 2
	v_cndmask_b32_e64 v10, v9, v1, s2
	v_mov_b32_e32 v1, s23
	s_lshl_b64 s[24:25], s[12:13], 2
	s_delay_alu instid0(SALU_CYCLE_1)
	s_sub_u32 s2, s18, s24
	s_subb_u32 s3, s19, s25
	s_waitcnt lgkmcnt(0)
	v_add_co_u32 v3, vcc_lo, s6, v3
	v_add_co_ci_u32_e32 v4, vcc_lo, s7, v1, vcc_lo
	v_mov_b32_e32 v1, v2
	s_add_u32 s2, s4, s2
	s_addc_u32 s3, s5, s3
	.p2align	6
.LBB111_12:                             ; =>This Inner Loop Header: Depth=1
	s_load_b32 s4, s[2:3], 0x0
	s_waitcnt lgkmcnt(0)
	s_sub_i32 s4, s4, s12
	s_add_u32 s16, s16, 1
	v_lshl_or_b32 v11, s4, 5, v10
	s_addc_u32 s17, s17, 0
	s_add_u32 s2, s2, 4
	v_cmp_lt_i64_e64 s4, s[16:17], s[14:15]
	s_addc_u32 s3, s3, 0
	v_ashrrev_i32_e32 v12, 31, v11
	s_delay_alu instid0(VALU_DEP_1) | instskip(NEXT) | instid1(VALU_DEP_1)
	v_lshlrev_b64 v[11:12], 3, v[11:12]
	v_add_co_u32 v11, vcc_lo, s0, v11
	s_delay_alu instid0(VALU_DEP_2)
	v_add_co_ci_u32_e32 v12, vcc_lo, s1, v12, vcc_lo
	global_load_b64 v[13:14], v[3:4], off
	global_load_b64 v[11:12], v[11:12], off
	v_add_co_u32 v3, vcc_lo, 0x2000, v3
	v_add_co_ci_u32_e32 v4, vcc_lo, 0, v4, vcc_lo
	s_and_b32 vcc_lo, exec_lo, s4
	s_waitcnt vmcnt(0)
	v_fmac_f32_e32 v1, v13, v11
	v_fmac_f32_e32 v2, v14, v11
	s_delay_alu instid0(VALU_DEP_2) | instskip(NEXT) | instid1(VALU_DEP_2)
	v_fma_f32 v1, -v14, v12, v1
	v_fmac_f32_e32 v2, v13, v12
	s_cbranch_vccnz .LBB111_12
.LBB111_13:
	v_lshlrev_b32_e32 v3, 3, v0
	s_and_b32 vcc_lo, exec_lo, s20
	ds_store_b64 v3, v[1:2]
	s_waitcnt lgkmcnt(0)
	s_barrier
	buffer_gl0_inv
	s_cbranch_vccz .LBB111_28
; %bb.14:
	s_mov_b32 s0, exec_lo
	v_cmpx_gt_u32_e32 16, v9
	s_cbranch_execz .LBB111_16
; %bb.15:
	ds_load_2addr_b64 v[10:13], v3 offset1:16
	s_waitcnt lgkmcnt(0)
	v_dual_add_f32 v10, v12, v10 :: v_dual_add_f32 v11, v13, v11
	ds_store_b64 v3, v[10:11]
.LBB111_16:
	s_or_b32 exec_lo, exec_lo, s0
	s_delay_alu instid0(SALU_CYCLE_1)
	s_mov_b32 s0, exec_lo
	s_waitcnt lgkmcnt(0)
	s_barrier
	buffer_gl0_inv
	v_cmpx_gt_u32_e32 8, v9
	s_cbranch_execz .LBB111_18
; %bb.17:
	ds_load_2addr_b64 v[10:13], v3 offset1:8
	s_waitcnt lgkmcnt(0)
	v_dual_add_f32 v10, v12, v10 :: v_dual_add_f32 v11, v13, v11
	ds_store_b64 v3, v[10:11]
.LBB111_18:
	s_or_b32 exec_lo, exec_lo, s0
	s_delay_alu instid0(SALU_CYCLE_1)
	s_mov_b32 s0, exec_lo
	s_waitcnt lgkmcnt(0)
	s_barrier
	buffer_gl0_inv
	v_cmpx_gt_u32_e32 4, v9
	s_cbranch_execz .LBB111_20
; %bb.19:
	ds_load_2addr_b64 v[10:13], v3 offset1:4
	s_waitcnt lgkmcnt(0)
	v_dual_add_f32 v10, v12, v10 :: v_dual_add_f32 v11, v13, v11
	ds_store_b64 v3, v[10:11]
.LBB111_20:
	s_or_b32 exec_lo, exec_lo, s0
	s_delay_alu instid0(SALU_CYCLE_1)
	s_mov_b32 s0, exec_lo
	s_waitcnt lgkmcnt(0)
	s_barrier
	buffer_gl0_inv
	v_cmpx_gt_u32_e32 2, v9
	s_cbranch_execz .LBB111_22
; %bb.21:
	ds_load_2addr_b64 v[9:12], v3 offset1:2
	s_waitcnt lgkmcnt(0)
	v_dual_add_f32 v9, v11, v9 :: v_dual_add_f32 v10, v12, v10
	ds_store_b64 v3, v[9:10]
.LBB111_22:
	s_or_b32 exec_lo, exec_lo, s0
	s_mov_b32 s1, 0
	s_mov_b32 s0, 0
	s_mov_b32 s2, exec_lo
	s_waitcnt lgkmcnt(0)
	s_barrier
	buffer_gl0_inv
                                        ; implicit-def: $vgpr9
                                        ; implicit-def: $vgpr4
	v_cmpx_gt_u32_e32 32, v0
	s_xor_b32 s2, exec_lo, s2
; %bb.23:
	v_mad_u32_u24 v9, 0xf8, v0, v3
	v_lshl_or_b32 v4, v0, 5, 1
	s_mov_b32 s0, exec_lo
; %bb.24:
	s_or_b32 exec_lo, exec_lo, s2
	s_delay_alu instid0(SALU_CYCLE_1)
	s_and_b32 vcc_lo, exec_lo, s1
	s_cbranch_vccnz .LBB111_29
	s_branch .LBB111_40
.LBB111_25:
	v_dual_mov_b32 v1, s4 :: v_dual_mov_b32 v2, s5
	flat_load_b32 v7, v[1:2]
	v_cndmask_b32_e64 v1, 0, 1, s6
	v_mov_b32_e32 v8, s5
	s_and_not1_b32 vcc_lo, exec_lo, s6
	s_cbranch_vccnz .LBB111_2
.LBB111_26:
	v_dual_mov_b32 v2, s4 :: v_dual_mov_b32 v3, s5
	flat_load_b32 v8, v[2:3] offset:4
	v_cmp_ne_u32_e32 vcc_lo, 1, v1
	v_mov_b32_e32 v5, s2
	s_cbranch_vccnz .LBB111_3
.LBB111_27:
	v_dual_mov_b32 v2, s2 :: v_dual_mov_b32 v3, s3
	flat_load_b32 v5, v[2:3]
	v_cmp_ne_u32_e32 vcc_lo, 1, v1
	v_mov_b32_e32 v6, s3
	s_cbranch_vccz .LBB111_4
	s_branch .LBB111_5
.LBB111_28:
	s_mov_b32 s0, 0
                                        ; implicit-def: $vgpr9
                                        ; implicit-def: $vgpr4
	s_cbranch_execz .LBB111_40
.LBB111_29:
	s_mov_b32 s1, exec_lo
	v_cmpx_gt_u32_e32 0x200, v0
	s_cbranch_execz .LBB111_31
; %bb.30:
	ds_load_2addr_stride64_b64 v[9:12], v3 offset1:8
	s_waitcnt lgkmcnt(0)
	v_dual_add_f32 v9, v11, v9 :: v_dual_add_f32 v10, v12, v10
	ds_store_b64 v3, v[9:10]
.LBB111_31:
	s_or_b32 exec_lo, exec_lo, s1
	s_delay_alu instid0(SALU_CYCLE_1)
	s_mov_b32 s1, exec_lo
	s_waitcnt lgkmcnt(0)
	s_barrier
	buffer_gl0_inv
	v_cmpx_gt_u32_e32 0x100, v0
	s_cbranch_execz .LBB111_33
; %bb.32:
	ds_load_2addr_stride64_b64 v[9:12], v3 offset1:4
	s_waitcnt lgkmcnt(0)
	v_dual_add_f32 v9, v11, v9 :: v_dual_add_f32 v10, v12, v10
	ds_store_b64 v3, v[9:10]
.LBB111_33:
	s_or_b32 exec_lo, exec_lo, s1
	s_delay_alu instid0(SALU_CYCLE_1)
	s_mov_b32 s1, exec_lo
	s_waitcnt lgkmcnt(0)
	s_barrier
	buffer_gl0_inv
	;; [unrolled: 14-line block ×3, first 2 shown]
	v_cmpx_gt_u32_e32 64, v0
	s_cbranch_execz .LBB111_37
; %bb.36:
	ds_load_2addr_stride64_b64 v[9:12], v3 offset1:1
	s_waitcnt lgkmcnt(0)
	v_dual_add_f32 v9, v11, v9 :: v_dual_add_f32 v10, v12, v10
	ds_store_b64 v3, v[9:10]
.LBB111_37:
	s_or_b32 exec_lo, exec_lo, s1
	s_delay_alu instid0(SALU_CYCLE_1)
	s_mov_b32 s1, exec_lo
	s_waitcnt lgkmcnt(0)
	buffer_gl0_inv
                                        ; implicit-def: $vgpr4
	v_cmpx_gt_u32_e32 32, v0
; %bb.38:
	v_or_b32_e32 v4, 32, v0
	s_or_b32 s0, s0, exec_lo
                                        ; implicit-def: $vgpr2
; %bb.39:
	s_or_b32 exec_lo, exec_lo, s1
	v_mov_b32_e32 v9, v3
.LBB111_40:
	s_and_saveexec_b32 s1, s0
	s_cbranch_execnz .LBB111_43
; %bb.41:
	s_or_b32 exec_lo, exec_lo, s1
	v_cmp_gt_u32_e32 vcc_lo, 32, v0
	s_and_b32 exec_lo, exec_lo, vcc_lo
	s_cbranch_execnz .LBB111_44
.LBB111_42:
	s_nop 0
	s_sendmsg sendmsg(MSG_DEALLOC_VGPRS)
	s_endpgm
.LBB111_43:
	v_lshlrev_b32_e32 v3, 3, v4
	ds_load_2addr_b32 v[1:2], v9 offset1:1
	ds_load_b64 v[3:4], v3
	s_waitcnt lgkmcnt(0)
	v_dual_add_f32 v2, v4, v2 :: v_dual_add_f32 v1, v3, v1
	s_or_b32 exec_lo, exec_lo, s1
	v_cmp_gt_u32_e32 vcc_lo, 32, v0
	s_and_b32 exec_lo, exec_lo, vcc_lo
	s_cbranch_execz .LBB111_42
.LBB111_44:
	v_mul_f32_e64 v3, v2, -v8
	v_mul_f32_e32 v4, v2, v7
	v_cmp_eq_f32_e32 vcc_lo, 0, v5
	v_cmp_eq_f32_e64 s0, 0, v6
	v_lshl_or_b32 v0, s8, 5, v0
	v_fmac_f32_e32 v3, v7, v1
	v_fmac_f32_e32 v4, v8, v1
	s_delay_alu instid0(VALU_DEP_4) | instskip(NEXT) | instid1(SALU_CYCLE_1)
	s_and_b32 s0, vcc_lo, s0
	s_and_saveexec_b32 s1, s0
	s_delay_alu instid0(SALU_CYCLE_1)
	s_xor_b32 s0, exec_lo, s1
	s_cbranch_execz .LBB111_46
; %bb.45:
	v_mov_b32_e32 v1, 0
                                        ; implicit-def: $vgpr5
                                        ; implicit-def: $vgpr6
	s_delay_alu instid0(VALU_DEP_1) | instskip(NEXT) | instid1(VALU_DEP_1)
	v_lshlrev_b64 v[0:1], 3, v[0:1]
	v_add_co_u32 v0, vcc_lo, s10, v0
	s_delay_alu instid0(VALU_DEP_2)
	v_add_co_ci_u32_e32 v1, vcc_lo, s11, v1, vcc_lo
	global_store_b64 v[0:1], v[3:4], off
                                        ; implicit-def: $vgpr0
                                        ; implicit-def: $vgpr3
.LBB111_46:
	s_and_not1_saveexec_b32 s0, s0
	s_cbranch_execz .LBB111_42
; %bb.47:
	v_mov_b32_e32 v1, 0
	s_delay_alu instid0(VALU_DEP_1) | instskip(NEXT) | instid1(VALU_DEP_1)
	v_lshlrev_b64 v[0:1], 3, v[0:1]
	v_add_co_u32 v0, vcc_lo, s10, v0
	s_delay_alu instid0(VALU_DEP_2) | instskip(SKIP_4) | instid1(VALU_DEP_2)
	v_add_co_ci_u32_e32 v1, vcc_lo, s11, v1, vcc_lo
	global_load_b64 v[7:8], v[0:1], off
	s_waitcnt vmcnt(0)
	v_fmac_f32_e32 v4, v6, v7
	v_fmac_f32_e32 v3, v5, v7
	;; [unrolled: 1-line block ×3, first 2 shown]
	s_delay_alu instid0(VALU_DEP_2)
	v_fma_f32 v3, -v6, v8, v3
	global_store_b64 v[0:1], v[3:4], off
	s_nop 0
	s_sendmsg sendmsg(MSG_DEALLOC_VGPRS)
	s_endpgm
	.section	.rodata,"a",@progbits
	.p2align	6, 0x0
	.amdhsa_kernel _ZN9rocsparseL20bsrxmvn_17_32_kernelILj32E21rocsparse_complex_numIfEliS2_S2_S2_EEvT2_20rocsparse_direction_NS_24const_host_device_scalarIT0_EES3_PKS3_PKT1_SC_S9_PKT3_PKT4_S7_PT5_21rocsparse_index_base_b
		.amdhsa_group_segment_fixed_size 8192
		.amdhsa_private_segment_fixed_size 0
		.amdhsa_kernarg_size 96
		.amdhsa_user_sgpr_count 15
		.amdhsa_user_sgpr_dispatch_ptr 0
		.amdhsa_user_sgpr_queue_ptr 0
		.amdhsa_user_sgpr_kernarg_segment_ptr 1
		.amdhsa_user_sgpr_dispatch_id 0
		.amdhsa_user_sgpr_private_segment_size 0
		.amdhsa_wavefront_size32 1
		.amdhsa_uses_dynamic_stack 0
		.amdhsa_enable_private_segment 0
		.amdhsa_system_sgpr_workgroup_id_x 1
		.amdhsa_system_sgpr_workgroup_id_y 0
		.amdhsa_system_sgpr_workgroup_id_z 0
		.amdhsa_system_sgpr_workgroup_info 0
		.amdhsa_system_vgpr_workitem_id 0
		.amdhsa_next_free_vgpr 15
		.amdhsa_next_free_sgpr 26
		.amdhsa_reserve_vcc 1
		.amdhsa_float_round_mode_32 0
		.amdhsa_float_round_mode_16_64 0
		.amdhsa_float_denorm_mode_32 3
		.amdhsa_float_denorm_mode_16_64 3
		.amdhsa_dx10_clamp 1
		.amdhsa_ieee_mode 1
		.amdhsa_fp16_overflow 0
		.amdhsa_workgroup_processor_mode 1
		.amdhsa_memory_ordered 1
		.amdhsa_forward_progress 0
		.amdhsa_shared_vgpr_count 0
		.amdhsa_exception_fp_ieee_invalid_op 0
		.amdhsa_exception_fp_denorm_src 0
		.amdhsa_exception_fp_ieee_div_zero 0
		.amdhsa_exception_fp_ieee_overflow 0
		.amdhsa_exception_fp_ieee_underflow 0
		.amdhsa_exception_fp_ieee_inexact 0
		.amdhsa_exception_int_div_zero 0
	.end_amdhsa_kernel
	.section	.text._ZN9rocsparseL20bsrxmvn_17_32_kernelILj32E21rocsparse_complex_numIfEliS2_S2_S2_EEvT2_20rocsparse_direction_NS_24const_host_device_scalarIT0_EES3_PKS3_PKT1_SC_S9_PKT3_PKT4_S7_PT5_21rocsparse_index_base_b,"axG",@progbits,_ZN9rocsparseL20bsrxmvn_17_32_kernelILj32E21rocsparse_complex_numIfEliS2_S2_S2_EEvT2_20rocsparse_direction_NS_24const_host_device_scalarIT0_EES3_PKS3_PKT1_SC_S9_PKT3_PKT4_S7_PT5_21rocsparse_index_base_b,comdat
.Lfunc_end111:
	.size	_ZN9rocsparseL20bsrxmvn_17_32_kernelILj32E21rocsparse_complex_numIfEliS2_S2_S2_EEvT2_20rocsparse_direction_NS_24const_host_device_scalarIT0_EES3_PKS3_PKT1_SC_S9_PKT3_PKT4_S7_PT5_21rocsparse_index_base_b, .Lfunc_end111-_ZN9rocsparseL20bsrxmvn_17_32_kernelILj32E21rocsparse_complex_numIfEliS2_S2_S2_EEvT2_20rocsparse_direction_NS_24const_host_device_scalarIT0_EES3_PKS3_PKT1_SC_S9_PKT3_PKT4_S7_PT5_21rocsparse_index_base_b
                                        ; -- End function
	.section	.AMDGPU.csdata,"",@progbits
; Kernel info:
; codeLenInByte = 1696
; NumSgprs: 28
; NumVgprs: 15
; ScratchSize: 0
; MemoryBound: 0
; FloatMode: 240
; IeeeMode: 1
; LDSByteSize: 8192 bytes/workgroup (compile time only)
; SGPRBlocks: 3
; VGPRBlocks: 1
; NumSGPRsForWavesPerEU: 28
; NumVGPRsForWavesPerEU: 15
; Occupancy: 16
; WaveLimiterHint : 1
; COMPUTE_PGM_RSRC2:SCRATCH_EN: 0
; COMPUTE_PGM_RSRC2:USER_SGPR: 15
; COMPUTE_PGM_RSRC2:TRAP_HANDLER: 0
; COMPUTE_PGM_RSRC2:TGID_X_EN: 1
; COMPUTE_PGM_RSRC2:TGID_Y_EN: 0
; COMPUTE_PGM_RSRC2:TGID_Z_EN: 0
; COMPUTE_PGM_RSRC2:TIDIG_COMP_CNT: 0
	.section	.text._ZN9rocsparseL20bsrxmvn_17_32_kernelILj17E21rocsparse_complex_numIdEliS2_S2_S2_EEvT2_20rocsparse_direction_NS_24const_host_device_scalarIT0_EES3_PKS3_PKT1_SC_S9_PKT3_PKT4_S7_PT5_21rocsparse_index_base_b,"axG",@progbits,_ZN9rocsparseL20bsrxmvn_17_32_kernelILj17E21rocsparse_complex_numIdEliS2_S2_S2_EEvT2_20rocsparse_direction_NS_24const_host_device_scalarIT0_EES3_PKS3_PKT1_SC_S9_PKT3_PKT4_S7_PT5_21rocsparse_index_base_b,comdat
	.globl	_ZN9rocsparseL20bsrxmvn_17_32_kernelILj17E21rocsparse_complex_numIdEliS2_S2_S2_EEvT2_20rocsparse_direction_NS_24const_host_device_scalarIT0_EES3_PKS3_PKT1_SC_S9_PKT3_PKT4_S7_PT5_21rocsparse_index_base_b ; -- Begin function _ZN9rocsparseL20bsrxmvn_17_32_kernelILj17E21rocsparse_complex_numIdEliS2_S2_S2_EEvT2_20rocsparse_direction_NS_24const_host_device_scalarIT0_EES3_PKS3_PKT1_SC_S9_PKT3_PKT4_S7_PT5_21rocsparse_index_base_b
	.p2align	8
	.type	_ZN9rocsparseL20bsrxmvn_17_32_kernelILj17E21rocsparse_complex_numIdEliS2_S2_S2_EEvT2_20rocsparse_direction_NS_24const_host_device_scalarIT0_EES3_PKS3_PKT1_SC_S9_PKT3_PKT4_S7_PT5_21rocsparse_index_base_b,@function
_ZN9rocsparseL20bsrxmvn_17_32_kernelILj17E21rocsparse_complex_numIdEliS2_S2_S2_EEvT2_20rocsparse_direction_NS_24const_host_device_scalarIT0_EES3_PKS3_PKT1_SC_S9_PKT3_PKT4_S7_PT5_21rocsparse_index_base_b: ; @_ZN9rocsparseL20bsrxmvn_17_32_kernelILj17E21rocsparse_complex_numIdEliS2_S2_S2_EEvT2_20rocsparse_direction_NS_24const_host_device_scalarIT0_EES3_PKS3_PKT1_SC_S9_PKT3_PKT4_S7_PT5_21rocsparse_index_base_b
; %bb.0:
	s_mov_b32 s12, s15
	s_clause 0x1
	s_load_b64 s[14:15], s[2:3], 0x68
	s_load_b128 s[4:7], s[2:3], 0x8
	s_load_b64 s[16:17], s[0:1], 0x4
	s_mov_b64 s[0:1], src_shared_base
	v_and_b32_e32 v4, 0x3ff, v0
	s_load_b128 s[8:11], s[2:3], 0x50
	v_bfe_u32 v2, v0, 10, 10
	v_bfe_u32 v0, v0, 20, 10
	s_waitcnt lgkmcnt(0)
	s_bitcmp1_b32 s15, 0
	v_mov_b32_e32 v12, s7
	s_cselect_b32 s0, -1, 0
	v_mov_b32_e32 v11, s6
	s_and_b32 vcc_lo, s0, exec_lo
	s_cselect_b32 s13, s1, s5
	s_lshr_b32 s15, s16, 16
	v_mov_b32_e32 v6, s13
	s_mul_i32 s15, s15, s17
	s_xor_b32 s6, s0, -1
	v_mul_lo_u32 v1, s15, v4
	s_delay_alu instid0(VALU_DEP_1) | instskip(SKIP_1) | instid1(VALU_DEP_2)
	v_mad_u32_u24 v1, v2, s17, v1
	v_dual_mov_b32 v2, s8 :: v_dual_mov_b32 v3, s9
	v_add_lshl_u32 v7, v1, v0, 3
	v_dual_mov_b32 v0, s4 :: v_dual_mov_b32 v1, s5
	ds_store_b64 v7, v[0:1] offset:6936
	ds_store_b64 v7, v[2:3] offset:4624
	v_add_nc_u32_e32 v5, 0x1b18, v7
	v_add_nc_u32_e32 v0, 0x1210, v7
	s_delay_alu instid0(VALU_DEP_2)
	v_cndmask_b32_e64 v5, s4, v5, s0
	flat_load_b64 v[9:10], v[5:6]
	s_cbranch_vccnz .LBB112_2
; %bb.1:
	v_dual_mov_b32 v1, s4 :: v_dual_mov_b32 v2, s5
	flat_load_b64 v[11:12], v[1:2] offset:8
.LBB112_2:
	s_and_b32 s4, s0, exec_lo
	s_cselect_b32 s1, s1, s9
	v_cndmask_b32_e64 v0, s8, v0, s0
	v_mov_b32_e32 v1, s1
	v_dual_mov_b32 v7, s10 :: v_dual_mov_b32 v8, s11
	s_and_not1_b32 vcc_lo, exec_lo, s6
	flat_load_b64 v[5:6], v[0:1]
	s_cbranch_vccnz .LBB112_4
; %bb.3:
	v_dual_mov_b32 v0, s8 :: v_dual_mov_b32 v1, s9
	flat_load_b64 v[7:8], v[0:1] offset:8
.LBB112_4:
	s_waitcnt vmcnt(1) lgkmcnt(1)
	v_cmp_eq_f64_e32 vcc_lo, 0, v[9:10]
	v_cmp_eq_f64_e64 s0, 0, v[11:12]
	s_delay_alu instid0(VALU_DEP_1)
	s_and_b32 s4, vcc_lo, s0
	s_mov_b32 s0, -1
	s_and_saveexec_b32 s1, s4
	s_cbranch_execz .LBB112_6
; %bb.5:
	s_waitcnt vmcnt(0) lgkmcnt(0)
	v_cmp_neq_f64_e32 vcc_lo, 1.0, v[5:6]
	v_cmp_neq_f64_e64 s0, 0, v[7:8]
	s_delay_alu instid0(VALU_DEP_1) | instskip(NEXT) | instid1(SALU_CYCLE_1)
	s_or_b32 s0, vcc_lo, s0
	s_or_not1_b32 s0, s0, exec_lo
.LBB112_6:
	s_or_b32 exec_lo, exec_lo, s1
	s_and_saveexec_b32 s1, s0
	s_cbranch_execz .LBB112_43
; %bb.7:
	s_clause 0x1
	s_load_b128 s[4:7], s[2:3], 0x20
	s_load_b64 s[8:9], s[2:3], 0x30
	s_waitcnt lgkmcnt(0)
	s_cmp_eq_u64 s[4:5], 0
	s_cbranch_scc1 .LBB112_9
; %bb.8:
	s_ashr_i32 s13, s12, 31
	s_delay_alu instid0(SALU_CYCLE_1) | instskip(NEXT) | instid1(SALU_CYCLE_1)
	s_lshl_b64 s[0:1], s[12:13], 2
	s_add_u32 s0, s4, s0
	s_addc_u32 s1, s5, s1
	s_load_b32 s0, s[0:1], 0x0
	s_waitcnt lgkmcnt(0)
	s_sub_i32 s12, s0, s14
.LBB112_9:
	s_load_b32 s1, s[2:3], 0x4
	v_mul_u32_u24_e32 v0, 0xf10, v4
	v_mov_b32_e32 v2, 0
	v_dual_mov_b32 v3, 0 :: v_dual_lshlrev_b32 v18, 4, v4
	s_delay_alu instid0(VALU_DEP_3) | instskip(NEXT) | instid1(VALU_DEP_1)
	v_lshrrev_b32_e32 v13, 16, v0
	v_mul_lo_u16 v0, v13, 17
	s_delay_alu instid0(VALU_DEP_1) | instskip(NEXT) | instid1(VALU_DEP_4)
	v_sub_nc_u16 v19, v4, v0
	v_dual_mov_b32 v0, v2 :: v_dual_mov_b32 v1, v3
	s_waitcnt lgkmcnt(0)
	s_cmp_eq_u32 s1, 1
	s_cselect_b32 s0, -1, 0
	s_cmp_lg_u32 s1, 1
	s_cselect_b32 s1, -1, 0
	s_ashr_i32 s13, s12, 31
	s_delay_alu instid0(SALU_CYCLE_1) | instskip(NEXT) | instid1(SALU_CYCLE_1)
	s_lshl_b64 s[4:5], s[12:13], 3
	s_add_u32 s6, s6, s4
	s_addc_u32 s7, s7, s5
	s_add_u32 s10, s6, 8
	s_addc_u32 s11, s7, 0
	;; [unrolled: 2-line block ×3, first 2 shown]
	s_cmp_eq_u64 s[8:9], 0
	s_cselect_b32 s5, s11, s5
	s_cselect_b32 s4, s10, s4
	s_load_b64 s[10:11], s[6:7], 0x0
	s_load_b64 s[8:9], s[4:5], 0x0
	;; [unrolled: 1-line block ×3, first 2 shown]
	s_waitcnt lgkmcnt(0)
	v_cmp_ge_i64_e64 s6, s[10:11], s[8:9]
	s_delay_alu instid0(VALU_DEP_1)
	s_and_b32 vcc_lo, exec_lo, s6
	s_cbranch_vccnz .LBB112_14
; %bb.10:
	v_mul_lo_u16 v0, v13, 31
	v_and_b32_e32 v1, 0xffff, v4
	s_clause 0x1
	s_load_b64 s[6:7], s[2:3], 0x48
	s_load_b128 s[16:19], s[2:3], 0x38
	s_sub_u32 s2, s8, s14
	s_subb_u32 s3, s9, 0
	v_lshrrev_b16 v0, 9, v0
	v_mul_u32_u24_e32 v1, 0xe3, v1
	s_sub_u32 s8, s10, s14
	v_and_b32_e32 v2, 0xffff, v19
	s_subb_u32 s9, s11, 0
	v_mul_lo_u16 v0, v0, 17
	v_lshrrev_b32_e32 v20, 16, v1
	s_mul_hi_u32 s13, s8, 0x1210
	s_mul_i32 s15, s9, 0x1210
	s_delay_alu instid0(SALU_CYCLE_1) | instskip(SKIP_2) | instid1(VALU_DEP_1)
	s_add_i32 s13, s13, s15
	v_sub_nc_u16 v0, v13, v0
	v_add_co_u32 v1, s10, s10, v20
	v_add_co_ci_u32_e64 v3, null, s11, 0, s10
	s_delay_alu instid0(VALU_DEP_3) | instskip(NEXT) | instid1(VALU_DEP_3)
	v_and_b32_e32 v13, 0xff, v0
	v_sub_co_u32 v0, vcc_lo, v1, s14
	s_delay_alu instid0(VALU_DEP_3) | instskip(NEXT) | instid1(VALU_DEP_3)
	v_subrev_co_ci_u32_e32 v1, vcc_lo, 0, v3, vcc_lo
	v_cndmask_b32_e64 v13, v2, v13, s0
	s_mul_i32 s0, s8, 0x1210
	v_mov_b32_e32 v2, 0
	s_delay_alu instid0(VALU_DEP_3)
	v_lshlrev_b64 v[0:1], 2, v[0:1]
	v_mov_b32_e32 v3, 0
	s_waitcnt lgkmcnt(0)
	s_add_u32 s0, s18, s0
	s_addc_u32 s10, s19, s13
	v_add_co_u32 v14, s0, s0, v18
	v_add_co_u32 v16, vcc_lo, s16, v0
	v_add_co_ci_u32_e32 v17, vcc_lo, s17, v1, vcc_lo
	v_mov_b32_e32 v0, v2
	v_add_co_ci_u32_e64 v15, null, s10, 0, s0
	v_mov_b32_e32 v1, v3
	s_set_inst_prefetch_distance 0x1
	s_branch .LBB112_12
	.p2align	6
.LBB112_11:                             ;   in Loop: Header=BB112_12 Depth=1
	s_or_b32 exec_lo, exec_lo, s0
	s_add_u32 s8, s8, 1
	s_addc_u32 s9, s9, 0
	v_add_co_u32 v16, vcc_lo, v16, 4
	v_cmp_lt_i64_e64 s0, s[8:9], s[2:3]
	v_add_co_ci_u32_e32 v17, vcc_lo, 0, v17, vcc_lo
	s_delay_alu instid0(VALU_DEP_2)
	s_and_b32 vcc_lo, exec_lo, s0
	s_cbranch_vccz .LBB112_14
.LBB112_12:                             ; =>This Inner Loop Header: Depth=1
	v_add_co_u32 v21, s0, v20, s8
	s_delay_alu instid0(VALU_DEP_1) | instskip(SKIP_1) | instid1(VALU_DEP_1)
	v_add_co_ci_u32_e64 v22, null, 0, s9, s0
	s_mov_b32 s0, exec_lo
	v_cmpx_gt_i64_e64 s[2:3], v[21:22]
	s_cbranch_execz .LBB112_11
; %bb.13:                               ;   in Loop: Header=BB112_12 Depth=1
	global_load_b32 v21, v[16:17], off
	s_waitcnt vmcnt(0)
	v_subrev_nc_u32_e32 v23, s14, v21
	s_delay_alu instid0(VALU_DEP_1) | instskip(NEXT) | instid1(VALU_DEP_1)
	v_mad_u64_u32 v[21:22], null, v23, 17, v[13:14]
	v_ashrrev_i32_e32 v22, 31, v21
	s_delay_alu instid0(VALU_DEP_1) | instskip(NEXT) | instid1(VALU_DEP_1)
	v_lshlrev_b64 v[21:22], 4, v[21:22]
	v_add_co_u32 v25, vcc_lo, s6, v21
	s_delay_alu instid0(VALU_DEP_2)
	v_add_co_ci_u32_e32 v26, vcc_lo, s7, v22, vcc_lo
	global_load_b128 v[21:24], v[14:15], off
	global_load_b128 v[25:28], v[25:26], off
	v_add_co_u32 v14, vcc_lo, 0x1210, v14
	v_add_co_ci_u32_e32 v15, vcc_lo, 0, v15, vcc_lo
	s_waitcnt vmcnt(0)
	v_fma_f64 v[0:1], v[21:22], v[25:26], v[0:1]
	v_fma_f64 v[2:3], v[23:24], v[25:26], v[2:3]
	s_delay_alu instid0(VALU_DEP_2) | instskip(NEXT) | instid1(VALU_DEP_2)
	v_fma_f64 v[0:1], -v[23:24], v[27:28], v[0:1]
	v_fma_f64 v[2:3], v[21:22], v[27:28], v[2:3]
	s_branch .LBB112_11
.LBB112_14:
	s_set_inst_prefetch_distance 0x2
	s_and_b32 vcc_lo, exec_lo, s1
	ds_store_b128 v18, v[0:3]
	s_waitcnt vmcnt(0) lgkmcnt(0)
	s_barrier
	buffer_gl0_inv
	s_cbranch_vccz .LBB112_26
; %bb.15:
	s_mov_b32 s0, exec_lo
	v_cmpx_eq_u16_e32 0, v19
	s_cbranch_execz .LBB112_17
; %bb.16:
	ds_load_b128 v[13:16], v18 offset:256
	ds_load_b128 v[20:23], v18
	s_waitcnt lgkmcnt(0)
	v_add_f64 v[13:14], v[13:14], v[20:21]
	v_add_f64 v[15:16], v[15:16], v[22:23]
	ds_store_b128 v18, v[13:16]
.LBB112_17:
	s_or_b32 exec_lo, exec_lo, s0
	s_delay_alu instid0(SALU_CYCLE_1)
	s_mov_b32 s0, exec_lo
	s_waitcnt lgkmcnt(0)
	s_barrier
	buffer_gl0_inv
	v_cmpx_gt_u16_e32 8, v19
	s_cbranch_execz .LBB112_19
; %bb.18:
	ds_load_b128 v[13:16], v18 offset:128
	ds_load_b128 v[20:23], v18
	s_waitcnt lgkmcnt(0)
	v_add_f64 v[13:14], v[13:14], v[20:21]
	v_add_f64 v[15:16], v[15:16], v[22:23]
	ds_store_b128 v18, v[13:16]
.LBB112_19:
	s_or_b32 exec_lo, exec_lo, s0
	s_delay_alu instid0(SALU_CYCLE_1)
	s_mov_b32 s0, exec_lo
	s_waitcnt lgkmcnt(0)
	s_barrier
	buffer_gl0_inv
	v_cmpx_gt_u16_e32 4, v19
	;; [unrolled: 16-line block ×3, first 2 shown]
	s_cbranch_execz .LBB112_23
; %bb.22:
	ds_load_b128 v[13:16], v18
	ds_load_b128 v[19:22], v18 offset:32
	s_waitcnt lgkmcnt(0)
	v_add_f64 v[13:14], v[19:20], v[13:14]
	v_add_f64 v[15:16], v[21:22], v[15:16]
	ds_store_b128 v18, v[13:16]
.LBB112_23:
	s_or_b32 exec_lo, exec_lo, s0
	v_dual_mov_b32 v16, v3 :: v_dual_mov_b32 v15, v2
	v_dual_mov_b32 v14, v1 :: v_dual_mov_b32 v13, v0
	s_mov_b32 s0, exec_lo
	s_waitcnt lgkmcnt(0)
	s_barrier
	buffer_gl0_inv
	v_cmpx_gt_u32_e32 17, v4
	s_cbranch_execz .LBB112_25
; %bb.24:
	v_mul_u32_u24_e32 v13, 17, v4
	s_delay_alu instid0(VALU_DEP_1)
	v_lshlrev_b32_e32 v17, 4, v13
	ds_load_b128 v[13:16], v17
	ds_load_b128 v[19:22], v17 offset:16
	s_waitcnt lgkmcnt(0)
	v_add_f64 v[13:14], v[19:20], v[13:14]
	v_add_f64 v[15:16], v[21:22], v[15:16]
.LBB112_25:
	s_or_b32 exec_lo, exec_lo, s0
	v_cmp_gt_u32_e64 s0, 17, v4
	s_branch .LBB112_38
.LBB112_26:
                                        ; implicit-def: $vgpr15_vgpr16
                                        ; implicit-def: $vgpr13_vgpr14
	v_cmp_gt_u32_e64 s0, 17, v4
	s_cbranch_execz .LBB112_38
; %bb.27:
	s_delay_alu instid0(VALU_DEP_1)
	s_and_saveexec_b32 s1, s0
	s_cbranch_execz .LBB112_29
; %bb.28:
	ds_load_b128 v[13:16], v18 offset:4352
	ds_load_b128 v[19:22], v18
	s_waitcnt lgkmcnt(0)
	v_add_f64 v[13:14], v[13:14], v[19:20]
	v_add_f64 v[15:16], v[15:16], v[21:22]
	ds_store_b128 v18, v[13:16]
.LBB112_29:
	s_or_b32 exec_lo, exec_lo, s1
	s_delay_alu instid0(SALU_CYCLE_1)
	s_mov_b32 s1, exec_lo
	s_waitcnt lgkmcnt(0)
	s_barrier
	buffer_gl0_inv
	v_cmpx_gt_u32_e32 0x88, v4
	s_cbranch_execz .LBB112_31
; %bb.30:
	ds_load_b128 v[13:16], v18 offset:2176
	ds_load_b128 v[19:22], v18
	s_waitcnt lgkmcnt(0)
	v_add_f64 v[13:14], v[13:14], v[19:20]
	v_add_f64 v[15:16], v[15:16], v[21:22]
	ds_store_b128 v18, v[13:16]
.LBB112_31:
	s_or_b32 exec_lo, exec_lo, s1
	s_delay_alu instid0(SALU_CYCLE_1)
	s_mov_b32 s1, exec_lo
	s_waitcnt lgkmcnt(0)
	s_barrier
	buffer_gl0_inv
	v_cmpx_gt_u32_e32 0x44, v4
	;; [unrolled: 16-line block ×3, first 2 shown]
	s_cbranch_execz .LBB112_35
; %bb.34:
	ds_load_b128 v[13:16], v18 offset:544
	ds_load_b128 v[19:22], v18
	s_waitcnt lgkmcnt(0)
	v_add_f64 v[13:14], v[13:14], v[19:20]
	v_add_f64 v[15:16], v[15:16], v[21:22]
	ds_store_b128 v18, v[13:16]
.LBB112_35:
	s_or_b32 exec_lo, exec_lo, s1
	s_waitcnt lgkmcnt(0)
	buffer_gl0_inv
	s_and_saveexec_b32 s1, s0
	s_cbranch_execz .LBB112_37
; %bb.36:
	ds_load_b128 v[0:3], v18 offset:272
	ds_load_b128 v[13:16], v18
	s_waitcnt lgkmcnt(0)
	v_add_f64 v[0:1], v[0:1], v[13:14]
	v_add_f64 v[2:3], v[2:3], v[15:16]
.LBB112_37:
	s_or_b32 exec_lo, exec_lo, s1
	s_delay_alu instid0(VALU_DEP_1) | instskip(NEXT) | instid1(VALU_DEP_3)
	v_dual_mov_b32 v16, v3 :: v_dual_mov_b32 v15, v2
	v_dual_mov_b32 v14, v1 :: v_dual_mov_b32 v13, v0
.LBB112_38:
	v_cmp_gt_u32_e32 vcc_lo, 17, v4
	s_and_b32 exec_lo, exec_lo, vcc_lo
	s_cbranch_execz .LBB112_43
; %bb.39:
	s_delay_alu instid0(VALU_DEP_3) | instskip(SKIP_3) | instid1(VALU_DEP_4)
	v_mul_f64 v[0:1], v[15:16], -v[11:12]
	v_mul_f64 v[2:3], v[9:10], v[15:16]
	v_cmp_eq_f64_e32 vcc_lo, 0, v[5:6]
	v_cmp_eq_f64_e64 s0, 0, v[7:8]
	v_fma_f64 v[0:1], v[9:10], v[13:14], v[0:1]
	s_delay_alu instid0(VALU_DEP_4) | instskip(NEXT) | instid1(VALU_DEP_3)
	v_fma_f64 v[2:3], v[11:12], v[13:14], v[2:3]
	s_and_b32 s0, vcc_lo, s0
	s_delay_alu instid0(SALU_CYCLE_1) | instskip(NEXT) | instid1(SALU_CYCLE_1)
	s_and_saveexec_b32 s1, s0
	s_xor_b32 s0, exec_lo, s1
	s_cbranch_execz .LBB112_41
; %bb.40:
	v_mad_u64_u32 v[5:6], null, s12, 17, v[4:5]
	v_mov_b32_e32 v6, 0
                                        ; implicit-def: $vgpr7_vgpr8
	s_delay_alu instid0(VALU_DEP_1) | instskip(NEXT) | instid1(VALU_DEP_1)
	v_lshlrev_b64 v[4:5], 4, v[5:6]
	v_add_co_u32 v4, vcc_lo, s4, v4
	s_delay_alu instid0(VALU_DEP_2)
	v_add_co_ci_u32_e32 v5, vcc_lo, s5, v5, vcc_lo
	global_store_b128 v[4:5], v[0:3], off
                                        ; implicit-def: $vgpr4
                                        ; implicit-def: $vgpr5_vgpr6
                                        ; implicit-def: $vgpr0_vgpr1
.LBB112_41:
	s_and_not1_saveexec_b32 s0, s0
	s_cbranch_execz .LBB112_43
; %bb.42:
	v_mad_u64_u32 v[9:10], null, s12, 17, v[4:5]
	v_mov_b32_e32 v10, 0
	s_delay_alu instid0(VALU_DEP_1) | instskip(NEXT) | instid1(VALU_DEP_1)
	v_lshlrev_b64 v[9:10], 4, v[9:10]
	v_add_co_u32 v13, vcc_lo, s4, v9
	s_delay_alu instid0(VALU_DEP_2) | instskip(SKIP_4) | instid1(VALU_DEP_2)
	v_add_co_ci_u32_e32 v14, vcc_lo, s5, v10, vcc_lo
	global_load_b128 v[9:12], v[13:14], off
	s_waitcnt vmcnt(0)
	v_fma_f64 v[0:1], v[5:6], v[9:10], v[0:1]
	v_fma_f64 v[2:3], v[7:8], v[9:10], v[2:3]
	v_fma_f64 v[0:1], -v[7:8], v[11:12], v[0:1]
	s_delay_alu instid0(VALU_DEP_2)
	v_fma_f64 v[2:3], v[5:6], v[11:12], v[2:3]
	global_store_b128 v[13:14], v[0:3], off
.LBB112_43:
	s_nop 0
	s_sendmsg sendmsg(MSG_DEALLOC_VGPRS)
	s_endpgm
	.section	.rodata,"a",@progbits
	.p2align	6, 0x0
	.amdhsa_kernel _ZN9rocsparseL20bsrxmvn_17_32_kernelILj17E21rocsparse_complex_numIdEliS2_S2_S2_EEvT2_20rocsparse_direction_NS_24const_host_device_scalarIT0_EES3_PKS3_PKT1_SC_S9_PKT3_PKT4_S7_PT5_21rocsparse_index_base_b
		.amdhsa_group_segment_fixed_size 9248
		.amdhsa_private_segment_fixed_size 0
		.amdhsa_kernarg_size 112
		.amdhsa_user_sgpr_count 15
		.amdhsa_user_sgpr_dispatch_ptr 1
		.amdhsa_user_sgpr_queue_ptr 0
		.amdhsa_user_sgpr_kernarg_segment_ptr 1
		.amdhsa_user_sgpr_dispatch_id 0
		.amdhsa_user_sgpr_private_segment_size 0
		.amdhsa_wavefront_size32 1
		.amdhsa_uses_dynamic_stack 0
		.amdhsa_enable_private_segment 0
		.amdhsa_system_sgpr_workgroup_id_x 1
		.amdhsa_system_sgpr_workgroup_id_y 0
		.amdhsa_system_sgpr_workgroup_id_z 0
		.amdhsa_system_sgpr_workgroup_info 0
		.amdhsa_system_vgpr_workitem_id 2
		.amdhsa_next_free_vgpr 29
		.amdhsa_next_free_sgpr 20
		.amdhsa_reserve_vcc 1
		.amdhsa_float_round_mode_32 0
		.amdhsa_float_round_mode_16_64 0
		.amdhsa_float_denorm_mode_32 3
		.amdhsa_float_denorm_mode_16_64 3
		.amdhsa_dx10_clamp 1
		.amdhsa_ieee_mode 1
		.amdhsa_fp16_overflow 0
		.amdhsa_workgroup_processor_mode 1
		.amdhsa_memory_ordered 1
		.amdhsa_forward_progress 0
		.amdhsa_shared_vgpr_count 0
		.amdhsa_exception_fp_ieee_invalid_op 0
		.amdhsa_exception_fp_denorm_src 0
		.amdhsa_exception_fp_ieee_div_zero 0
		.amdhsa_exception_fp_ieee_overflow 0
		.amdhsa_exception_fp_ieee_underflow 0
		.amdhsa_exception_fp_ieee_inexact 0
		.amdhsa_exception_int_div_zero 0
	.end_amdhsa_kernel
	.section	.text._ZN9rocsparseL20bsrxmvn_17_32_kernelILj17E21rocsparse_complex_numIdEliS2_S2_S2_EEvT2_20rocsparse_direction_NS_24const_host_device_scalarIT0_EES3_PKS3_PKT1_SC_S9_PKT3_PKT4_S7_PT5_21rocsparse_index_base_b,"axG",@progbits,_ZN9rocsparseL20bsrxmvn_17_32_kernelILj17E21rocsparse_complex_numIdEliS2_S2_S2_EEvT2_20rocsparse_direction_NS_24const_host_device_scalarIT0_EES3_PKS3_PKT1_SC_S9_PKT3_PKT4_S7_PT5_21rocsparse_index_base_b,comdat
.Lfunc_end112:
	.size	_ZN9rocsparseL20bsrxmvn_17_32_kernelILj17E21rocsparse_complex_numIdEliS2_S2_S2_EEvT2_20rocsparse_direction_NS_24const_host_device_scalarIT0_EES3_PKS3_PKT1_SC_S9_PKT3_PKT4_S7_PT5_21rocsparse_index_base_b, .Lfunc_end112-_ZN9rocsparseL20bsrxmvn_17_32_kernelILj17E21rocsparse_complex_numIdEliS2_S2_S2_EEvT2_20rocsparse_direction_NS_24const_host_device_scalarIT0_EES3_PKS3_PKT1_SC_S9_PKT3_PKT4_S7_PT5_21rocsparse_index_base_b
                                        ; -- End function
	.section	.AMDGPU.csdata,"",@progbits
; Kernel info:
; codeLenInByte = 2176
; NumSgprs: 22
; NumVgprs: 29
; ScratchSize: 0
; MemoryBound: 0
; FloatMode: 240
; IeeeMode: 1
; LDSByteSize: 9248 bytes/workgroup (compile time only)
; SGPRBlocks: 2
; VGPRBlocks: 3
; NumSGPRsForWavesPerEU: 22
; NumVGPRsForWavesPerEU: 29
; Occupancy: 15
; WaveLimiterHint : 1
; COMPUTE_PGM_RSRC2:SCRATCH_EN: 0
; COMPUTE_PGM_RSRC2:USER_SGPR: 15
; COMPUTE_PGM_RSRC2:TRAP_HANDLER: 0
; COMPUTE_PGM_RSRC2:TGID_X_EN: 1
; COMPUTE_PGM_RSRC2:TGID_Y_EN: 0
; COMPUTE_PGM_RSRC2:TGID_Z_EN: 0
; COMPUTE_PGM_RSRC2:TIDIG_COMP_CNT: 2
	.section	.text._ZN9rocsparseL20bsrxmvn_17_32_kernelILj18E21rocsparse_complex_numIdEliS2_S2_S2_EEvT2_20rocsparse_direction_NS_24const_host_device_scalarIT0_EES3_PKS3_PKT1_SC_S9_PKT3_PKT4_S7_PT5_21rocsparse_index_base_b,"axG",@progbits,_ZN9rocsparseL20bsrxmvn_17_32_kernelILj18E21rocsparse_complex_numIdEliS2_S2_S2_EEvT2_20rocsparse_direction_NS_24const_host_device_scalarIT0_EES3_PKS3_PKT1_SC_S9_PKT3_PKT4_S7_PT5_21rocsparse_index_base_b,comdat
	.globl	_ZN9rocsparseL20bsrxmvn_17_32_kernelILj18E21rocsparse_complex_numIdEliS2_S2_S2_EEvT2_20rocsparse_direction_NS_24const_host_device_scalarIT0_EES3_PKS3_PKT1_SC_S9_PKT3_PKT4_S7_PT5_21rocsparse_index_base_b ; -- Begin function _ZN9rocsparseL20bsrxmvn_17_32_kernelILj18E21rocsparse_complex_numIdEliS2_S2_S2_EEvT2_20rocsparse_direction_NS_24const_host_device_scalarIT0_EES3_PKS3_PKT1_SC_S9_PKT3_PKT4_S7_PT5_21rocsparse_index_base_b
	.p2align	8
	.type	_ZN9rocsparseL20bsrxmvn_17_32_kernelILj18E21rocsparse_complex_numIdEliS2_S2_S2_EEvT2_20rocsparse_direction_NS_24const_host_device_scalarIT0_EES3_PKS3_PKT1_SC_S9_PKT3_PKT4_S7_PT5_21rocsparse_index_base_b,@function
_ZN9rocsparseL20bsrxmvn_17_32_kernelILj18E21rocsparse_complex_numIdEliS2_S2_S2_EEvT2_20rocsparse_direction_NS_24const_host_device_scalarIT0_EES3_PKS3_PKT1_SC_S9_PKT3_PKT4_S7_PT5_21rocsparse_index_base_b: ; @_ZN9rocsparseL20bsrxmvn_17_32_kernelILj18E21rocsparse_complex_numIdEliS2_S2_S2_EEvT2_20rocsparse_direction_NS_24const_host_device_scalarIT0_EES3_PKS3_PKT1_SC_S9_PKT3_PKT4_S7_PT5_21rocsparse_index_base_b
; %bb.0:
	s_mov_b32 s12, s15
	s_clause 0x1
	s_load_b64 s[14:15], s[2:3], 0x68
	s_load_b128 s[4:7], s[2:3], 0x8
	s_load_b64 s[16:17], s[0:1], 0x4
	s_mov_b64 s[0:1], src_shared_base
	v_and_b32_e32 v4, 0x3ff, v0
	s_load_b128 s[8:11], s[2:3], 0x50
	v_bfe_u32 v2, v0, 10, 10
	v_bfe_u32 v0, v0, 20, 10
	s_waitcnt lgkmcnt(0)
	s_bitcmp1_b32 s15, 0
	v_mov_b32_e32 v12, s7
	s_cselect_b32 s0, -1, 0
	v_mov_b32_e32 v11, s6
	s_and_b32 vcc_lo, s0, exec_lo
	s_cselect_b32 s13, s1, s5
	s_lshr_b32 s15, s16, 16
	v_mov_b32_e32 v6, s13
	s_mul_i32 s15, s15, s17
	s_xor_b32 s6, s0, -1
	v_mul_lo_u32 v1, s15, v4
	s_delay_alu instid0(VALU_DEP_1) | instskip(SKIP_1) | instid1(VALU_DEP_2)
	v_mad_u32_u24 v1, v2, s17, v1
	v_dual_mov_b32 v2, s8 :: v_dual_mov_b32 v3, s9
	v_add_lshl_u32 v7, v1, v0, 3
	v_dual_mov_b32 v0, s4 :: v_dual_mov_b32 v1, s5
	ds_store_b64 v7, v[0:1] offset:7776
	ds_store_b64 v7, v[2:3] offset:5184
	v_add_nc_u32_e32 v5, 0x1e60, v7
	v_add_nc_u32_e32 v0, 0x1440, v7
	s_delay_alu instid0(VALU_DEP_2)
	v_cndmask_b32_e64 v5, s4, v5, s0
	flat_load_b64 v[9:10], v[5:6]
	s_cbranch_vccnz .LBB113_2
; %bb.1:
	v_dual_mov_b32 v1, s4 :: v_dual_mov_b32 v2, s5
	flat_load_b64 v[11:12], v[1:2] offset:8
.LBB113_2:
	s_and_b32 s4, s0, exec_lo
	s_cselect_b32 s1, s1, s9
	v_cndmask_b32_e64 v0, s8, v0, s0
	v_mov_b32_e32 v1, s1
	v_dual_mov_b32 v7, s10 :: v_dual_mov_b32 v8, s11
	s_and_not1_b32 vcc_lo, exec_lo, s6
	flat_load_b64 v[5:6], v[0:1]
	s_cbranch_vccnz .LBB113_4
; %bb.3:
	v_dual_mov_b32 v0, s8 :: v_dual_mov_b32 v1, s9
	flat_load_b64 v[7:8], v[0:1] offset:8
.LBB113_4:
	s_waitcnt vmcnt(1) lgkmcnt(1)
	v_cmp_eq_f64_e32 vcc_lo, 0, v[9:10]
	v_cmp_eq_f64_e64 s0, 0, v[11:12]
	s_delay_alu instid0(VALU_DEP_1)
	s_and_b32 s4, vcc_lo, s0
	s_mov_b32 s0, -1
	s_and_saveexec_b32 s1, s4
	s_cbranch_execz .LBB113_6
; %bb.5:
	s_waitcnt vmcnt(0) lgkmcnt(0)
	v_cmp_neq_f64_e32 vcc_lo, 1.0, v[5:6]
	v_cmp_neq_f64_e64 s0, 0, v[7:8]
	s_delay_alu instid0(VALU_DEP_1) | instskip(NEXT) | instid1(SALU_CYCLE_1)
	s_or_b32 s0, vcc_lo, s0
	s_or_not1_b32 s0, s0, exec_lo
.LBB113_6:
	s_or_b32 exec_lo, exec_lo, s1
	s_and_saveexec_b32 s1, s0
	s_cbranch_execz .LBB113_43
; %bb.7:
	s_clause 0x1
	s_load_b128 s[4:7], s[2:3], 0x20
	s_load_b64 s[8:9], s[2:3], 0x30
	s_waitcnt lgkmcnt(0)
	s_cmp_eq_u64 s[4:5], 0
	s_cbranch_scc1 .LBB113_9
; %bb.8:
	s_ashr_i32 s13, s12, 31
	s_delay_alu instid0(SALU_CYCLE_1) | instskip(NEXT) | instid1(SALU_CYCLE_1)
	s_lshl_b64 s[0:1], s[12:13], 2
	s_add_u32 s0, s4, s0
	s_addc_u32 s1, s5, s1
	s_load_b32 s0, s[0:1], 0x0
	s_waitcnt lgkmcnt(0)
	s_sub_i32 s12, s0, s14
.LBB113_9:
	s_load_b32 s1, s[2:3], 0x4
	v_mul_u32_u24_e32 v0, 0xe39, v4
	v_mov_b32_e32 v2, 0
	v_dual_mov_b32 v3, 0 :: v_dual_lshlrev_b32 v18, 4, v4
	s_delay_alu instid0(VALU_DEP_3) | instskip(NEXT) | instid1(VALU_DEP_1)
	v_lshrrev_b32_e32 v13, 16, v0
	v_mul_lo_u16 v0, v13, 18
	s_delay_alu instid0(VALU_DEP_1) | instskip(NEXT) | instid1(VALU_DEP_4)
	v_sub_nc_u16 v19, v4, v0
	v_dual_mov_b32 v0, v2 :: v_dual_mov_b32 v1, v3
	s_waitcnt lgkmcnt(0)
	s_cmp_eq_u32 s1, 1
	s_cselect_b32 s0, -1, 0
	s_cmp_lg_u32 s1, 1
	s_cselect_b32 s1, -1, 0
	s_ashr_i32 s13, s12, 31
	s_delay_alu instid0(SALU_CYCLE_1) | instskip(NEXT) | instid1(SALU_CYCLE_1)
	s_lshl_b64 s[4:5], s[12:13], 3
	s_add_u32 s6, s6, s4
	s_addc_u32 s7, s7, s5
	s_add_u32 s10, s6, 8
	s_addc_u32 s11, s7, 0
	;; [unrolled: 2-line block ×3, first 2 shown]
	s_cmp_eq_u64 s[8:9], 0
	s_cselect_b32 s5, s11, s5
	s_cselect_b32 s4, s10, s4
	s_load_b64 s[10:11], s[6:7], 0x0
	s_load_b64 s[8:9], s[4:5], 0x0
	;; [unrolled: 1-line block ×3, first 2 shown]
	s_waitcnt lgkmcnt(0)
	v_cmp_ge_i64_e64 s6, s[10:11], s[8:9]
	s_delay_alu instid0(VALU_DEP_1)
	s_and_b32 vcc_lo, exec_lo, s6
	s_cbranch_vccnz .LBB113_14
; %bb.10:
	v_mul_lo_u16 v0, v13, 15
	v_and_b32_e32 v1, 0xffff, v4
	s_clause 0x1
	s_load_b64 s[6:7], s[2:3], 0x48
	s_load_b128 s[16:19], s[2:3], 0x38
	s_sub_u32 s2, s8, s14
	s_subb_u32 s3, s9, 0
	v_lshrrev_b16 v0, 8, v0
	v_mul_u32_u24_e32 v1, 0x195, v1
	s_sub_u32 s8, s10, s14
	v_and_b32_e32 v2, 0xffff, v19
	s_subb_u32 s9, s11, 0
	v_mul_lo_u16 v0, v0, 18
	v_lshrrev_b32_e32 v20, 17, v1
	s_mul_hi_u32 s13, s8, 0x1440
	s_mul_i32 s15, s9, 0x1440
	s_delay_alu instid0(SALU_CYCLE_1) | instskip(SKIP_2) | instid1(VALU_DEP_1)
	s_add_i32 s13, s13, s15
	v_sub_nc_u16 v0, v13, v0
	v_add_co_u32 v1, s10, s10, v20
	v_add_co_ci_u32_e64 v3, null, s11, 0, s10
	s_delay_alu instid0(VALU_DEP_3) | instskip(NEXT) | instid1(VALU_DEP_3)
	v_and_b32_e32 v13, 0xff, v0
	v_sub_co_u32 v0, vcc_lo, v1, s14
	s_delay_alu instid0(VALU_DEP_3) | instskip(NEXT) | instid1(VALU_DEP_3)
	v_subrev_co_ci_u32_e32 v1, vcc_lo, 0, v3, vcc_lo
	v_cndmask_b32_e64 v13, v2, v13, s0
	s_mul_i32 s0, s8, 0x1440
	v_mov_b32_e32 v2, 0
	s_delay_alu instid0(VALU_DEP_3)
	v_lshlrev_b64 v[0:1], 2, v[0:1]
	v_mov_b32_e32 v3, 0
	s_waitcnt lgkmcnt(0)
	s_add_u32 s0, s18, s0
	s_addc_u32 s10, s19, s13
	v_add_co_u32 v14, s0, s0, v18
	v_add_co_u32 v16, vcc_lo, s16, v0
	v_add_co_ci_u32_e32 v17, vcc_lo, s17, v1, vcc_lo
	v_mov_b32_e32 v0, v2
	v_add_co_ci_u32_e64 v15, null, s10, 0, s0
	v_mov_b32_e32 v1, v3
	s_set_inst_prefetch_distance 0x1
	s_branch .LBB113_12
	.p2align	6
.LBB113_11:                             ;   in Loop: Header=BB113_12 Depth=1
	s_or_b32 exec_lo, exec_lo, s0
	s_add_u32 s8, s8, 1
	s_addc_u32 s9, s9, 0
	v_add_co_u32 v16, vcc_lo, v16, 4
	v_cmp_lt_i64_e64 s0, s[8:9], s[2:3]
	v_add_co_ci_u32_e32 v17, vcc_lo, 0, v17, vcc_lo
	s_delay_alu instid0(VALU_DEP_2)
	s_and_b32 vcc_lo, exec_lo, s0
	s_cbranch_vccz .LBB113_14
.LBB113_12:                             ; =>This Inner Loop Header: Depth=1
	v_add_co_u32 v21, s0, v20, s8
	s_delay_alu instid0(VALU_DEP_1) | instskip(SKIP_1) | instid1(VALU_DEP_1)
	v_add_co_ci_u32_e64 v22, null, 0, s9, s0
	s_mov_b32 s0, exec_lo
	v_cmpx_gt_i64_e64 s[2:3], v[21:22]
	s_cbranch_execz .LBB113_11
; %bb.13:                               ;   in Loop: Header=BB113_12 Depth=1
	global_load_b32 v21, v[16:17], off
	s_waitcnt vmcnt(0)
	v_subrev_nc_u32_e32 v23, s14, v21
	s_delay_alu instid0(VALU_DEP_1) | instskip(NEXT) | instid1(VALU_DEP_1)
	v_mad_u64_u32 v[21:22], null, v23, 18, v[13:14]
	v_ashrrev_i32_e32 v22, 31, v21
	s_delay_alu instid0(VALU_DEP_1) | instskip(NEXT) | instid1(VALU_DEP_1)
	v_lshlrev_b64 v[21:22], 4, v[21:22]
	v_add_co_u32 v25, vcc_lo, s6, v21
	s_delay_alu instid0(VALU_DEP_2)
	v_add_co_ci_u32_e32 v26, vcc_lo, s7, v22, vcc_lo
	global_load_b128 v[21:24], v[14:15], off
	global_load_b128 v[25:28], v[25:26], off
	v_add_co_u32 v14, vcc_lo, 0x1440, v14
	v_add_co_ci_u32_e32 v15, vcc_lo, 0, v15, vcc_lo
	s_waitcnt vmcnt(0)
	v_fma_f64 v[0:1], v[21:22], v[25:26], v[0:1]
	v_fma_f64 v[2:3], v[23:24], v[25:26], v[2:3]
	s_delay_alu instid0(VALU_DEP_2) | instskip(NEXT) | instid1(VALU_DEP_2)
	v_fma_f64 v[0:1], -v[23:24], v[27:28], v[0:1]
	v_fma_f64 v[2:3], v[21:22], v[27:28], v[2:3]
	s_branch .LBB113_11
.LBB113_14:
	s_set_inst_prefetch_distance 0x2
	s_and_b32 vcc_lo, exec_lo, s1
	ds_store_b128 v18, v[0:3]
	s_waitcnt vmcnt(0) lgkmcnt(0)
	s_barrier
	buffer_gl0_inv
	s_cbranch_vccz .LBB113_26
; %bb.15:
	v_cmp_gt_u16_e32 vcc_lo, 2, v19
	s_and_saveexec_b32 s0, vcc_lo
	s_cbranch_execz .LBB113_17
; %bb.16:
	ds_load_b128 v[13:16], v18 offset:256
	ds_load_b128 v[20:23], v18
	s_waitcnt lgkmcnt(0)
	v_add_f64 v[13:14], v[13:14], v[20:21]
	v_add_f64 v[15:16], v[15:16], v[22:23]
	ds_store_b128 v18, v[13:16]
.LBB113_17:
	s_or_b32 exec_lo, exec_lo, s0
	s_delay_alu instid0(SALU_CYCLE_1)
	s_mov_b32 s1, exec_lo
	s_waitcnt lgkmcnt(0)
	s_barrier
	buffer_gl0_inv
	v_cmpx_gt_u16_e32 8, v19
	s_cbranch_execz .LBB113_19
; %bb.18:
	ds_load_b128 v[13:16], v18 offset:128
	ds_load_b128 v[20:23], v18
	s_waitcnt lgkmcnt(0)
	v_add_f64 v[13:14], v[13:14], v[20:21]
	v_add_f64 v[15:16], v[15:16], v[22:23]
	ds_store_b128 v18, v[13:16]
.LBB113_19:
	s_or_b32 exec_lo, exec_lo, s1
	s_delay_alu instid0(SALU_CYCLE_1)
	s_mov_b32 s1, exec_lo
	s_waitcnt lgkmcnt(0)
	s_barrier
	buffer_gl0_inv
	v_cmpx_gt_u16_e32 4, v19
	s_cbranch_execz .LBB113_21
; %bb.20:
	ds_load_b128 v[13:16], v18 offset:64
	ds_load_b128 v[19:22], v18
	s_waitcnt lgkmcnt(0)
	v_add_f64 v[13:14], v[13:14], v[19:20]
	v_add_f64 v[15:16], v[15:16], v[21:22]
	ds_store_b128 v18, v[13:16]
.LBB113_21:
	s_or_b32 exec_lo, exec_lo, s1
	s_waitcnt lgkmcnt(0)
	s_barrier
	buffer_gl0_inv
	s_and_saveexec_b32 s0, vcc_lo
	s_cbranch_execz .LBB113_23
; %bb.22:
	ds_load_b128 v[13:16], v18
	ds_load_b128 v[19:22], v18 offset:32
	s_waitcnt lgkmcnt(0)
	v_add_f64 v[13:14], v[19:20], v[13:14]
	v_add_f64 v[15:16], v[21:22], v[15:16]
	ds_store_b128 v18, v[13:16]
.LBB113_23:
	s_or_b32 exec_lo, exec_lo, s0
	v_dual_mov_b32 v16, v3 :: v_dual_mov_b32 v15, v2
	v_dual_mov_b32 v14, v1 :: v_dual_mov_b32 v13, v0
	s_mov_b32 s0, exec_lo
	s_waitcnt lgkmcnt(0)
	s_barrier
	buffer_gl0_inv
	v_cmpx_gt_u32_e32 18, v4
	s_cbranch_execz .LBB113_25
; %bb.24:
	v_mul_u32_u24_e32 v13, 18, v4
	s_delay_alu instid0(VALU_DEP_1)
	v_lshlrev_b32_e32 v17, 4, v13
	ds_load_b128 v[13:16], v17
	ds_load_b128 v[19:22], v17 offset:16
	s_waitcnt lgkmcnt(0)
	v_add_f64 v[13:14], v[19:20], v[13:14]
	v_add_f64 v[15:16], v[21:22], v[15:16]
.LBB113_25:
	s_or_b32 exec_lo, exec_lo, s0
	s_branch .LBB113_38
.LBB113_26:
                                        ; implicit-def: $vgpr15_vgpr16
                                        ; implicit-def: $vgpr13_vgpr14
	s_cbranch_execz .LBB113_38
; %bb.27:
	v_cmp_gt_u32_e32 vcc_lo, 36, v4
	s_and_saveexec_b32 s0, vcc_lo
	s_cbranch_execz .LBB113_29
; %bb.28:
	ds_load_b128 v[13:16], v18 offset:4608
	ds_load_b128 v[19:22], v18
	s_waitcnt lgkmcnt(0)
	v_add_f64 v[13:14], v[13:14], v[19:20]
	v_add_f64 v[15:16], v[15:16], v[21:22]
	ds_store_b128 v18, v[13:16]
.LBB113_29:
	s_or_b32 exec_lo, exec_lo, s0
	s_delay_alu instid0(SALU_CYCLE_1)
	s_mov_b32 s1, exec_lo
	s_waitcnt lgkmcnt(0)
	s_barrier
	buffer_gl0_inv
	v_cmpx_gt_u32_e32 0x90, v4
	s_cbranch_execz .LBB113_31
; %bb.30:
	ds_load_b128 v[13:16], v18 offset:2304
	ds_load_b128 v[19:22], v18
	s_waitcnt lgkmcnt(0)
	v_add_f64 v[13:14], v[13:14], v[19:20]
	v_add_f64 v[15:16], v[15:16], v[21:22]
	ds_store_b128 v18, v[13:16]
.LBB113_31:
	s_or_b32 exec_lo, exec_lo, s1
	s_delay_alu instid0(SALU_CYCLE_1)
	s_mov_b32 s1, exec_lo
	s_waitcnt lgkmcnt(0)
	s_barrier
	buffer_gl0_inv
	v_cmpx_gt_u32_e32 0x48, v4
	s_cbranch_execz .LBB113_33
; %bb.32:
	ds_load_b128 v[13:16], v18 offset:1152
	ds_load_b128 v[19:22], v18
	s_waitcnt lgkmcnt(0)
	v_add_f64 v[13:14], v[13:14], v[19:20]
	v_add_f64 v[15:16], v[15:16], v[21:22]
	ds_store_b128 v18, v[13:16]
.LBB113_33:
	s_or_b32 exec_lo, exec_lo, s1
	s_waitcnt lgkmcnt(0)
	s_barrier
	buffer_gl0_inv
	s_and_saveexec_b32 s0, vcc_lo
	s_cbranch_execz .LBB113_35
; %bb.34:
	ds_load_b128 v[13:16], v18 offset:576
	ds_load_b128 v[19:22], v18
	s_waitcnt lgkmcnt(0)
	v_add_f64 v[13:14], v[13:14], v[19:20]
	v_add_f64 v[15:16], v[15:16], v[21:22]
	ds_store_b128 v18, v[13:16]
.LBB113_35:
	s_or_b32 exec_lo, exec_lo, s0
	s_delay_alu instid0(SALU_CYCLE_1)
	s_mov_b32 s0, exec_lo
	s_waitcnt lgkmcnt(0)
	buffer_gl0_inv
	v_cmpx_gt_u32_e32 18, v4
	s_cbranch_execz .LBB113_37
; %bb.36:
	ds_load_b128 v[0:3], v18 offset:288
	ds_load_b128 v[13:16], v18
	s_waitcnt lgkmcnt(0)
	v_add_f64 v[0:1], v[0:1], v[13:14]
	v_add_f64 v[2:3], v[2:3], v[15:16]
.LBB113_37:
	s_or_b32 exec_lo, exec_lo, s0
	s_delay_alu instid0(VALU_DEP_1) | instskip(NEXT) | instid1(VALU_DEP_3)
	v_dual_mov_b32 v16, v3 :: v_dual_mov_b32 v15, v2
	v_dual_mov_b32 v14, v1 :: v_dual_mov_b32 v13, v0
.LBB113_38:
	v_cmp_gt_u32_e32 vcc_lo, 18, v4
	s_and_b32 exec_lo, exec_lo, vcc_lo
	s_cbranch_execz .LBB113_43
; %bb.39:
	s_delay_alu instid0(VALU_DEP_2) | instskip(SKIP_3) | instid1(VALU_DEP_4)
	v_mul_f64 v[0:1], v[15:16], -v[11:12]
	v_mul_f64 v[2:3], v[9:10], v[15:16]
	v_cmp_eq_f64_e32 vcc_lo, 0, v[5:6]
	v_cmp_eq_f64_e64 s0, 0, v[7:8]
	v_fma_f64 v[0:1], v[9:10], v[13:14], v[0:1]
	s_delay_alu instid0(VALU_DEP_4) | instskip(NEXT) | instid1(VALU_DEP_3)
	v_fma_f64 v[2:3], v[11:12], v[13:14], v[2:3]
	s_and_b32 s0, vcc_lo, s0
	s_delay_alu instid0(SALU_CYCLE_1) | instskip(NEXT) | instid1(SALU_CYCLE_1)
	s_and_saveexec_b32 s1, s0
	s_xor_b32 s0, exec_lo, s1
	s_cbranch_execz .LBB113_41
; %bb.40:
	v_mad_u64_u32 v[5:6], null, s12, 18, v[4:5]
	v_mov_b32_e32 v6, 0
                                        ; implicit-def: $vgpr7_vgpr8
	s_delay_alu instid0(VALU_DEP_1) | instskip(NEXT) | instid1(VALU_DEP_1)
	v_lshlrev_b64 v[4:5], 4, v[5:6]
	v_add_co_u32 v4, vcc_lo, s4, v4
	s_delay_alu instid0(VALU_DEP_2)
	v_add_co_ci_u32_e32 v5, vcc_lo, s5, v5, vcc_lo
	global_store_b128 v[4:5], v[0:3], off
                                        ; implicit-def: $vgpr4
                                        ; implicit-def: $vgpr5_vgpr6
                                        ; implicit-def: $vgpr0_vgpr1
.LBB113_41:
	s_and_not1_saveexec_b32 s0, s0
	s_cbranch_execz .LBB113_43
; %bb.42:
	v_mad_u64_u32 v[9:10], null, s12, 18, v[4:5]
	v_mov_b32_e32 v10, 0
	s_delay_alu instid0(VALU_DEP_1) | instskip(NEXT) | instid1(VALU_DEP_1)
	v_lshlrev_b64 v[9:10], 4, v[9:10]
	v_add_co_u32 v13, vcc_lo, s4, v9
	s_delay_alu instid0(VALU_DEP_2) | instskip(SKIP_4) | instid1(VALU_DEP_2)
	v_add_co_ci_u32_e32 v14, vcc_lo, s5, v10, vcc_lo
	global_load_b128 v[9:12], v[13:14], off
	s_waitcnt vmcnt(0)
	v_fma_f64 v[0:1], v[5:6], v[9:10], v[0:1]
	v_fma_f64 v[2:3], v[7:8], v[9:10], v[2:3]
	v_fma_f64 v[0:1], -v[7:8], v[11:12], v[0:1]
	s_delay_alu instid0(VALU_DEP_2)
	v_fma_f64 v[2:3], v[5:6], v[11:12], v[2:3]
	global_store_b128 v[13:14], v[0:3], off
.LBB113_43:
	s_nop 0
	s_sendmsg sendmsg(MSG_DEALLOC_VGPRS)
	s_endpgm
	.section	.rodata,"a",@progbits
	.p2align	6, 0x0
	.amdhsa_kernel _ZN9rocsparseL20bsrxmvn_17_32_kernelILj18E21rocsparse_complex_numIdEliS2_S2_S2_EEvT2_20rocsparse_direction_NS_24const_host_device_scalarIT0_EES3_PKS3_PKT1_SC_S9_PKT3_PKT4_S7_PT5_21rocsparse_index_base_b
		.amdhsa_group_segment_fixed_size 10368
		.amdhsa_private_segment_fixed_size 0
		.amdhsa_kernarg_size 112
		.amdhsa_user_sgpr_count 15
		.amdhsa_user_sgpr_dispatch_ptr 1
		.amdhsa_user_sgpr_queue_ptr 0
		.amdhsa_user_sgpr_kernarg_segment_ptr 1
		.amdhsa_user_sgpr_dispatch_id 0
		.amdhsa_user_sgpr_private_segment_size 0
		.amdhsa_wavefront_size32 1
		.amdhsa_uses_dynamic_stack 0
		.amdhsa_enable_private_segment 0
		.amdhsa_system_sgpr_workgroup_id_x 1
		.amdhsa_system_sgpr_workgroup_id_y 0
		.amdhsa_system_sgpr_workgroup_id_z 0
		.amdhsa_system_sgpr_workgroup_info 0
		.amdhsa_system_vgpr_workitem_id 2
		.amdhsa_next_free_vgpr 29
		.amdhsa_next_free_sgpr 20
		.amdhsa_reserve_vcc 1
		.amdhsa_float_round_mode_32 0
		.amdhsa_float_round_mode_16_64 0
		.amdhsa_float_denorm_mode_32 3
		.amdhsa_float_denorm_mode_16_64 3
		.amdhsa_dx10_clamp 1
		.amdhsa_ieee_mode 1
		.amdhsa_fp16_overflow 0
		.amdhsa_workgroup_processor_mode 1
		.amdhsa_memory_ordered 1
		.amdhsa_forward_progress 0
		.amdhsa_shared_vgpr_count 0
		.amdhsa_exception_fp_ieee_invalid_op 0
		.amdhsa_exception_fp_denorm_src 0
		.amdhsa_exception_fp_ieee_div_zero 0
		.amdhsa_exception_fp_ieee_overflow 0
		.amdhsa_exception_fp_ieee_underflow 0
		.amdhsa_exception_fp_ieee_inexact 0
		.amdhsa_exception_int_div_zero 0
	.end_amdhsa_kernel
	.section	.text._ZN9rocsparseL20bsrxmvn_17_32_kernelILj18E21rocsparse_complex_numIdEliS2_S2_S2_EEvT2_20rocsparse_direction_NS_24const_host_device_scalarIT0_EES3_PKS3_PKT1_SC_S9_PKT3_PKT4_S7_PT5_21rocsparse_index_base_b,"axG",@progbits,_ZN9rocsparseL20bsrxmvn_17_32_kernelILj18E21rocsparse_complex_numIdEliS2_S2_S2_EEvT2_20rocsparse_direction_NS_24const_host_device_scalarIT0_EES3_PKS3_PKT1_SC_S9_PKT3_PKT4_S7_PT5_21rocsparse_index_base_b,comdat
.Lfunc_end113:
	.size	_ZN9rocsparseL20bsrxmvn_17_32_kernelILj18E21rocsparse_complex_numIdEliS2_S2_S2_EEvT2_20rocsparse_direction_NS_24const_host_device_scalarIT0_EES3_PKS3_PKT1_SC_S9_PKT3_PKT4_S7_PT5_21rocsparse_index_base_b, .Lfunc_end113-_ZN9rocsparseL20bsrxmvn_17_32_kernelILj18E21rocsparse_complex_numIdEliS2_S2_S2_EEvT2_20rocsparse_direction_NS_24const_host_device_scalarIT0_EES3_PKS3_PKT1_SC_S9_PKT3_PKT4_S7_PT5_21rocsparse_index_base_b
                                        ; -- End function
	.section	.AMDGPU.csdata,"",@progbits
; Kernel info:
; codeLenInByte = 2152
; NumSgprs: 22
; NumVgprs: 29
; ScratchSize: 0
; MemoryBound: 0
; FloatMode: 240
; IeeeMode: 1
; LDSByteSize: 10368 bytes/workgroup (compile time only)
; SGPRBlocks: 2
; VGPRBlocks: 3
; NumSGPRsForWavesPerEU: 22
; NumVGPRsForWavesPerEU: 29
; Occupancy: 14
; WaveLimiterHint : 1
; COMPUTE_PGM_RSRC2:SCRATCH_EN: 0
; COMPUTE_PGM_RSRC2:USER_SGPR: 15
; COMPUTE_PGM_RSRC2:TRAP_HANDLER: 0
; COMPUTE_PGM_RSRC2:TGID_X_EN: 1
; COMPUTE_PGM_RSRC2:TGID_Y_EN: 0
; COMPUTE_PGM_RSRC2:TGID_Z_EN: 0
; COMPUTE_PGM_RSRC2:TIDIG_COMP_CNT: 2
	.section	.text._ZN9rocsparseL20bsrxmvn_17_32_kernelILj19E21rocsparse_complex_numIdEliS2_S2_S2_EEvT2_20rocsparse_direction_NS_24const_host_device_scalarIT0_EES3_PKS3_PKT1_SC_S9_PKT3_PKT4_S7_PT5_21rocsparse_index_base_b,"axG",@progbits,_ZN9rocsparseL20bsrxmvn_17_32_kernelILj19E21rocsparse_complex_numIdEliS2_S2_S2_EEvT2_20rocsparse_direction_NS_24const_host_device_scalarIT0_EES3_PKS3_PKT1_SC_S9_PKT3_PKT4_S7_PT5_21rocsparse_index_base_b,comdat
	.globl	_ZN9rocsparseL20bsrxmvn_17_32_kernelILj19E21rocsparse_complex_numIdEliS2_S2_S2_EEvT2_20rocsparse_direction_NS_24const_host_device_scalarIT0_EES3_PKS3_PKT1_SC_S9_PKT3_PKT4_S7_PT5_21rocsparse_index_base_b ; -- Begin function _ZN9rocsparseL20bsrxmvn_17_32_kernelILj19E21rocsparse_complex_numIdEliS2_S2_S2_EEvT2_20rocsparse_direction_NS_24const_host_device_scalarIT0_EES3_PKS3_PKT1_SC_S9_PKT3_PKT4_S7_PT5_21rocsparse_index_base_b
	.p2align	8
	.type	_ZN9rocsparseL20bsrxmvn_17_32_kernelILj19E21rocsparse_complex_numIdEliS2_S2_S2_EEvT2_20rocsparse_direction_NS_24const_host_device_scalarIT0_EES3_PKS3_PKT1_SC_S9_PKT3_PKT4_S7_PT5_21rocsparse_index_base_b,@function
_ZN9rocsparseL20bsrxmvn_17_32_kernelILj19E21rocsparse_complex_numIdEliS2_S2_S2_EEvT2_20rocsparse_direction_NS_24const_host_device_scalarIT0_EES3_PKS3_PKT1_SC_S9_PKT3_PKT4_S7_PT5_21rocsparse_index_base_b: ; @_ZN9rocsparseL20bsrxmvn_17_32_kernelILj19E21rocsparse_complex_numIdEliS2_S2_S2_EEvT2_20rocsparse_direction_NS_24const_host_device_scalarIT0_EES3_PKS3_PKT1_SC_S9_PKT3_PKT4_S7_PT5_21rocsparse_index_base_b
; %bb.0:
	s_mov_b32 s12, s15
	s_clause 0x1
	s_load_b64 s[14:15], s[2:3], 0x68
	s_load_b128 s[4:7], s[2:3], 0x8
	s_load_b64 s[16:17], s[0:1], 0x4
	s_mov_b64 s[0:1], src_shared_base
	v_and_b32_e32 v4, 0x3ff, v0
	s_load_b128 s[8:11], s[2:3], 0x50
	v_bfe_u32 v2, v0, 10, 10
	v_bfe_u32 v0, v0, 20, 10
	s_waitcnt lgkmcnt(0)
	s_bitcmp1_b32 s15, 0
	v_mov_b32_e32 v12, s7
	s_cselect_b32 s0, -1, 0
	v_mov_b32_e32 v11, s6
	s_and_b32 vcc_lo, s0, exec_lo
	s_cselect_b32 s13, s1, s5
	s_lshr_b32 s15, s16, 16
	v_mov_b32_e32 v6, s13
	s_mul_i32 s15, s15, s17
	s_xor_b32 s6, s0, -1
	v_mul_lo_u32 v1, s15, v4
	s_delay_alu instid0(VALU_DEP_1) | instskip(SKIP_1) | instid1(VALU_DEP_2)
	v_mad_u32_u24 v1, v2, s17, v1
	v_dual_mov_b32 v2, s8 :: v_dual_mov_b32 v3, s9
	v_add_lshl_u32 v7, v1, v0, 3
	v_dual_mov_b32 v0, s4 :: v_dual_mov_b32 v1, s5
	ds_store_b64 v7, v[0:1] offset:8664
	ds_store_b64 v7, v[2:3] offset:5776
	v_add_nc_u32_e32 v5, 0x21d8, v7
	v_add_nc_u32_e32 v0, 0x1690, v7
	s_delay_alu instid0(VALU_DEP_2)
	v_cndmask_b32_e64 v5, s4, v5, s0
	flat_load_b64 v[9:10], v[5:6]
	s_cbranch_vccnz .LBB114_2
; %bb.1:
	v_dual_mov_b32 v1, s4 :: v_dual_mov_b32 v2, s5
	flat_load_b64 v[11:12], v[1:2] offset:8
.LBB114_2:
	s_and_b32 s4, s0, exec_lo
	s_cselect_b32 s1, s1, s9
	v_cndmask_b32_e64 v0, s8, v0, s0
	v_mov_b32_e32 v1, s1
	v_dual_mov_b32 v7, s10 :: v_dual_mov_b32 v8, s11
	s_and_not1_b32 vcc_lo, exec_lo, s6
	flat_load_b64 v[5:6], v[0:1]
	s_cbranch_vccnz .LBB114_4
; %bb.3:
	v_dual_mov_b32 v0, s8 :: v_dual_mov_b32 v1, s9
	flat_load_b64 v[7:8], v[0:1] offset:8
.LBB114_4:
	s_waitcnt vmcnt(1) lgkmcnt(1)
	v_cmp_eq_f64_e32 vcc_lo, 0, v[9:10]
	v_cmp_eq_f64_e64 s0, 0, v[11:12]
	s_delay_alu instid0(VALU_DEP_1)
	s_and_b32 s4, vcc_lo, s0
	s_mov_b32 s0, -1
	s_and_saveexec_b32 s1, s4
	s_cbranch_execz .LBB114_6
; %bb.5:
	s_waitcnt vmcnt(0) lgkmcnt(0)
	v_cmp_neq_f64_e32 vcc_lo, 1.0, v[5:6]
	v_cmp_neq_f64_e64 s0, 0, v[7:8]
	s_delay_alu instid0(VALU_DEP_1) | instskip(NEXT) | instid1(SALU_CYCLE_1)
	s_or_b32 s0, vcc_lo, s0
	s_or_not1_b32 s0, s0, exec_lo
.LBB114_6:
	s_or_b32 exec_lo, exec_lo, s1
	s_and_saveexec_b32 s1, s0
	s_cbranch_execz .LBB114_43
; %bb.7:
	s_clause 0x1
	s_load_b128 s[4:7], s[2:3], 0x20
	s_load_b64 s[8:9], s[2:3], 0x30
	s_waitcnt lgkmcnt(0)
	s_cmp_eq_u64 s[4:5], 0
	s_cbranch_scc1 .LBB114_9
; %bb.8:
	s_ashr_i32 s13, s12, 31
	s_delay_alu instid0(SALU_CYCLE_1) | instskip(NEXT) | instid1(SALU_CYCLE_1)
	s_lshl_b64 s[0:1], s[12:13], 2
	s_add_u32 s0, s4, s0
	s_addc_u32 s1, s5, s1
	s_load_b32 s0, s[0:1], 0x0
	s_waitcnt lgkmcnt(0)
	s_sub_i32 s12, s0, s14
.LBB114_9:
	s_load_b32 s1, s[2:3], 0x4
	v_mul_u32_u24_e32 v0, 0xd7a, v4
	v_mov_b32_e32 v2, 0
	v_dual_mov_b32 v3, 0 :: v_dual_lshlrev_b32 v18, 4, v4
	s_delay_alu instid0(VALU_DEP_3) | instskip(NEXT) | instid1(VALU_DEP_1)
	v_lshrrev_b32_e32 v13, 16, v0
	v_mul_lo_u16 v0, v13, 19
	s_delay_alu instid0(VALU_DEP_1) | instskip(NEXT) | instid1(VALU_DEP_4)
	v_sub_nc_u16 v19, v4, v0
	v_dual_mov_b32 v0, v2 :: v_dual_mov_b32 v1, v3
	s_waitcnt lgkmcnt(0)
	s_cmp_eq_u32 s1, 1
	s_cselect_b32 s0, -1, 0
	s_cmp_lg_u32 s1, 1
	s_cselect_b32 s1, -1, 0
	s_ashr_i32 s13, s12, 31
	s_delay_alu instid0(SALU_CYCLE_1) | instskip(NEXT) | instid1(SALU_CYCLE_1)
	s_lshl_b64 s[4:5], s[12:13], 3
	s_add_u32 s6, s6, s4
	s_addc_u32 s7, s7, s5
	s_add_u32 s10, s6, 8
	s_addc_u32 s11, s7, 0
	;; [unrolled: 2-line block ×3, first 2 shown]
	s_cmp_eq_u64 s[8:9], 0
	s_cselect_b32 s5, s11, s5
	s_cselect_b32 s4, s10, s4
	s_load_b64 s[10:11], s[6:7], 0x0
	s_load_b64 s[8:9], s[4:5], 0x0
	;; [unrolled: 1-line block ×3, first 2 shown]
	s_waitcnt lgkmcnt(0)
	v_cmp_ge_i64_e64 s6, s[10:11], s[8:9]
	s_delay_alu instid0(VALU_DEP_1)
	s_and_b32 vcc_lo, exec_lo, s6
	s_cbranch_vccnz .LBB114_14
; %bb.10:
	v_mul_lo_u16 v0, v13, 14
	v_and_b32_e32 v1, 0xffff, v4
	s_clause 0x1
	s_load_b64 s[6:7], s[2:3], 0x48
	s_load_b128 s[16:19], s[2:3], 0x38
	s_sub_u32 s2, s8, s14
	s_subb_u32 s3, s9, 0
	v_lshrrev_b16 v0, 8, v0
	v_mul_u32_u24_e32 v1, 0xb6, v1
	s_sub_u32 s8, s10, s14
	v_and_b32_e32 v2, 0xffff, v19
	s_subb_u32 s9, s11, 0
	v_mul_lo_u16 v0, v0, 19
	v_lshrrev_b32_e32 v20, 16, v1
	s_mul_hi_u32 s13, s8, 0x1690
	s_mul_i32 s15, s9, 0x1690
	s_delay_alu instid0(SALU_CYCLE_1) | instskip(SKIP_2) | instid1(VALU_DEP_1)
	s_add_i32 s13, s13, s15
	v_sub_nc_u16 v0, v13, v0
	v_add_co_u32 v1, s10, s10, v20
	v_add_co_ci_u32_e64 v3, null, s11, 0, s10
	s_delay_alu instid0(VALU_DEP_3) | instskip(NEXT) | instid1(VALU_DEP_3)
	v_and_b32_e32 v13, 0xff, v0
	v_sub_co_u32 v0, vcc_lo, v1, s14
	s_delay_alu instid0(VALU_DEP_3) | instskip(NEXT) | instid1(VALU_DEP_3)
	v_subrev_co_ci_u32_e32 v1, vcc_lo, 0, v3, vcc_lo
	v_cndmask_b32_e64 v13, v2, v13, s0
	s_mul_i32 s0, s8, 0x1690
	v_mov_b32_e32 v2, 0
	s_delay_alu instid0(VALU_DEP_3)
	v_lshlrev_b64 v[0:1], 2, v[0:1]
	v_mov_b32_e32 v3, 0
	s_waitcnt lgkmcnt(0)
	s_add_u32 s0, s18, s0
	s_addc_u32 s10, s19, s13
	v_add_co_u32 v14, s0, s0, v18
	v_add_co_u32 v16, vcc_lo, s16, v0
	v_add_co_ci_u32_e32 v17, vcc_lo, s17, v1, vcc_lo
	v_mov_b32_e32 v0, v2
	v_add_co_ci_u32_e64 v15, null, s10, 0, s0
	v_mov_b32_e32 v1, v3
	s_set_inst_prefetch_distance 0x1
	s_branch .LBB114_12
	.p2align	6
.LBB114_11:                             ;   in Loop: Header=BB114_12 Depth=1
	s_or_b32 exec_lo, exec_lo, s0
	s_add_u32 s8, s8, 1
	s_addc_u32 s9, s9, 0
	v_add_co_u32 v16, vcc_lo, v16, 4
	v_cmp_lt_i64_e64 s0, s[8:9], s[2:3]
	v_add_co_ci_u32_e32 v17, vcc_lo, 0, v17, vcc_lo
	s_delay_alu instid0(VALU_DEP_2)
	s_and_b32 vcc_lo, exec_lo, s0
	s_cbranch_vccz .LBB114_14
.LBB114_12:                             ; =>This Inner Loop Header: Depth=1
	v_add_co_u32 v21, s0, v20, s8
	s_delay_alu instid0(VALU_DEP_1) | instskip(SKIP_1) | instid1(VALU_DEP_1)
	v_add_co_ci_u32_e64 v22, null, 0, s9, s0
	s_mov_b32 s0, exec_lo
	v_cmpx_gt_i64_e64 s[2:3], v[21:22]
	s_cbranch_execz .LBB114_11
; %bb.13:                               ;   in Loop: Header=BB114_12 Depth=1
	global_load_b32 v21, v[16:17], off
	s_waitcnt vmcnt(0)
	v_subrev_nc_u32_e32 v23, s14, v21
	s_delay_alu instid0(VALU_DEP_1) | instskip(NEXT) | instid1(VALU_DEP_1)
	v_mad_u64_u32 v[21:22], null, v23, 19, v[13:14]
	v_ashrrev_i32_e32 v22, 31, v21
	s_delay_alu instid0(VALU_DEP_1) | instskip(NEXT) | instid1(VALU_DEP_1)
	v_lshlrev_b64 v[21:22], 4, v[21:22]
	v_add_co_u32 v25, vcc_lo, s6, v21
	s_delay_alu instid0(VALU_DEP_2)
	v_add_co_ci_u32_e32 v26, vcc_lo, s7, v22, vcc_lo
	global_load_b128 v[21:24], v[14:15], off
	global_load_b128 v[25:28], v[25:26], off
	v_add_co_u32 v14, vcc_lo, 0x1690, v14
	v_add_co_ci_u32_e32 v15, vcc_lo, 0, v15, vcc_lo
	s_waitcnt vmcnt(0)
	v_fma_f64 v[0:1], v[21:22], v[25:26], v[0:1]
	v_fma_f64 v[2:3], v[23:24], v[25:26], v[2:3]
	s_delay_alu instid0(VALU_DEP_2) | instskip(NEXT) | instid1(VALU_DEP_2)
	v_fma_f64 v[0:1], -v[23:24], v[27:28], v[0:1]
	v_fma_f64 v[2:3], v[21:22], v[27:28], v[2:3]
	s_branch .LBB114_11
.LBB114_14:
	s_set_inst_prefetch_distance 0x2
	s_and_b32 vcc_lo, exec_lo, s1
	ds_store_b128 v18, v[0:3]
	s_waitcnt vmcnt(0) lgkmcnt(0)
	s_barrier
	buffer_gl0_inv
	s_cbranch_vccz .LBB114_26
; %bb.15:
	s_mov_b32 s0, exec_lo
	v_cmpx_gt_u16_e32 3, v19
	s_cbranch_execz .LBB114_17
; %bb.16:
	ds_load_b128 v[13:16], v18 offset:256
	ds_load_b128 v[20:23], v18
	s_waitcnt lgkmcnt(0)
	v_add_f64 v[13:14], v[13:14], v[20:21]
	v_add_f64 v[15:16], v[15:16], v[22:23]
	ds_store_b128 v18, v[13:16]
.LBB114_17:
	s_or_b32 exec_lo, exec_lo, s0
	s_delay_alu instid0(SALU_CYCLE_1)
	s_mov_b32 s0, exec_lo
	s_waitcnt lgkmcnt(0)
	s_barrier
	buffer_gl0_inv
	v_cmpx_gt_u16_e32 8, v19
	s_cbranch_execz .LBB114_19
; %bb.18:
	ds_load_b128 v[13:16], v18 offset:128
	ds_load_b128 v[20:23], v18
	s_waitcnt lgkmcnt(0)
	v_add_f64 v[13:14], v[13:14], v[20:21]
	v_add_f64 v[15:16], v[15:16], v[22:23]
	ds_store_b128 v18, v[13:16]
.LBB114_19:
	s_or_b32 exec_lo, exec_lo, s0
	s_delay_alu instid0(SALU_CYCLE_1)
	s_mov_b32 s0, exec_lo
	s_waitcnt lgkmcnt(0)
	s_barrier
	buffer_gl0_inv
	;; [unrolled: 16-line block ×3, first 2 shown]
	v_cmpx_gt_u16_e32 2, v19
	s_cbranch_execz .LBB114_23
; %bb.22:
	ds_load_b128 v[13:16], v18
	ds_load_b128 v[19:22], v18 offset:32
	s_waitcnt lgkmcnt(0)
	v_add_f64 v[13:14], v[19:20], v[13:14]
	v_add_f64 v[15:16], v[21:22], v[15:16]
	ds_store_b128 v18, v[13:16]
.LBB114_23:
	s_or_b32 exec_lo, exec_lo, s0
	v_dual_mov_b32 v16, v3 :: v_dual_mov_b32 v15, v2
	v_dual_mov_b32 v14, v1 :: v_dual_mov_b32 v13, v0
	s_mov_b32 s0, exec_lo
	s_waitcnt lgkmcnt(0)
	s_barrier
	buffer_gl0_inv
	v_cmpx_gt_u32_e32 19, v4
	s_cbranch_execz .LBB114_25
; %bb.24:
	v_mul_u32_u24_e32 v13, 19, v4
	s_delay_alu instid0(VALU_DEP_1)
	v_lshlrev_b32_e32 v17, 4, v13
	ds_load_b128 v[13:16], v17
	ds_load_b128 v[19:22], v17 offset:16
	s_waitcnt lgkmcnt(0)
	v_add_f64 v[13:14], v[19:20], v[13:14]
	v_add_f64 v[15:16], v[21:22], v[15:16]
.LBB114_25:
	s_or_b32 exec_lo, exec_lo, s0
	s_branch .LBB114_38
.LBB114_26:
                                        ; implicit-def: $vgpr15_vgpr16
                                        ; implicit-def: $vgpr13_vgpr14
	s_cbranch_execz .LBB114_38
; %bb.27:
	s_mov_b32 s0, exec_lo
	v_cmpx_gt_u32_e32 57, v4
	s_cbranch_execz .LBB114_29
; %bb.28:
	ds_load_b128 v[13:16], v18 offset:4864
	ds_load_b128 v[19:22], v18
	s_waitcnt lgkmcnt(0)
	v_add_f64 v[13:14], v[13:14], v[19:20]
	v_add_f64 v[15:16], v[15:16], v[21:22]
	ds_store_b128 v18, v[13:16]
.LBB114_29:
	s_or_b32 exec_lo, exec_lo, s0
	s_delay_alu instid0(SALU_CYCLE_1)
	s_mov_b32 s0, exec_lo
	s_waitcnt lgkmcnt(0)
	s_barrier
	buffer_gl0_inv
	v_cmpx_gt_u32_e32 0x98, v4
	s_cbranch_execz .LBB114_31
; %bb.30:
	ds_load_b128 v[13:16], v18 offset:2432
	ds_load_b128 v[19:22], v18
	s_waitcnt lgkmcnt(0)
	v_add_f64 v[13:14], v[13:14], v[19:20]
	v_add_f64 v[15:16], v[15:16], v[21:22]
	ds_store_b128 v18, v[13:16]
.LBB114_31:
	s_or_b32 exec_lo, exec_lo, s0
	s_delay_alu instid0(SALU_CYCLE_1)
	s_mov_b32 s0, exec_lo
	s_waitcnt lgkmcnt(0)
	s_barrier
	buffer_gl0_inv
	;; [unrolled: 16-line block ×3, first 2 shown]
	v_cmpx_gt_u32_e32 38, v4
	s_cbranch_execz .LBB114_35
; %bb.34:
	ds_load_b128 v[13:16], v18 offset:608
	ds_load_b128 v[19:22], v18
	s_waitcnt lgkmcnt(0)
	v_add_f64 v[13:14], v[13:14], v[19:20]
	v_add_f64 v[15:16], v[15:16], v[21:22]
	ds_store_b128 v18, v[13:16]
.LBB114_35:
	s_or_b32 exec_lo, exec_lo, s0
	s_delay_alu instid0(SALU_CYCLE_1)
	s_mov_b32 s0, exec_lo
	s_waitcnt lgkmcnt(0)
	buffer_gl0_inv
	v_cmpx_gt_u32_e32 19, v4
	s_cbranch_execz .LBB114_37
; %bb.36:
	ds_load_b128 v[0:3], v18 offset:304
	ds_load_b128 v[13:16], v18
	s_waitcnt lgkmcnt(0)
	v_add_f64 v[0:1], v[0:1], v[13:14]
	v_add_f64 v[2:3], v[2:3], v[15:16]
.LBB114_37:
	s_or_b32 exec_lo, exec_lo, s0
	s_delay_alu instid0(VALU_DEP_1) | instskip(NEXT) | instid1(VALU_DEP_3)
	v_dual_mov_b32 v16, v3 :: v_dual_mov_b32 v15, v2
	v_dual_mov_b32 v14, v1 :: v_dual_mov_b32 v13, v0
.LBB114_38:
	v_cmp_gt_u32_e32 vcc_lo, 19, v4
	s_and_b32 exec_lo, exec_lo, vcc_lo
	s_cbranch_execz .LBB114_43
; %bb.39:
	s_delay_alu instid0(VALU_DEP_2) | instskip(SKIP_3) | instid1(VALU_DEP_4)
	v_mul_f64 v[0:1], v[15:16], -v[11:12]
	v_mul_f64 v[2:3], v[9:10], v[15:16]
	v_cmp_eq_f64_e32 vcc_lo, 0, v[5:6]
	v_cmp_eq_f64_e64 s0, 0, v[7:8]
	v_fma_f64 v[0:1], v[9:10], v[13:14], v[0:1]
	s_delay_alu instid0(VALU_DEP_4) | instskip(NEXT) | instid1(VALU_DEP_3)
	v_fma_f64 v[2:3], v[11:12], v[13:14], v[2:3]
	s_and_b32 s0, vcc_lo, s0
	s_delay_alu instid0(SALU_CYCLE_1) | instskip(NEXT) | instid1(SALU_CYCLE_1)
	s_and_saveexec_b32 s1, s0
	s_xor_b32 s0, exec_lo, s1
	s_cbranch_execz .LBB114_41
; %bb.40:
	v_mad_u64_u32 v[5:6], null, s12, 19, v[4:5]
	v_mov_b32_e32 v6, 0
                                        ; implicit-def: $vgpr7_vgpr8
	s_delay_alu instid0(VALU_DEP_1) | instskip(NEXT) | instid1(VALU_DEP_1)
	v_lshlrev_b64 v[4:5], 4, v[5:6]
	v_add_co_u32 v4, vcc_lo, s4, v4
	s_delay_alu instid0(VALU_DEP_2)
	v_add_co_ci_u32_e32 v5, vcc_lo, s5, v5, vcc_lo
	global_store_b128 v[4:5], v[0:3], off
                                        ; implicit-def: $vgpr4
                                        ; implicit-def: $vgpr5_vgpr6
                                        ; implicit-def: $vgpr0_vgpr1
.LBB114_41:
	s_and_not1_saveexec_b32 s0, s0
	s_cbranch_execz .LBB114_43
; %bb.42:
	v_mad_u64_u32 v[9:10], null, s12, 19, v[4:5]
	v_mov_b32_e32 v10, 0
	s_delay_alu instid0(VALU_DEP_1) | instskip(NEXT) | instid1(VALU_DEP_1)
	v_lshlrev_b64 v[9:10], 4, v[9:10]
	v_add_co_u32 v13, vcc_lo, s4, v9
	s_delay_alu instid0(VALU_DEP_2) | instskip(SKIP_4) | instid1(VALU_DEP_2)
	v_add_co_ci_u32_e32 v14, vcc_lo, s5, v10, vcc_lo
	global_load_b128 v[9:12], v[13:14], off
	s_waitcnt vmcnt(0)
	v_fma_f64 v[0:1], v[5:6], v[9:10], v[0:1]
	v_fma_f64 v[2:3], v[7:8], v[9:10], v[2:3]
	v_fma_f64 v[0:1], -v[7:8], v[11:12], v[0:1]
	s_delay_alu instid0(VALU_DEP_2)
	v_fma_f64 v[2:3], v[5:6], v[11:12], v[2:3]
	global_store_b128 v[13:14], v[0:3], off
.LBB114_43:
	s_nop 0
	s_sendmsg sendmsg(MSG_DEALLOC_VGPRS)
	s_endpgm
	.section	.rodata,"a",@progbits
	.p2align	6, 0x0
	.amdhsa_kernel _ZN9rocsparseL20bsrxmvn_17_32_kernelILj19E21rocsparse_complex_numIdEliS2_S2_S2_EEvT2_20rocsparse_direction_NS_24const_host_device_scalarIT0_EES3_PKS3_PKT1_SC_S9_PKT3_PKT4_S7_PT5_21rocsparse_index_base_b
		.amdhsa_group_segment_fixed_size 11552
		.amdhsa_private_segment_fixed_size 0
		.amdhsa_kernarg_size 112
		.amdhsa_user_sgpr_count 15
		.amdhsa_user_sgpr_dispatch_ptr 1
		.amdhsa_user_sgpr_queue_ptr 0
		.amdhsa_user_sgpr_kernarg_segment_ptr 1
		.amdhsa_user_sgpr_dispatch_id 0
		.amdhsa_user_sgpr_private_segment_size 0
		.amdhsa_wavefront_size32 1
		.amdhsa_uses_dynamic_stack 0
		.amdhsa_enable_private_segment 0
		.amdhsa_system_sgpr_workgroup_id_x 1
		.amdhsa_system_sgpr_workgroup_id_y 0
		.amdhsa_system_sgpr_workgroup_id_z 0
		.amdhsa_system_sgpr_workgroup_info 0
		.amdhsa_system_vgpr_workitem_id 2
		.amdhsa_next_free_vgpr 29
		.amdhsa_next_free_sgpr 20
		.amdhsa_reserve_vcc 1
		.amdhsa_float_round_mode_32 0
		.amdhsa_float_round_mode_16_64 0
		.amdhsa_float_denorm_mode_32 3
		.amdhsa_float_denorm_mode_16_64 3
		.amdhsa_dx10_clamp 1
		.amdhsa_ieee_mode 1
		.amdhsa_fp16_overflow 0
		.amdhsa_workgroup_processor_mode 1
		.amdhsa_memory_ordered 1
		.amdhsa_forward_progress 0
		.amdhsa_shared_vgpr_count 0
		.amdhsa_exception_fp_ieee_invalid_op 0
		.amdhsa_exception_fp_denorm_src 0
		.amdhsa_exception_fp_ieee_div_zero 0
		.amdhsa_exception_fp_ieee_overflow 0
		.amdhsa_exception_fp_ieee_underflow 0
		.amdhsa_exception_fp_ieee_inexact 0
		.amdhsa_exception_int_div_zero 0
	.end_amdhsa_kernel
	.section	.text._ZN9rocsparseL20bsrxmvn_17_32_kernelILj19E21rocsparse_complex_numIdEliS2_S2_S2_EEvT2_20rocsparse_direction_NS_24const_host_device_scalarIT0_EES3_PKS3_PKT1_SC_S9_PKT3_PKT4_S7_PT5_21rocsparse_index_base_b,"axG",@progbits,_ZN9rocsparseL20bsrxmvn_17_32_kernelILj19E21rocsparse_complex_numIdEliS2_S2_S2_EEvT2_20rocsparse_direction_NS_24const_host_device_scalarIT0_EES3_PKS3_PKT1_SC_S9_PKT3_PKT4_S7_PT5_21rocsparse_index_base_b,comdat
.Lfunc_end114:
	.size	_ZN9rocsparseL20bsrxmvn_17_32_kernelILj19E21rocsparse_complex_numIdEliS2_S2_S2_EEvT2_20rocsparse_direction_NS_24const_host_device_scalarIT0_EES3_PKS3_PKT1_SC_S9_PKT3_PKT4_S7_PT5_21rocsparse_index_base_b, .Lfunc_end114-_ZN9rocsparseL20bsrxmvn_17_32_kernelILj19E21rocsparse_complex_numIdEliS2_S2_S2_EEvT2_20rocsparse_direction_NS_24const_host_device_scalarIT0_EES3_PKS3_PKT1_SC_S9_PKT3_PKT4_S7_PT5_21rocsparse_index_base_b
                                        ; -- End function
	.section	.AMDGPU.csdata,"",@progbits
; Kernel info:
; codeLenInByte = 2168
; NumSgprs: 22
; NumVgprs: 29
; ScratchSize: 0
; MemoryBound: 0
; FloatMode: 240
; IeeeMode: 1
; LDSByteSize: 11552 bytes/workgroup (compile time only)
; SGPRBlocks: 2
; VGPRBlocks: 3
; NumSGPRsForWavesPerEU: 22
; NumVGPRsForWavesPerEU: 29
; Occupancy: 15
; WaveLimiterHint : 1
; COMPUTE_PGM_RSRC2:SCRATCH_EN: 0
; COMPUTE_PGM_RSRC2:USER_SGPR: 15
; COMPUTE_PGM_RSRC2:TRAP_HANDLER: 0
; COMPUTE_PGM_RSRC2:TGID_X_EN: 1
; COMPUTE_PGM_RSRC2:TGID_Y_EN: 0
; COMPUTE_PGM_RSRC2:TGID_Z_EN: 0
; COMPUTE_PGM_RSRC2:TIDIG_COMP_CNT: 2
	.section	.text._ZN9rocsparseL20bsrxmvn_17_32_kernelILj20E21rocsparse_complex_numIdEliS2_S2_S2_EEvT2_20rocsparse_direction_NS_24const_host_device_scalarIT0_EES3_PKS3_PKT1_SC_S9_PKT3_PKT4_S7_PT5_21rocsparse_index_base_b,"axG",@progbits,_ZN9rocsparseL20bsrxmvn_17_32_kernelILj20E21rocsparse_complex_numIdEliS2_S2_S2_EEvT2_20rocsparse_direction_NS_24const_host_device_scalarIT0_EES3_PKS3_PKT1_SC_S9_PKT3_PKT4_S7_PT5_21rocsparse_index_base_b,comdat
	.globl	_ZN9rocsparseL20bsrxmvn_17_32_kernelILj20E21rocsparse_complex_numIdEliS2_S2_S2_EEvT2_20rocsparse_direction_NS_24const_host_device_scalarIT0_EES3_PKS3_PKT1_SC_S9_PKT3_PKT4_S7_PT5_21rocsparse_index_base_b ; -- Begin function _ZN9rocsparseL20bsrxmvn_17_32_kernelILj20E21rocsparse_complex_numIdEliS2_S2_S2_EEvT2_20rocsparse_direction_NS_24const_host_device_scalarIT0_EES3_PKS3_PKT1_SC_S9_PKT3_PKT4_S7_PT5_21rocsparse_index_base_b
	.p2align	8
	.type	_ZN9rocsparseL20bsrxmvn_17_32_kernelILj20E21rocsparse_complex_numIdEliS2_S2_S2_EEvT2_20rocsparse_direction_NS_24const_host_device_scalarIT0_EES3_PKS3_PKT1_SC_S9_PKT3_PKT4_S7_PT5_21rocsparse_index_base_b,@function
_ZN9rocsparseL20bsrxmvn_17_32_kernelILj20E21rocsparse_complex_numIdEliS2_S2_S2_EEvT2_20rocsparse_direction_NS_24const_host_device_scalarIT0_EES3_PKS3_PKT1_SC_S9_PKT3_PKT4_S7_PT5_21rocsparse_index_base_b: ; @_ZN9rocsparseL20bsrxmvn_17_32_kernelILj20E21rocsparse_complex_numIdEliS2_S2_S2_EEvT2_20rocsparse_direction_NS_24const_host_device_scalarIT0_EES3_PKS3_PKT1_SC_S9_PKT3_PKT4_S7_PT5_21rocsparse_index_base_b
; %bb.0:
	s_mov_b32 s12, s15
	s_clause 0x1
	s_load_b64 s[14:15], s[2:3], 0x68
	s_load_b128 s[4:7], s[2:3], 0x8
	s_load_b64 s[16:17], s[0:1], 0x4
	s_mov_b64 s[0:1], src_shared_base
	v_and_b32_e32 v4, 0x3ff, v0
	s_load_b128 s[8:11], s[2:3], 0x50
	v_bfe_u32 v2, v0, 10, 10
	v_bfe_u32 v0, v0, 20, 10
	s_waitcnt lgkmcnt(0)
	s_bitcmp1_b32 s15, 0
	v_mov_b32_e32 v12, s7
	s_cselect_b32 s0, -1, 0
	v_mov_b32_e32 v11, s6
	s_and_b32 vcc_lo, s0, exec_lo
	s_cselect_b32 s13, s1, s5
	s_lshr_b32 s15, s16, 16
	v_mov_b32_e32 v6, s13
	s_mul_i32 s15, s15, s17
	s_xor_b32 s6, s0, -1
	v_mul_lo_u32 v1, s15, v4
	s_delay_alu instid0(VALU_DEP_1) | instskip(SKIP_1) | instid1(VALU_DEP_2)
	v_mad_u32_u24 v1, v2, s17, v1
	v_dual_mov_b32 v2, s8 :: v_dual_mov_b32 v3, s9
	v_add_lshl_u32 v7, v1, v0, 3
	v_dual_mov_b32 v0, s4 :: v_dual_mov_b32 v1, s5
	ds_store_b64 v7, v[0:1] offset:9600
	ds_store_b64 v7, v[2:3] offset:6400
	v_add_nc_u32_e32 v5, 0x2580, v7
	v_add_nc_u32_e32 v0, 0x1900, v7
	s_delay_alu instid0(VALU_DEP_2)
	v_cndmask_b32_e64 v5, s4, v5, s0
	flat_load_b64 v[9:10], v[5:6]
	s_cbranch_vccnz .LBB115_2
; %bb.1:
	v_dual_mov_b32 v1, s4 :: v_dual_mov_b32 v2, s5
	flat_load_b64 v[11:12], v[1:2] offset:8
.LBB115_2:
	s_and_b32 s4, s0, exec_lo
	s_cselect_b32 s1, s1, s9
	v_cndmask_b32_e64 v0, s8, v0, s0
	v_mov_b32_e32 v1, s1
	v_dual_mov_b32 v7, s10 :: v_dual_mov_b32 v8, s11
	s_and_not1_b32 vcc_lo, exec_lo, s6
	flat_load_b64 v[5:6], v[0:1]
	s_cbranch_vccnz .LBB115_4
; %bb.3:
	v_dual_mov_b32 v0, s8 :: v_dual_mov_b32 v1, s9
	flat_load_b64 v[7:8], v[0:1] offset:8
.LBB115_4:
	s_waitcnt vmcnt(1) lgkmcnt(1)
	v_cmp_eq_f64_e32 vcc_lo, 0, v[9:10]
	v_cmp_eq_f64_e64 s0, 0, v[11:12]
	s_delay_alu instid0(VALU_DEP_1)
	s_and_b32 s4, vcc_lo, s0
	s_mov_b32 s0, -1
	s_and_saveexec_b32 s1, s4
	s_cbranch_execz .LBB115_6
; %bb.5:
	s_waitcnt vmcnt(0) lgkmcnt(0)
	v_cmp_neq_f64_e32 vcc_lo, 1.0, v[5:6]
	v_cmp_neq_f64_e64 s0, 0, v[7:8]
	s_delay_alu instid0(VALU_DEP_1) | instskip(NEXT) | instid1(SALU_CYCLE_1)
	s_or_b32 s0, vcc_lo, s0
	s_or_not1_b32 s0, s0, exec_lo
.LBB115_6:
	s_or_b32 exec_lo, exec_lo, s1
	s_and_saveexec_b32 s1, s0
	s_cbranch_execz .LBB115_43
; %bb.7:
	s_clause 0x1
	s_load_b128 s[4:7], s[2:3], 0x20
	s_load_b64 s[8:9], s[2:3], 0x30
	s_waitcnt lgkmcnt(0)
	s_cmp_eq_u64 s[4:5], 0
	s_cbranch_scc1 .LBB115_9
; %bb.8:
	s_ashr_i32 s13, s12, 31
	s_delay_alu instid0(SALU_CYCLE_1) | instskip(NEXT) | instid1(SALU_CYCLE_1)
	s_lshl_b64 s[0:1], s[12:13], 2
	s_add_u32 s0, s4, s0
	s_addc_u32 s1, s5, s1
	s_load_b32 s0, s[0:1], 0x0
	s_waitcnt lgkmcnt(0)
	s_sub_i32 s12, s0, s14
.LBB115_9:
	s_load_b32 s1, s[2:3], 0x4
	v_mul_u32_u24_e32 v0, 0xccd, v4
	v_mov_b32_e32 v2, 0
	v_dual_mov_b32 v3, 0 :: v_dual_lshlrev_b32 v18, 4, v4
	s_delay_alu instid0(VALU_DEP_3) | instskip(NEXT) | instid1(VALU_DEP_1)
	v_lshrrev_b32_e32 v13, 16, v0
	v_mul_lo_u16 v0, v13, 20
	s_delay_alu instid0(VALU_DEP_1) | instskip(NEXT) | instid1(VALU_DEP_4)
	v_sub_nc_u16 v19, v4, v0
	v_dual_mov_b32 v0, v2 :: v_dual_mov_b32 v1, v3
	s_waitcnt lgkmcnt(0)
	s_cmp_eq_u32 s1, 1
	s_cselect_b32 s0, -1, 0
	s_cmp_lg_u32 s1, 1
	s_cselect_b32 s1, -1, 0
	s_ashr_i32 s13, s12, 31
	s_delay_alu instid0(SALU_CYCLE_1) | instskip(NEXT) | instid1(SALU_CYCLE_1)
	s_lshl_b64 s[4:5], s[12:13], 3
	s_add_u32 s6, s6, s4
	s_addc_u32 s7, s7, s5
	s_add_u32 s10, s6, 8
	s_addc_u32 s11, s7, 0
	;; [unrolled: 2-line block ×3, first 2 shown]
	s_cmp_eq_u64 s[8:9], 0
	s_cselect_b32 s5, s11, s5
	s_cselect_b32 s4, s10, s4
	s_load_b64 s[10:11], s[6:7], 0x0
	s_load_b64 s[8:9], s[4:5], 0x0
	;; [unrolled: 1-line block ×3, first 2 shown]
	s_waitcnt lgkmcnt(0)
	v_cmp_ge_i64_e64 s6, s[10:11], s[8:9]
	s_delay_alu instid0(VALU_DEP_1)
	s_and_b32 vcc_lo, exec_lo, s6
	s_cbranch_vccnz .LBB115_14
; %bb.10:
	v_mul_lo_u16 v0, v13, 13
	v_and_b32_e32 v1, 0xffff, v4
	s_clause 0x1
	s_load_b64 s[6:7], s[2:3], 0x48
	s_load_b128 s[16:19], s[2:3], 0x38
	s_sub_u32 s2, s8, s14
	s_subb_u32 s3, s9, 0
	v_lshrrev_b16 v0, 8, v0
	v_mul_u32_u24_e32 v1, 0xa4, v1
	s_sub_u32 s8, s10, s14
	v_and_b32_e32 v2, 0xffff, v19
	s_subb_u32 s9, s11, 0
	v_mul_lo_u16 v0, v0, 20
	v_lshrrev_b32_e32 v20, 16, v1
	s_mul_hi_u32 s13, s8, 0x1900
	s_mul_i32 s15, s9, 0x1900
	s_delay_alu instid0(SALU_CYCLE_1) | instskip(SKIP_2) | instid1(VALU_DEP_1)
	s_add_i32 s13, s13, s15
	v_sub_nc_u16 v0, v13, v0
	v_add_co_u32 v1, s10, s10, v20
	v_add_co_ci_u32_e64 v3, null, s11, 0, s10
	s_delay_alu instid0(VALU_DEP_3) | instskip(NEXT) | instid1(VALU_DEP_3)
	v_and_b32_e32 v13, 0xff, v0
	v_sub_co_u32 v0, vcc_lo, v1, s14
	s_delay_alu instid0(VALU_DEP_3) | instskip(NEXT) | instid1(VALU_DEP_3)
	v_subrev_co_ci_u32_e32 v1, vcc_lo, 0, v3, vcc_lo
	v_cndmask_b32_e64 v13, v2, v13, s0
	s_mul_i32 s0, s8, 0x1900
	v_mov_b32_e32 v2, 0
	s_delay_alu instid0(VALU_DEP_3)
	v_lshlrev_b64 v[0:1], 2, v[0:1]
	v_mov_b32_e32 v3, 0
	s_waitcnt lgkmcnt(0)
	s_add_u32 s0, s18, s0
	s_addc_u32 s10, s19, s13
	v_add_co_u32 v14, s0, s0, v18
	v_add_co_u32 v16, vcc_lo, s16, v0
	v_add_co_ci_u32_e32 v17, vcc_lo, s17, v1, vcc_lo
	v_mov_b32_e32 v0, v2
	v_add_co_ci_u32_e64 v15, null, s10, 0, s0
	v_mov_b32_e32 v1, v3
	s_set_inst_prefetch_distance 0x1
	s_branch .LBB115_12
	.p2align	6
.LBB115_11:                             ;   in Loop: Header=BB115_12 Depth=1
	s_or_b32 exec_lo, exec_lo, s0
	s_add_u32 s8, s8, 1
	s_addc_u32 s9, s9, 0
	v_add_co_u32 v16, vcc_lo, v16, 4
	v_cmp_lt_i64_e64 s0, s[8:9], s[2:3]
	v_add_co_ci_u32_e32 v17, vcc_lo, 0, v17, vcc_lo
	s_delay_alu instid0(VALU_DEP_2)
	s_and_b32 vcc_lo, exec_lo, s0
	s_cbranch_vccz .LBB115_14
.LBB115_12:                             ; =>This Inner Loop Header: Depth=1
	v_add_co_u32 v21, s0, v20, s8
	s_delay_alu instid0(VALU_DEP_1) | instskip(SKIP_1) | instid1(VALU_DEP_1)
	v_add_co_ci_u32_e64 v22, null, 0, s9, s0
	s_mov_b32 s0, exec_lo
	v_cmpx_gt_i64_e64 s[2:3], v[21:22]
	s_cbranch_execz .LBB115_11
; %bb.13:                               ;   in Loop: Header=BB115_12 Depth=1
	global_load_b32 v21, v[16:17], off
	s_waitcnt vmcnt(0)
	v_subrev_nc_u32_e32 v23, s14, v21
	s_delay_alu instid0(VALU_DEP_1) | instskip(NEXT) | instid1(VALU_DEP_1)
	v_mad_u64_u32 v[21:22], null, v23, 20, v[13:14]
	v_ashrrev_i32_e32 v22, 31, v21
	s_delay_alu instid0(VALU_DEP_1) | instskip(NEXT) | instid1(VALU_DEP_1)
	v_lshlrev_b64 v[21:22], 4, v[21:22]
	v_add_co_u32 v25, vcc_lo, s6, v21
	s_delay_alu instid0(VALU_DEP_2)
	v_add_co_ci_u32_e32 v26, vcc_lo, s7, v22, vcc_lo
	global_load_b128 v[21:24], v[14:15], off
	global_load_b128 v[25:28], v[25:26], off
	v_add_co_u32 v14, vcc_lo, 0x1900, v14
	v_add_co_ci_u32_e32 v15, vcc_lo, 0, v15, vcc_lo
	s_waitcnt vmcnt(0)
	v_fma_f64 v[0:1], v[21:22], v[25:26], v[0:1]
	v_fma_f64 v[2:3], v[23:24], v[25:26], v[2:3]
	s_delay_alu instid0(VALU_DEP_2) | instskip(NEXT) | instid1(VALU_DEP_2)
	v_fma_f64 v[0:1], -v[23:24], v[27:28], v[0:1]
	v_fma_f64 v[2:3], v[21:22], v[27:28], v[2:3]
	s_branch .LBB115_11
.LBB115_14:
	s_set_inst_prefetch_distance 0x2
	s_and_b32 vcc_lo, exec_lo, s1
	ds_store_b128 v18, v[0:3]
	s_waitcnt vmcnt(0) lgkmcnt(0)
	s_barrier
	buffer_gl0_inv
	s_cbranch_vccz .LBB115_26
; %bb.15:
	v_cmp_gt_u16_e32 vcc_lo, 4, v19
	s_and_saveexec_b32 s0, vcc_lo
	s_cbranch_execz .LBB115_17
; %bb.16:
	ds_load_b128 v[13:16], v18 offset:256
	ds_load_b128 v[20:23], v18
	s_waitcnt lgkmcnt(0)
	v_add_f64 v[13:14], v[13:14], v[20:21]
	v_add_f64 v[15:16], v[15:16], v[22:23]
	ds_store_b128 v18, v[13:16]
.LBB115_17:
	s_or_b32 exec_lo, exec_lo, s0
	s_delay_alu instid0(SALU_CYCLE_1)
	s_mov_b32 s1, exec_lo
	s_waitcnt lgkmcnt(0)
	s_barrier
	buffer_gl0_inv
	v_cmpx_gt_u16_e32 8, v19
	s_cbranch_execz .LBB115_19
; %bb.18:
	ds_load_b128 v[13:16], v18 offset:128
	ds_load_b128 v[20:23], v18
	s_waitcnt lgkmcnt(0)
	v_add_f64 v[13:14], v[13:14], v[20:21]
	v_add_f64 v[15:16], v[15:16], v[22:23]
	ds_store_b128 v18, v[13:16]
.LBB115_19:
	s_or_b32 exec_lo, exec_lo, s1
	s_waitcnt lgkmcnt(0)
	s_barrier
	buffer_gl0_inv
	s_and_saveexec_b32 s0, vcc_lo
	s_cbranch_execz .LBB115_21
; %bb.20:
	ds_load_b128 v[13:16], v18 offset:64
	ds_load_b128 v[20:23], v18
	s_waitcnt lgkmcnt(0)
	v_add_f64 v[13:14], v[13:14], v[20:21]
	v_add_f64 v[15:16], v[15:16], v[22:23]
	ds_store_b128 v18, v[13:16]
.LBB115_21:
	s_or_b32 exec_lo, exec_lo, s0
	s_delay_alu instid0(SALU_CYCLE_1)
	s_mov_b32 s0, exec_lo
	s_waitcnt lgkmcnt(0)
	s_barrier
	buffer_gl0_inv
	v_cmpx_gt_u16_e32 2, v19
	s_cbranch_execz .LBB115_23
; %bb.22:
	ds_load_b128 v[13:16], v18
	ds_load_b128 v[19:22], v18 offset:32
	s_waitcnt lgkmcnt(0)
	v_add_f64 v[13:14], v[19:20], v[13:14]
	v_add_f64 v[15:16], v[21:22], v[15:16]
	ds_store_b128 v18, v[13:16]
.LBB115_23:
	s_or_b32 exec_lo, exec_lo, s0
	v_dual_mov_b32 v16, v3 :: v_dual_mov_b32 v15, v2
	v_dual_mov_b32 v14, v1 :: v_dual_mov_b32 v13, v0
	s_mov_b32 s0, exec_lo
	s_waitcnt lgkmcnt(0)
	s_barrier
	buffer_gl0_inv
	v_cmpx_gt_u32_e32 20, v4
	s_cbranch_execz .LBB115_25
; %bb.24:
	v_mul_u32_u24_e32 v13, 20, v4
	s_delay_alu instid0(VALU_DEP_1)
	v_lshlrev_b32_e32 v17, 4, v13
	ds_load_b128 v[13:16], v17
	ds_load_b128 v[19:22], v17 offset:16
	s_waitcnt lgkmcnt(0)
	v_add_f64 v[13:14], v[19:20], v[13:14]
	v_add_f64 v[15:16], v[21:22], v[15:16]
.LBB115_25:
	s_or_b32 exec_lo, exec_lo, s0
	s_branch .LBB115_38
.LBB115_26:
                                        ; implicit-def: $vgpr15_vgpr16
                                        ; implicit-def: $vgpr13_vgpr14
	s_cbranch_execz .LBB115_38
; %bb.27:
	v_cmp_gt_u32_e32 vcc_lo, 0x50, v4
	s_and_saveexec_b32 s0, vcc_lo
	s_cbranch_execz .LBB115_29
; %bb.28:
	ds_load_b128 v[13:16], v18 offset:5120
	ds_load_b128 v[19:22], v18
	s_waitcnt lgkmcnt(0)
	v_add_f64 v[13:14], v[13:14], v[19:20]
	v_add_f64 v[15:16], v[15:16], v[21:22]
	ds_store_b128 v18, v[13:16]
.LBB115_29:
	s_or_b32 exec_lo, exec_lo, s0
	s_delay_alu instid0(SALU_CYCLE_1)
	s_mov_b32 s1, exec_lo
	s_waitcnt lgkmcnt(0)
	s_barrier
	buffer_gl0_inv
	v_cmpx_gt_u32_e32 0xa0, v4
	s_cbranch_execz .LBB115_31
; %bb.30:
	ds_load_b128 v[13:16], v18 offset:2560
	ds_load_b128 v[19:22], v18
	s_waitcnt lgkmcnt(0)
	v_add_f64 v[13:14], v[13:14], v[19:20]
	v_add_f64 v[15:16], v[15:16], v[21:22]
	ds_store_b128 v18, v[13:16]
.LBB115_31:
	s_or_b32 exec_lo, exec_lo, s1
	s_waitcnt lgkmcnt(0)
	s_barrier
	buffer_gl0_inv
	s_and_saveexec_b32 s0, vcc_lo
	s_cbranch_execz .LBB115_33
; %bb.32:
	ds_load_b128 v[13:16], v18 offset:1280
	ds_load_b128 v[19:22], v18
	s_waitcnt lgkmcnt(0)
	v_add_f64 v[13:14], v[13:14], v[19:20]
	v_add_f64 v[15:16], v[15:16], v[21:22]
	ds_store_b128 v18, v[13:16]
.LBB115_33:
	s_or_b32 exec_lo, exec_lo, s0
	s_delay_alu instid0(SALU_CYCLE_1)
	s_mov_b32 s0, exec_lo
	s_waitcnt lgkmcnt(0)
	s_barrier
	buffer_gl0_inv
	v_cmpx_gt_u32_e32 40, v4
	s_cbranch_execz .LBB115_35
; %bb.34:
	ds_load_b128 v[13:16], v18 offset:640
	ds_load_b128 v[19:22], v18
	s_waitcnt lgkmcnt(0)
	v_add_f64 v[13:14], v[13:14], v[19:20]
	v_add_f64 v[15:16], v[15:16], v[21:22]
	ds_store_b128 v18, v[13:16]
.LBB115_35:
	s_or_b32 exec_lo, exec_lo, s0
	s_delay_alu instid0(SALU_CYCLE_1)
	s_mov_b32 s0, exec_lo
	s_waitcnt lgkmcnt(0)
	buffer_gl0_inv
	v_cmpx_gt_u32_e32 20, v4
	s_cbranch_execz .LBB115_37
; %bb.36:
	ds_load_b128 v[0:3], v18 offset:320
	ds_load_b128 v[13:16], v18
	s_waitcnt lgkmcnt(0)
	v_add_f64 v[0:1], v[0:1], v[13:14]
	v_add_f64 v[2:3], v[2:3], v[15:16]
.LBB115_37:
	s_or_b32 exec_lo, exec_lo, s0
	s_delay_alu instid0(VALU_DEP_1) | instskip(NEXT) | instid1(VALU_DEP_3)
	v_dual_mov_b32 v16, v3 :: v_dual_mov_b32 v15, v2
	v_dual_mov_b32 v14, v1 :: v_dual_mov_b32 v13, v0
.LBB115_38:
	v_cmp_gt_u32_e32 vcc_lo, 20, v4
	s_and_b32 exec_lo, exec_lo, vcc_lo
	s_cbranch_execz .LBB115_43
; %bb.39:
	s_delay_alu instid0(VALU_DEP_2) | instskip(SKIP_3) | instid1(VALU_DEP_4)
	v_mul_f64 v[0:1], v[15:16], -v[11:12]
	v_mul_f64 v[2:3], v[9:10], v[15:16]
	v_cmp_eq_f64_e32 vcc_lo, 0, v[5:6]
	v_cmp_eq_f64_e64 s0, 0, v[7:8]
	v_fma_f64 v[0:1], v[9:10], v[13:14], v[0:1]
	s_delay_alu instid0(VALU_DEP_4) | instskip(NEXT) | instid1(VALU_DEP_3)
	v_fma_f64 v[2:3], v[11:12], v[13:14], v[2:3]
	s_and_b32 s0, vcc_lo, s0
	s_delay_alu instid0(SALU_CYCLE_1) | instskip(NEXT) | instid1(SALU_CYCLE_1)
	s_and_saveexec_b32 s1, s0
	s_xor_b32 s0, exec_lo, s1
	s_cbranch_execz .LBB115_41
; %bb.40:
	v_mad_u64_u32 v[5:6], null, s12, 20, v[4:5]
	v_mov_b32_e32 v6, 0
                                        ; implicit-def: $vgpr7_vgpr8
	s_delay_alu instid0(VALU_DEP_1) | instskip(NEXT) | instid1(VALU_DEP_1)
	v_lshlrev_b64 v[4:5], 4, v[5:6]
	v_add_co_u32 v4, vcc_lo, s4, v4
	s_delay_alu instid0(VALU_DEP_2)
	v_add_co_ci_u32_e32 v5, vcc_lo, s5, v5, vcc_lo
	global_store_b128 v[4:5], v[0:3], off
                                        ; implicit-def: $vgpr4
                                        ; implicit-def: $vgpr5_vgpr6
                                        ; implicit-def: $vgpr0_vgpr1
.LBB115_41:
	s_and_not1_saveexec_b32 s0, s0
	s_cbranch_execz .LBB115_43
; %bb.42:
	v_mad_u64_u32 v[9:10], null, s12, 20, v[4:5]
	v_mov_b32_e32 v10, 0
	s_delay_alu instid0(VALU_DEP_1) | instskip(NEXT) | instid1(VALU_DEP_1)
	v_lshlrev_b64 v[9:10], 4, v[9:10]
	v_add_co_u32 v13, vcc_lo, s4, v9
	s_delay_alu instid0(VALU_DEP_2) | instskip(SKIP_4) | instid1(VALU_DEP_2)
	v_add_co_ci_u32_e32 v14, vcc_lo, s5, v10, vcc_lo
	global_load_b128 v[9:12], v[13:14], off
	s_waitcnt vmcnt(0)
	v_fma_f64 v[0:1], v[5:6], v[9:10], v[0:1]
	v_fma_f64 v[2:3], v[7:8], v[9:10], v[2:3]
	v_fma_f64 v[0:1], -v[7:8], v[11:12], v[0:1]
	s_delay_alu instid0(VALU_DEP_2)
	v_fma_f64 v[2:3], v[5:6], v[11:12], v[2:3]
	global_store_b128 v[13:14], v[0:3], off
.LBB115_43:
	s_nop 0
	s_sendmsg sendmsg(MSG_DEALLOC_VGPRS)
	s_endpgm
	.section	.rodata,"a",@progbits
	.p2align	6, 0x0
	.amdhsa_kernel _ZN9rocsparseL20bsrxmvn_17_32_kernelILj20E21rocsparse_complex_numIdEliS2_S2_S2_EEvT2_20rocsparse_direction_NS_24const_host_device_scalarIT0_EES3_PKS3_PKT1_SC_S9_PKT3_PKT4_S7_PT5_21rocsparse_index_base_b
		.amdhsa_group_segment_fixed_size 12800
		.amdhsa_private_segment_fixed_size 0
		.amdhsa_kernarg_size 112
		.amdhsa_user_sgpr_count 15
		.amdhsa_user_sgpr_dispatch_ptr 1
		.amdhsa_user_sgpr_queue_ptr 0
		.amdhsa_user_sgpr_kernarg_segment_ptr 1
		.amdhsa_user_sgpr_dispatch_id 0
		.amdhsa_user_sgpr_private_segment_size 0
		.amdhsa_wavefront_size32 1
		.amdhsa_uses_dynamic_stack 0
		.amdhsa_enable_private_segment 0
		.amdhsa_system_sgpr_workgroup_id_x 1
		.amdhsa_system_sgpr_workgroup_id_y 0
		.amdhsa_system_sgpr_workgroup_id_z 0
		.amdhsa_system_sgpr_workgroup_info 0
		.amdhsa_system_vgpr_workitem_id 2
		.amdhsa_next_free_vgpr 29
		.amdhsa_next_free_sgpr 20
		.amdhsa_reserve_vcc 1
		.amdhsa_float_round_mode_32 0
		.amdhsa_float_round_mode_16_64 0
		.amdhsa_float_denorm_mode_32 3
		.amdhsa_float_denorm_mode_16_64 3
		.amdhsa_dx10_clamp 1
		.amdhsa_ieee_mode 1
		.amdhsa_fp16_overflow 0
		.amdhsa_workgroup_processor_mode 1
		.amdhsa_memory_ordered 1
		.amdhsa_forward_progress 0
		.amdhsa_shared_vgpr_count 0
		.amdhsa_exception_fp_ieee_invalid_op 0
		.amdhsa_exception_fp_denorm_src 0
		.amdhsa_exception_fp_ieee_div_zero 0
		.amdhsa_exception_fp_ieee_overflow 0
		.amdhsa_exception_fp_ieee_underflow 0
		.amdhsa_exception_fp_ieee_inexact 0
		.amdhsa_exception_int_div_zero 0
	.end_amdhsa_kernel
	.section	.text._ZN9rocsparseL20bsrxmvn_17_32_kernelILj20E21rocsparse_complex_numIdEliS2_S2_S2_EEvT2_20rocsparse_direction_NS_24const_host_device_scalarIT0_EES3_PKS3_PKT1_SC_S9_PKT3_PKT4_S7_PT5_21rocsparse_index_base_b,"axG",@progbits,_ZN9rocsparseL20bsrxmvn_17_32_kernelILj20E21rocsparse_complex_numIdEliS2_S2_S2_EEvT2_20rocsparse_direction_NS_24const_host_device_scalarIT0_EES3_PKS3_PKT1_SC_S9_PKT3_PKT4_S7_PT5_21rocsparse_index_base_b,comdat
.Lfunc_end115:
	.size	_ZN9rocsparseL20bsrxmvn_17_32_kernelILj20E21rocsparse_complex_numIdEliS2_S2_S2_EEvT2_20rocsparse_direction_NS_24const_host_device_scalarIT0_EES3_PKS3_PKT1_SC_S9_PKT3_PKT4_S7_PT5_21rocsparse_index_base_b, .Lfunc_end115-_ZN9rocsparseL20bsrxmvn_17_32_kernelILj20E21rocsparse_complex_numIdEliS2_S2_S2_EEvT2_20rocsparse_direction_NS_24const_host_device_scalarIT0_EES3_PKS3_PKT1_SC_S9_PKT3_PKT4_S7_PT5_21rocsparse_index_base_b
                                        ; -- End function
	.section	.AMDGPU.csdata,"",@progbits
; Kernel info:
; codeLenInByte = 2152
; NumSgprs: 22
; NumVgprs: 29
; ScratchSize: 0
; MemoryBound: 0
; FloatMode: 240
; IeeeMode: 1
; LDSByteSize: 12800 bytes/workgroup (compile time only)
; SGPRBlocks: 2
; VGPRBlocks: 3
; NumSGPRsForWavesPerEU: 22
; NumVGPRsForWavesPerEU: 29
; Occupancy: 13
; WaveLimiterHint : 1
; COMPUTE_PGM_RSRC2:SCRATCH_EN: 0
; COMPUTE_PGM_RSRC2:USER_SGPR: 15
; COMPUTE_PGM_RSRC2:TRAP_HANDLER: 0
; COMPUTE_PGM_RSRC2:TGID_X_EN: 1
; COMPUTE_PGM_RSRC2:TGID_Y_EN: 0
; COMPUTE_PGM_RSRC2:TGID_Z_EN: 0
; COMPUTE_PGM_RSRC2:TIDIG_COMP_CNT: 2
	.section	.text._ZN9rocsparseL20bsrxmvn_17_32_kernelILj21E21rocsparse_complex_numIdEliS2_S2_S2_EEvT2_20rocsparse_direction_NS_24const_host_device_scalarIT0_EES3_PKS3_PKT1_SC_S9_PKT3_PKT4_S7_PT5_21rocsparse_index_base_b,"axG",@progbits,_ZN9rocsparseL20bsrxmvn_17_32_kernelILj21E21rocsparse_complex_numIdEliS2_S2_S2_EEvT2_20rocsparse_direction_NS_24const_host_device_scalarIT0_EES3_PKS3_PKT1_SC_S9_PKT3_PKT4_S7_PT5_21rocsparse_index_base_b,comdat
	.globl	_ZN9rocsparseL20bsrxmvn_17_32_kernelILj21E21rocsparse_complex_numIdEliS2_S2_S2_EEvT2_20rocsparse_direction_NS_24const_host_device_scalarIT0_EES3_PKS3_PKT1_SC_S9_PKT3_PKT4_S7_PT5_21rocsparse_index_base_b ; -- Begin function _ZN9rocsparseL20bsrxmvn_17_32_kernelILj21E21rocsparse_complex_numIdEliS2_S2_S2_EEvT2_20rocsparse_direction_NS_24const_host_device_scalarIT0_EES3_PKS3_PKT1_SC_S9_PKT3_PKT4_S7_PT5_21rocsparse_index_base_b
	.p2align	8
	.type	_ZN9rocsparseL20bsrxmvn_17_32_kernelILj21E21rocsparse_complex_numIdEliS2_S2_S2_EEvT2_20rocsparse_direction_NS_24const_host_device_scalarIT0_EES3_PKS3_PKT1_SC_S9_PKT3_PKT4_S7_PT5_21rocsparse_index_base_b,@function
_ZN9rocsparseL20bsrxmvn_17_32_kernelILj21E21rocsparse_complex_numIdEliS2_S2_S2_EEvT2_20rocsparse_direction_NS_24const_host_device_scalarIT0_EES3_PKS3_PKT1_SC_S9_PKT3_PKT4_S7_PT5_21rocsparse_index_base_b: ; @_ZN9rocsparseL20bsrxmvn_17_32_kernelILj21E21rocsparse_complex_numIdEliS2_S2_S2_EEvT2_20rocsparse_direction_NS_24const_host_device_scalarIT0_EES3_PKS3_PKT1_SC_S9_PKT3_PKT4_S7_PT5_21rocsparse_index_base_b
; %bb.0:
	s_mov_b32 s12, s15
	s_clause 0x1
	s_load_b64 s[14:15], s[2:3], 0x68
	s_load_b128 s[4:7], s[2:3], 0x8
	s_load_b64 s[16:17], s[0:1], 0x4
	s_mov_b64 s[0:1], src_shared_base
	v_and_b32_e32 v4, 0x3ff, v0
	s_load_b128 s[8:11], s[2:3], 0x50
	v_bfe_u32 v2, v0, 10, 10
	v_bfe_u32 v0, v0, 20, 10
	s_waitcnt lgkmcnt(0)
	s_bitcmp1_b32 s15, 0
	v_mov_b32_e32 v12, s7
	s_cselect_b32 s0, -1, 0
	v_mov_b32_e32 v11, s6
	s_and_b32 vcc_lo, s0, exec_lo
	s_cselect_b32 s13, s1, s5
	s_lshr_b32 s15, s16, 16
	v_mov_b32_e32 v6, s13
	s_mul_i32 s15, s15, s17
	s_xor_b32 s6, s0, -1
	v_mul_lo_u32 v1, s15, v4
	s_delay_alu instid0(VALU_DEP_1) | instskip(SKIP_1) | instid1(VALU_DEP_2)
	v_mad_u32_u24 v1, v2, s17, v1
	v_dual_mov_b32 v2, s8 :: v_dual_mov_b32 v3, s9
	v_add_lshl_u32 v7, v1, v0, 3
	v_dual_mov_b32 v0, s4 :: v_dual_mov_b32 v1, s5
	ds_store_b64 v7, v[0:1] offset:10584
	ds_store_b64 v7, v[2:3] offset:7056
	v_add_nc_u32_e32 v5, 0x2958, v7
	v_add_nc_u32_e32 v0, 0x1b90, v7
	s_delay_alu instid0(VALU_DEP_2)
	v_cndmask_b32_e64 v5, s4, v5, s0
	flat_load_b64 v[9:10], v[5:6]
	s_cbranch_vccnz .LBB116_2
; %bb.1:
	v_dual_mov_b32 v1, s4 :: v_dual_mov_b32 v2, s5
	flat_load_b64 v[11:12], v[1:2] offset:8
.LBB116_2:
	s_and_b32 s4, s0, exec_lo
	s_cselect_b32 s1, s1, s9
	v_cndmask_b32_e64 v0, s8, v0, s0
	v_mov_b32_e32 v1, s1
	v_dual_mov_b32 v7, s10 :: v_dual_mov_b32 v8, s11
	s_and_not1_b32 vcc_lo, exec_lo, s6
	flat_load_b64 v[5:6], v[0:1]
	s_cbranch_vccnz .LBB116_4
; %bb.3:
	v_dual_mov_b32 v0, s8 :: v_dual_mov_b32 v1, s9
	flat_load_b64 v[7:8], v[0:1] offset:8
.LBB116_4:
	s_waitcnt vmcnt(1) lgkmcnt(1)
	v_cmp_eq_f64_e32 vcc_lo, 0, v[9:10]
	v_cmp_eq_f64_e64 s0, 0, v[11:12]
	s_delay_alu instid0(VALU_DEP_1)
	s_and_b32 s4, vcc_lo, s0
	s_mov_b32 s0, -1
	s_and_saveexec_b32 s1, s4
	s_cbranch_execz .LBB116_6
; %bb.5:
	s_waitcnt vmcnt(0) lgkmcnt(0)
	v_cmp_neq_f64_e32 vcc_lo, 1.0, v[5:6]
	v_cmp_neq_f64_e64 s0, 0, v[7:8]
	s_delay_alu instid0(VALU_DEP_1) | instskip(NEXT) | instid1(SALU_CYCLE_1)
	s_or_b32 s0, vcc_lo, s0
	s_or_not1_b32 s0, s0, exec_lo
.LBB116_6:
	s_or_b32 exec_lo, exec_lo, s1
	s_and_saveexec_b32 s1, s0
	s_cbranch_execz .LBB116_43
; %bb.7:
	s_clause 0x1
	s_load_b128 s[4:7], s[2:3], 0x20
	s_load_b64 s[8:9], s[2:3], 0x30
	s_waitcnt lgkmcnt(0)
	s_cmp_eq_u64 s[4:5], 0
	s_cbranch_scc1 .LBB116_9
; %bb.8:
	s_ashr_i32 s13, s12, 31
	s_delay_alu instid0(SALU_CYCLE_1) | instskip(NEXT) | instid1(SALU_CYCLE_1)
	s_lshl_b64 s[0:1], s[12:13], 2
	s_add_u32 s0, s4, s0
	s_addc_u32 s1, s5, s1
	s_load_b32 s0, s[0:1], 0x0
	s_waitcnt lgkmcnt(0)
	s_sub_i32 s12, s0, s14
.LBB116_9:
	s_load_b32 s1, s[2:3], 0x4
	v_mul_u32_u24_e32 v0, 0xc31, v4
	v_mov_b32_e32 v2, 0
	v_dual_mov_b32 v3, 0 :: v_dual_lshlrev_b32 v18, 4, v4
	s_delay_alu instid0(VALU_DEP_3) | instskip(NEXT) | instid1(VALU_DEP_1)
	v_lshrrev_b32_e32 v13, 16, v0
	v_mul_lo_u16 v0, v13, 21
	s_delay_alu instid0(VALU_DEP_1) | instskip(NEXT) | instid1(VALU_DEP_4)
	v_sub_nc_u16 v19, v4, v0
	v_dual_mov_b32 v0, v2 :: v_dual_mov_b32 v1, v3
	s_waitcnt lgkmcnt(0)
	s_cmp_eq_u32 s1, 1
	s_cselect_b32 s0, -1, 0
	s_cmp_lg_u32 s1, 1
	s_cselect_b32 s1, -1, 0
	s_ashr_i32 s13, s12, 31
	s_delay_alu instid0(SALU_CYCLE_1) | instskip(NEXT) | instid1(SALU_CYCLE_1)
	s_lshl_b64 s[4:5], s[12:13], 3
	s_add_u32 s6, s6, s4
	s_addc_u32 s7, s7, s5
	s_add_u32 s10, s6, 8
	s_addc_u32 s11, s7, 0
	;; [unrolled: 2-line block ×3, first 2 shown]
	s_cmp_eq_u64 s[8:9], 0
	s_cselect_b32 s5, s11, s5
	s_cselect_b32 s4, s10, s4
	s_load_b64 s[10:11], s[6:7], 0x0
	s_load_b64 s[8:9], s[4:5], 0x0
	;; [unrolled: 1-line block ×3, first 2 shown]
	s_waitcnt lgkmcnt(0)
	v_cmp_ge_i64_e64 s6, s[10:11], s[8:9]
	s_delay_alu instid0(VALU_DEP_1)
	s_and_b32 vcc_lo, exec_lo, s6
	s_cbranch_vccnz .LBB116_14
; %bb.10:
	v_mul_lo_u16 v0, v13, 25
	v_and_b32_e32 v1, 0xffff, v4
	s_clause 0x1
	s_load_b64 s[6:7], s[2:3], 0x48
	s_load_b128 s[16:19], s[2:3], 0x38
	s_sub_u32 s2, s8, s14
	s_subb_u32 s3, s9, 0
	v_lshrrev_b16 v0, 9, v0
	v_mul_u32_u24_e32 v1, 0x253, v1
	s_sub_u32 s8, s10, s14
	v_and_b32_e32 v2, 0xffff, v19
	s_subb_u32 s9, s11, 0
	v_mul_lo_u16 v0, v0, 21
	v_lshrrev_b32_e32 v20, 18, v1
	s_mul_hi_u32 s13, s8, 0x1b90
	s_mul_i32 s15, s9, 0x1b90
	s_delay_alu instid0(SALU_CYCLE_1) | instskip(SKIP_2) | instid1(VALU_DEP_1)
	s_add_i32 s13, s13, s15
	v_sub_nc_u16 v0, v13, v0
	v_add_co_u32 v1, s10, s10, v20
	v_add_co_ci_u32_e64 v3, null, s11, 0, s10
	s_delay_alu instid0(VALU_DEP_3) | instskip(NEXT) | instid1(VALU_DEP_3)
	v_and_b32_e32 v13, 0xff, v0
	v_sub_co_u32 v0, vcc_lo, v1, s14
	s_delay_alu instid0(VALU_DEP_3) | instskip(NEXT) | instid1(VALU_DEP_3)
	v_subrev_co_ci_u32_e32 v1, vcc_lo, 0, v3, vcc_lo
	v_cndmask_b32_e64 v13, v2, v13, s0
	s_mul_i32 s0, s8, 0x1b90
	v_mov_b32_e32 v2, 0
	s_delay_alu instid0(VALU_DEP_3)
	v_lshlrev_b64 v[0:1], 2, v[0:1]
	v_mov_b32_e32 v3, 0
	s_waitcnt lgkmcnt(0)
	s_add_u32 s0, s18, s0
	s_addc_u32 s10, s19, s13
	v_add_co_u32 v14, s0, s0, v18
	v_add_co_u32 v16, vcc_lo, s16, v0
	v_add_co_ci_u32_e32 v17, vcc_lo, s17, v1, vcc_lo
	v_mov_b32_e32 v0, v2
	v_add_co_ci_u32_e64 v15, null, s10, 0, s0
	v_mov_b32_e32 v1, v3
	s_set_inst_prefetch_distance 0x1
	s_branch .LBB116_12
	.p2align	6
.LBB116_11:                             ;   in Loop: Header=BB116_12 Depth=1
	s_or_b32 exec_lo, exec_lo, s0
	s_add_u32 s8, s8, 1
	s_addc_u32 s9, s9, 0
	v_add_co_u32 v16, vcc_lo, v16, 4
	v_cmp_lt_i64_e64 s0, s[8:9], s[2:3]
	v_add_co_ci_u32_e32 v17, vcc_lo, 0, v17, vcc_lo
	s_delay_alu instid0(VALU_DEP_2)
	s_and_b32 vcc_lo, exec_lo, s0
	s_cbranch_vccz .LBB116_14
.LBB116_12:                             ; =>This Inner Loop Header: Depth=1
	v_add_co_u32 v21, s0, v20, s8
	s_delay_alu instid0(VALU_DEP_1) | instskip(SKIP_1) | instid1(VALU_DEP_1)
	v_add_co_ci_u32_e64 v22, null, 0, s9, s0
	s_mov_b32 s0, exec_lo
	v_cmpx_gt_i64_e64 s[2:3], v[21:22]
	s_cbranch_execz .LBB116_11
; %bb.13:                               ;   in Loop: Header=BB116_12 Depth=1
	global_load_b32 v21, v[16:17], off
	s_waitcnt vmcnt(0)
	v_subrev_nc_u32_e32 v23, s14, v21
	s_delay_alu instid0(VALU_DEP_1) | instskip(NEXT) | instid1(VALU_DEP_1)
	v_mad_u64_u32 v[21:22], null, v23, 21, v[13:14]
	v_ashrrev_i32_e32 v22, 31, v21
	s_delay_alu instid0(VALU_DEP_1) | instskip(NEXT) | instid1(VALU_DEP_1)
	v_lshlrev_b64 v[21:22], 4, v[21:22]
	v_add_co_u32 v25, vcc_lo, s6, v21
	s_delay_alu instid0(VALU_DEP_2)
	v_add_co_ci_u32_e32 v26, vcc_lo, s7, v22, vcc_lo
	global_load_b128 v[21:24], v[14:15], off
	global_load_b128 v[25:28], v[25:26], off
	v_add_co_u32 v14, vcc_lo, 0x1b90, v14
	v_add_co_ci_u32_e32 v15, vcc_lo, 0, v15, vcc_lo
	s_waitcnt vmcnt(0)
	v_fma_f64 v[0:1], v[21:22], v[25:26], v[0:1]
	v_fma_f64 v[2:3], v[23:24], v[25:26], v[2:3]
	s_delay_alu instid0(VALU_DEP_2) | instskip(NEXT) | instid1(VALU_DEP_2)
	v_fma_f64 v[0:1], -v[23:24], v[27:28], v[0:1]
	v_fma_f64 v[2:3], v[21:22], v[27:28], v[2:3]
	s_branch .LBB116_11
.LBB116_14:
	s_set_inst_prefetch_distance 0x2
	s_and_b32 vcc_lo, exec_lo, s1
	ds_store_b128 v18, v[0:3]
	s_waitcnt vmcnt(0) lgkmcnt(0)
	s_barrier
	buffer_gl0_inv
	s_cbranch_vccz .LBB116_26
; %bb.15:
	s_mov_b32 s0, exec_lo
	v_cmpx_gt_u16_e32 5, v19
	s_cbranch_execz .LBB116_17
; %bb.16:
	ds_load_b128 v[13:16], v18 offset:256
	ds_load_b128 v[20:23], v18
	s_waitcnt lgkmcnt(0)
	v_add_f64 v[13:14], v[13:14], v[20:21]
	v_add_f64 v[15:16], v[15:16], v[22:23]
	ds_store_b128 v18, v[13:16]
.LBB116_17:
	s_or_b32 exec_lo, exec_lo, s0
	s_delay_alu instid0(SALU_CYCLE_1)
	s_mov_b32 s0, exec_lo
	s_waitcnt lgkmcnt(0)
	s_barrier
	buffer_gl0_inv
	v_cmpx_gt_u16_e32 8, v19
	s_cbranch_execz .LBB116_19
; %bb.18:
	ds_load_b128 v[13:16], v18 offset:128
	ds_load_b128 v[20:23], v18
	s_waitcnt lgkmcnt(0)
	v_add_f64 v[13:14], v[13:14], v[20:21]
	v_add_f64 v[15:16], v[15:16], v[22:23]
	ds_store_b128 v18, v[13:16]
.LBB116_19:
	s_or_b32 exec_lo, exec_lo, s0
	s_delay_alu instid0(SALU_CYCLE_1)
	s_mov_b32 s0, exec_lo
	s_waitcnt lgkmcnt(0)
	s_barrier
	buffer_gl0_inv
	;; [unrolled: 16-line block ×3, first 2 shown]
	v_cmpx_gt_u16_e32 2, v19
	s_cbranch_execz .LBB116_23
; %bb.22:
	ds_load_b128 v[13:16], v18
	ds_load_b128 v[19:22], v18 offset:32
	s_waitcnt lgkmcnt(0)
	v_add_f64 v[13:14], v[19:20], v[13:14]
	v_add_f64 v[15:16], v[21:22], v[15:16]
	ds_store_b128 v18, v[13:16]
.LBB116_23:
	s_or_b32 exec_lo, exec_lo, s0
	v_dual_mov_b32 v16, v3 :: v_dual_mov_b32 v15, v2
	v_dual_mov_b32 v14, v1 :: v_dual_mov_b32 v13, v0
	s_mov_b32 s0, exec_lo
	s_waitcnt lgkmcnt(0)
	s_barrier
	buffer_gl0_inv
	v_cmpx_gt_u32_e32 21, v4
	s_cbranch_execz .LBB116_25
; %bb.24:
	v_mul_u32_u24_e32 v13, 21, v4
	s_delay_alu instid0(VALU_DEP_1)
	v_lshlrev_b32_e32 v17, 4, v13
	ds_load_b128 v[13:16], v17
	ds_load_b128 v[19:22], v17 offset:16
	s_waitcnt lgkmcnt(0)
	v_add_f64 v[13:14], v[19:20], v[13:14]
	v_add_f64 v[15:16], v[21:22], v[15:16]
.LBB116_25:
	s_or_b32 exec_lo, exec_lo, s0
	s_branch .LBB116_38
.LBB116_26:
                                        ; implicit-def: $vgpr15_vgpr16
                                        ; implicit-def: $vgpr13_vgpr14
	s_cbranch_execz .LBB116_38
; %bb.27:
	s_mov_b32 s0, exec_lo
	v_cmpx_gt_u32_e32 0x69, v4
	s_cbranch_execz .LBB116_29
; %bb.28:
	ds_load_b128 v[13:16], v18 offset:5376
	ds_load_b128 v[19:22], v18
	s_waitcnt lgkmcnt(0)
	v_add_f64 v[13:14], v[13:14], v[19:20]
	v_add_f64 v[15:16], v[15:16], v[21:22]
	ds_store_b128 v18, v[13:16]
.LBB116_29:
	s_or_b32 exec_lo, exec_lo, s0
	s_delay_alu instid0(SALU_CYCLE_1)
	s_mov_b32 s0, exec_lo
	s_waitcnt lgkmcnt(0)
	s_barrier
	buffer_gl0_inv
	v_cmpx_gt_u32_e32 0xa8, v4
	s_cbranch_execz .LBB116_31
; %bb.30:
	ds_load_b128 v[13:16], v18 offset:2688
	ds_load_b128 v[19:22], v18
	s_waitcnt lgkmcnt(0)
	v_add_f64 v[13:14], v[13:14], v[19:20]
	v_add_f64 v[15:16], v[15:16], v[21:22]
	ds_store_b128 v18, v[13:16]
.LBB116_31:
	s_or_b32 exec_lo, exec_lo, s0
	s_delay_alu instid0(SALU_CYCLE_1)
	s_mov_b32 s0, exec_lo
	s_waitcnt lgkmcnt(0)
	s_barrier
	buffer_gl0_inv
	;; [unrolled: 16-line block ×3, first 2 shown]
	v_cmpx_gt_u32_e32 42, v4
	s_cbranch_execz .LBB116_35
; %bb.34:
	ds_load_b128 v[13:16], v18 offset:672
	ds_load_b128 v[19:22], v18
	s_waitcnt lgkmcnt(0)
	v_add_f64 v[13:14], v[13:14], v[19:20]
	v_add_f64 v[15:16], v[15:16], v[21:22]
	ds_store_b128 v18, v[13:16]
.LBB116_35:
	s_or_b32 exec_lo, exec_lo, s0
	s_delay_alu instid0(SALU_CYCLE_1)
	s_mov_b32 s0, exec_lo
	s_waitcnt lgkmcnt(0)
	buffer_gl0_inv
	v_cmpx_gt_u32_e32 21, v4
	s_cbranch_execz .LBB116_37
; %bb.36:
	ds_load_b128 v[0:3], v18 offset:336
	ds_load_b128 v[13:16], v18
	s_waitcnt lgkmcnt(0)
	v_add_f64 v[0:1], v[0:1], v[13:14]
	v_add_f64 v[2:3], v[2:3], v[15:16]
.LBB116_37:
	s_or_b32 exec_lo, exec_lo, s0
	s_delay_alu instid0(VALU_DEP_1) | instskip(NEXT) | instid1(VALU_DEP_3)
	v_dual_mov_b32 v16, v3 :: v_dual_mov_b32 v15, v2
	v_dual_mov_b32 v14, v1 :: v_dual_mov_b32 v13, v0
.LBB116_38:
	v_cmp_gt_u32_e32 vcc_lo, 21, v4
	s_and_b32 exec_lo, exec_lo, vcc_lo
	s_cbranch_execz .LBB116_43
; %bb.39:
	s_delay_alu instid0(VALU_DEP_2) | instskip(SKIP_3) | instid1(VALU_DEP_4)
	v_mul_f64 v[0:1], v[15:16], -v[11:12]
	v_mul_f64 v[2:3], v[9:10], v[15:16]
	v_cmp_eq_f64_e32 vcc_lo, 0, v[5:6]
	v_cmp_eq_f64_e64 s0, 0, v[7:8]
	v_fma_f64 v[0:1], v[9:10], v[13:14], v[0:1]
	s_delay_alu instid0(VALU_DEP_4) | instskip(NEXT) | instid1(VALU_DEP_3)
	v_fma_f64 v[2:3], v[11:12], v[13:14], v[2:3]
	s_and_b32 s0, vcc_lo, s0
	s_delay_alu instid0(SALU_CYCLE_1) | instskip(NEXT) | instid1(SALU_CYCLE_1)
	s_and_saveexec_b32 s1, s0
	s_xor_b32 s0, exec_lo, s1
	s_cbranch_execz .LBB116_41
; %bb.40:
	v_mad_u64_u32 v[5:6], null, s12, 21, v[4:5]
	v_mov_b32_e32 v6, 0
                                        ; implicit-def: $vgpr7_vgpr8
	s_delay_alu instid0(VALU_DEP_1) | instskip(NEXT) | instid1(VALU_DEP_1)
	v_lshlrev_b64 v[4:5], 4, v[5:6]
	v_add_co_u32 v4, vcc_lo, s4, v4
	s_delay_alu instid0(VALU_DEP_2)
	v_add_co_ci_u32_e32 v5, vcc_lo, s5, v5, vcc_lo
	global_store_b128 v[4:5], v[0:3], off
                                        ; implicit-def: $vgpr4
                                        ; implicit-def: $vgpr5_vgpr6
                                        ; implicit-def: $vgpr0_vgpr1
.LBB116_41:
	s_and_not1_saveexec_b32 s0, s0
	s_cbranch_execz .LBB116_43
; %bb.42:
	v_mad_u64_u32 v[9:10], null, s12, 21, v[4:5]
	v_mov_b32_e32 v10, 0
	s_delay_alu instid0(VALU_DEP_1) | instskip(NEXT) | instid1(VALU_DEP_1)
	v_lshlrev_b64 v[9:10], 4, v[9:10]
	v_add_co_u32 v13, vcc_lo, s4, v9
	s_delay_alu instid0(VALU_DEP_2) | instskip(SKIP_4) | instid1(VALU_DEP_2)
	v_add_co_ci_u32_e32 v14, vcc_lo, s5, v10, vcc_lo
	global_load_b128 v[9:12], v[13:14], off
	s_waitcnt vmcnt(0)
	v_fma_f64 v[0:1], v[5:6], v[9:10], v[0:1]
	v_fma_f64 v[2:3], v[7:8], v[9:10], v[2:3]
	v_fma_f64 v[0:1], -v[7:8], v[11:12], v[0:1]
	s_delay_alu instid0(VALU_DEP_2)
	v_fma_f64 v[2:3], v[5:6], v[11:12], v[2:3]
	global_store_b128 v[13:14], v[0:3], off
.LBB116_43:
	s_nop 0
	s_sendmsg sendmsg(MSG_DEALLOC_VGPRS)
	s_endpgm
	.section	.rodata,"a",@progbits
	.p2align	6, 0x0
	.amdhsa_kernel _ZN9rocsparseL20bsrxmvn_17_32_kernelILj21E21rocsparse_complex_numIdEliS2_S2_S2_EEvT2_20rocsparse_direction_NS_24const_host_device_scalarIT0_EES3_PKS3_PKT1_SC_S9_PKT3_PKT4_S7_PT5_21rocsparse_index_base_b
		.amdhsa_group_segment_fixed_size 14112
		.amdhsa_private_segment_fixed_size 0
		.amdhsa_kernarg_size 112
		.amdhsa_user_sgpr_count 15
		.amdhsa_user_sgpr_dispatch_ptr 1
		.amdhsa_user_sgpr_queue_ptr 0
		.amdhsa_user_sgpr_kernarg_segment_ptr 1
		.amdhsa_user_sgpr_dispatch_id 0
		.amdhsa_user_sgpr_private_segment_size 0
		.amdhsa_wavefront_size32 1
		.amdhsa_uses_dynamic_stack 0
		.amdhsa_enable_private_segment 0
		.amdhsa_system_sgpr_workgroup_id_x 1
		.amdhsa_system_sgpr_workgroup_id_y 0
		.amdhsa_system_sgpr_workgroup_id_z 0
		.amdhsa_system_sgpr_workgroup_info 0
		.amdhsa_system_vgpr_workitem_id 2
		.amdhsa_next_free_vgpr 29
		.amdhsa_next_free_sgpr 20
		.amdhsa_reserve_vcc 1
		.amdhsa_float_round_mode_32 0
		.amdhsa_float_round_mode_16_64 0
		.amdhsa_float_denorm_mode_32 3
		.amdhsa_float_denorm_mode_16_64 3
		.amdhsa_dx10_clamp 1
		.amdhsa_ieee_mode 1
		.amdhsa_fp16_overflow 0
		.amdhsa_workgroup_processor_mode 1
		.amdhsa_memory_ordered 1
		.amdhsa_forward_progress 0
		.amdhsa_shared_vgpr_count 0
		.amdhsa_exception_fp_ieee_invalid_op 0
		.amdhsa_exception_fp_denorm_src 0
		.amdhsa_exception_fp_ieee_div_zero 0
		.amdhsa_exception_fp_ieee_overflow 0
		.amdhsa_exception_fp_ieee_underflow 0
		.amdhsa_exception_fp_ieee_inexact 0
		.amdhsa_exception_int_div_zero 0
	.end_amdhsa_kernel
	.section	.text._ZN9rocsparseL20bsrxmvn_17_32_kernelILj21E21rocsparse_complex_numIdEliS2_S2_S2_EEvT2_20rocsparse_direction_NS_24const_host_device_scalarIT0_EES3_PKS3_PKT1_SC_S9_PKT3_PKT4_S7_PT5_21rocsparse_index_base_b,"axG",@progbits,_ZN9rocsparseL20bsrxmvn_17_32_kernelILj21E21rocsparse_complex_numIdEliS2_S2_S2_EEvT2_20rocsparse_direction_NS_24const_host_device_scalarIT0_EES3_PKS3_PKT1_SC_S9_PKT3_PKT4_S7_PT5_21rocsparse_index_base_b,comdat
.Lfunc_end116:
	.size	_ZN9rocsparseL20bsrxmvn_17_32_kernelILj21E21rocsparse_complex_numIdEliS2_S2_S2_EEvT2_20rocsparse_direction_NS_24const_host_device_scalarIT0_EES3_PKS3_PKT1_SC_S9_PKT3_PKT4_S7_PT5_21rocsparse_index_base_b, .Lfunc_end116-_ZN9rocsparseL20bsrxmvn_17_32_kernelILj21E21rocsparse_complex_numIdEliS2_S2_S2_EEvT2_20rocsparse_direction_NS_24const_host_device_scalarIT0_EES3_PKS3_PKT1_SC_S9_PKT3_PKT4_S7_PT5_21rocsparse_index_base_b
                                        ; -- End function
	.section	.AMDGPU.csdata,"",@progbits
; Kernel info:
; codeLenInByte = 2172
; NumSgprs: 22
; NumVgprs: 29
; ScratchSize: 0
; MemoryBound: 0
; FloatMode: 240
; IeeeMode: 1
; LDSByteSize: 14112 bytes/workgroup (compile time only)
; SGPRBlocks: 2
; VGPRBlocks: 3
; NumSGPRsForWavesPerEU: 22
; NumVGPRsForWavesPerEU: 29
; Occupancy: 14
; WaveLimiterHint : 1
; COMPUTE_PGM_RSRC2:SCRATCH_EN: 0
; COMPUTE_PGM_RSRC2:USER_SGPR: 15
; COMPUTE_PGM_RSRC2:TRAP_HANDLER: 0
; COMPUTE_PGM_RSRC2:TGID_X_EN: 1
; COMPUTE_PGM_RSRC2:TGID_Y_EN: 0
; COMPUTE_PGM_RSRC2:TGID_Z_EN: 0
; COMPUTE_PGM_RSRC2:TIDIG_COMP_CNT: 2
	.section	.text._ZN9rocsparseL20bsrxmvn_17_32_kernelILj22E21rocsparse_complex_numIdEliS2_S2_S2_EEvT2_20rocsparse_direction_NS_24const_host_device_scalarIT0_EES3_PKS3_PKT1_SC_S9_PKT3_PKT4_S7_PT5_21rocsparse_index_base_b,"axG",@progbits,_ZN9rocsparseL20bsrxmvn_17_32_kernelILj22E21rocsparse_complex_numIdEliS2_S2_S2_EEvT2_20rocsparse_direction_NS_24const_host_device_scalarIT0_EES3_PKS3_PKT1_SC_S9_PKT3_PKT4_S7_PT5_21rocsparse_index_base_b,comdat
	.globl	_ZN9rocsparseL20bsrxmvn_17_32_kernelILj22E21rocsparse_complex_numIdEliS2_S2_S2_EEvT2_20rocsparse_direction_NS_24const_host_device_scalarIT0_EES3_PKS3_PKT1_SC_S9_PKT3_PKT4_S7_PT5_21rocsparse_index_base_b ; -- Begin function _ZN9rocsparseL20bsrxmvn_17_32_kernelILj22E21rocsparse_complex_numIdEliS2_S2_S2_EEvT2_20rocsparse_direction_NS_24const_host_device_scalarIT0_EES3_PKS3_PKT1_SC_S9_PKT3_PKT4_S7_PT5_21rocsparse_index_base_b
	.p2align	8
	.type	_ZN9rocsparseL20bsrxmvn_17_32_kernelILj22E21rocsparse_complex_numIdEliS2_S2_S2_EEvT2_20rocsparse_direction_NS_24const_host_device_scalarIT0_EES3_PKS3_PKT1_SC_S9_PKT3_PKT4_S7_PT5_21rocsparse_index_base_b,@function
_ZN9rocsparseL20bsrxmvn_17_32_kernelILj22E21rocsparse_complex_numIdEliS2_S2_S2_EEvT2_20rocsparse_direction_NS_24const_host_device_scalarIT0_EES3_PKS3_PKT1_SC_S9_PKT3_PKT4_S7_PT5_21rocsparse_index_base_b: ; @_ZN9rocsparseL20bsrxmvn_17_32_kernelILj22E21rocsparse_complex_numIdEliS2_S2_S2_EEvT2_20rocsparse_direction_NS_24const_host_device_scalarIT0_EES3_PKS3_PKT1_SC_S9_PKT3_PKT4_S7_PT5_21rocsparse_index_base_b
; %bb.0:
	s_mov_b32 s12, s15
	s_clause 0x1
	s_load_b64 s[14:15], s[2:3], 0x68
	s_load_b128 s[4:7], s[2:3], 0x8
	s_load_b64 s[16:17], s[0:1], 0x4
	s_mov_b64 s[0:1], src_shared_base
	v_and_b32_e32 v4, 0x3ff, v0
	s_load_b128 s[8:11], s[2:3], 0x50
	v_bfe_u32 v2, v0, 10, 10
	v_bfe_u32 v0, v0, 20, 10
	s_waitcnt lgkmcnt(0)
	s_bitcmp1_b32 s15, 0
	v_mov_b32_e32 v12, s7
	s_cselect_b32 s0, -1, 0
	v_mov_b32_e32 v11, s6
	s_and_b32 vcc_lo, s0, exec_lo
	s_cselect_b32 s13, s1, s5
	s_lshr_b32 s15, s16, 16
	v_mov_b32_e32 v6, s13
	s_mul_i32 s15, s15, s17
	s_xor_b32 s6, s0, -1
	v_mul_lo_u32 v1, s15, v4
	s_delay_alu instid0(VALU_DEP_1) | instskip(SKIP_1) | instid1(VALU_DEP_2)
	v_mad_u32_u24 v1, v2, s17, v1
	v_dual_mov_b32 v2, s8 :: v_dual_mov_b32 v3, s9
	v_add_lshl_u32 v7, v1, v0, 3
	v_dual_mov_b32 v0, s4 :: v_dual_mov_b32 v1, s5
	ds_store_b64 v7, v[0:1] offset:11616
	ds_store_b64 v7, v[2:3] offset:7744
	v_add_nc_u32_e32 v5, 0x2d60, v7
	v_add_nc_u32_e32 v0, 0x1e40, v7
	s_delay_alu instid0(VALU_DEP_2)
	v_cndmask_b32_e64 v5, s4, v5, s0
	flat_load_b64 v[9:10], v[5:6]
	s_cbranch_vccnz .LBB117_2
; %bb.1:
	v_dual_mov_b32 v1, s4 :: v_dual_mov_b32 v2, s5
	flat_load_b64 v[11:12], v[1:2] offset:8
.LBB117_2:
	s_and_b32 s4, s0, exec_lo
	s_cselect_b32 s1, s1, s9
	v_cndmask_b32_e64 v0, s8, v0, s0
	v_mov_b32_e32 v1, s1
	v_dual_mov_b32 v7, s10 :: v_dual_mov_b32 v8, s11
	s_and_not1_b32 vcc_lo, exec_lo, s6
	flat_load_b64 v[5:6], v[0:1]
	s_cbranch_vccnz .LBB117_4
; %bb.3:
	v_dual_mov_b32 v0, s8 :: v_dual_mov_b32 v1, s9
	flat_load_b64 v[7:8], v[0:1] offset:8
.LBB117_4:
	s_waitcnt vmcnt(1) lgkmcnt(1)
	v_cmp_eq_f64_e32 vcc_lo, 0, v[9:10]
	v_cmp_eq_f64_e64 s0, 0, v[11:12]
	s_delay_alu instid0(VALU_DEP_1)
	s_and_b32 s4, vcc_lo, s0
	s_mov_b32 s0, -1
	s_and_saveexec_b32 s1, s4
	s_cbranch_execz .LBB117_6
; %bb.5:
	s_waitcnt vmcnt(0) lgkmcnt(0)
	v_cmp_neq_f64_e32 vcc_lo, 1.0, v[5:6]
	v_cmp_neq_f64_e64 s0, 0, v[7:8]
	s_delay_alu instid0(VALU_DEP_1) | instskip(NEXT) | instid1(SALU_CYCLE_1)
	s_or_b32 s0, vcc_lo, s0
	s_or_not1_b32 s0, s0, exec_lo
.LBB117_6:
	s_or_b32 exec_lo, exec_lo, s1
	s_and_saveexec_b32 s1, s0
	s_cbranch_execz .LBB117_43
; %bb.7:
	s_clause 0x1
	s_load_b128 s[4:7], s[2:3], 0x20
	s_load_b64 s[8:9], s[2:3], 0x30
	s_waitcnt lgkmcnt(0)
	s_cmp_eq_u64 s[4:5], 0
	s_cbranch_scc1 .LBB117_9
; %bb.8:
	s_ashr_i32 s13, s12, 31
	s_delay_alu instid0(SALU_CYCLE_1) | instskip(NEXT) | instid1(SALU_CYCLE_1)
	s_lshl_b64 s[0:1], s[12:13], 2
	s_add_u32 s0, s4, s0
	s_addc_u32 s1, s5, s1
	s_load_b32 s0, s[0:1], 0x0
	s_waitcnt lgkmcnt(0)
	s_sub_i32 s12, s0, s14
.LBB117_9:
	s_load_b32 s1, s[2:3], 0x4
	v_mul_u32_u24_e32 v0, 0xba3, v4
	v_mov_b32_e32 v2, 0
	v_dual_mov_b32 v3, 0 :: v_dual_lshlrev_b32 v18, 4, v4
	s_delay_alu instid0(VALU_DEP_3) | instskip(NEXT) | instid1(VALU_DEP_1)
	v_lshrrev_b32_e32 v13, 16, v0
	v_mul_lo_u16 v0, v13, 22
	s_delay_alu instid0(VALU_DEP_1) | instskip(NEXT) | instid1(VALU_DEP_4)
	v_sub_nc_u16 v19, v4, v0
	v_dual_mov_b32 v0, v2 :: v_dual_mov_b32 v1, v3
	s_waitcnt lgkmcnt(0)
	s_cmp_eq_u32 s1, 1
	s_cselect_b32 s0, -1, 0
	s_cmp_lg_u32 s1, 1
	s_cselect_b32 s1, -1, 0
	s_ashr_i32 s13, s12, 31
	s_delay_alu instid0(SALU_CYCLE_1) | instskip(NEXT) | instid1(SALU_CYCLE_1)
	s_lshl_b64 s[4:5], s[12:13], 3
	s_add_u32 s6, s6, s4
	s_addc_u32 s7, s7, s5
	s_add_u32 s10, s6, 8
	s_addc_u32 s11, s7, 0
	;; [unrolled: 2-line block ×3, first 2 shown]
	s_cmp_eq_u64 s[8:9], 0
	s_cselect_b32 s5, s11, s5
	s_cselect_b32 s4, s10, s4
	s_load_b64 s[10:11], s[6:7], 0x0
	s_load_b64 s[8:9], s[4:5], 0x0
	s_load_b64 s[4:5], s[2:3], 0x60
	s_waitcnt lgkmcnt(0)
	v_cmp_ge_i64_e64 s6, s[10:11], s[8:9]
	s_delay_alu instid0(VALU_DEP_1)
	s_and_b32 vcc_lo, exec_lo, s6
	s_cbranch_vccnz .LBB117_14
; %bb.10:
	v_mul_lo_u16 v0, v13, 12
	v_and_b32_e32 v1, 0xffff, v4
	s_clause 0x1
	s_load_b64 s[6:7], s[2:3], 0x48
	s_load_b128 s[16:19], s[2:3], 0x38
	s_sub_u32 s2, s8, s14
	s_subb_u32 s3, s9, 0
	v_lshrrev_b16 v0, 8, v0
	v_mul_u32_u24_e32 v1, 0x10f, v1
	s_sub_u32 s8, s10, s14
	v_and_b32_e32 v2, 0xffff, v19
	s_subb_u32 s9, s11, 0
	v_mul_lo_u16 v0, v0, 22
	v_lshrrev_b32_e32 v20, 17, v1
	s_mul_hi_u32 s13, s8, 0x1e40
	s_mul_i32 s15, s9, 0x1e40
	s_delay_alu instid0(SALU_CYCLE_1) | instskip(SKIP_2) | instid1(VALU_DEP_1)
	s_add_i32 s13, s13, s15
	v_sub_nc_u16 v0, v13, v0
	v_add_co_u32 v1, s10, s10, v20
	v_add_co_ci_u32_e64 v3, null, s11, 0, s10
	s_delay_alu instid0(VALU_DEP_3) | instskip(NEXT) | instid1(VALU_DEP_3)
	v_and_b32_e32 v13, 0xff, v0
	v_sub_co_u32 v0, vcc_lo, v1, s14
	s_delay_alu instid0(VALU_DEP_3) | instskip(NEXT) | instid1(VALU_DEP_3)
	v_subrev_co_ci_u32_e32 v1, vcc_lo, 0, v3, vcc_lo
	v_cndmask_b32_e64 v13, v2, v13, s0
	s_mul_i32 s0, s8, 0x1e40
	v_mov_b32_e32 v2, 0
	s_delay_alu instid0(VALU_DEP_3)
	v_lshlrev_b64 v[0:1], 2, v[0:1]
	v_mov_b32_e32 v3, 0
	s_waitcnt lgkmcnt(0)
	s_add_u32 s0, s18, s0
	s_addc_u32 s10, s19, s13
	v_add_co_u32 v14, s0, s0, v18
	v_add_co_u32 v16, vcc_lo, s16, v0
	v_add_co_ci_u32_e32 v17, vcc_lo, s17, v1, vcc_lo
	v_mov_b32_e32 v0, v2
	v_add_co_ci_u32_e64 v15, null, s10, 0, s0
	v_mov_b32_e32 v1, v3
	s_set_inst_prefetch_distance 0x1
	s_branch .LBB117_12
	.p2align	6
.LBB117_11:                             ;   in Loop: Header=BB117_12 Depth=1
	s_or_b32 exec_lo, exec_lo, s0
	s_add_u32 s8, s8, 1
	s_addc_u32 s9, s9, 0
	v_add_co_u32 v16, vcc_lo, v16, 4
	v_cmp_lt_i64_e64 s0, s[8:9], s[2:3]
	v_add_co_ci_u32_e32 v17, vcc_lo, 0, v17, vcc_lo
	s_delay_alu instid0(VALU_DEP_2)
	s_and_b32 vcc_lo, exec_lo, s0
	s_cbranch_vccz .LBB117_14
.LBB117_12:                             ; =>This Inner Loop Header: Depth=1
	v_add_co_u32 v21, s0, v20, s8
	s_delay_alu instid0(VALU_DEP_1) | instskip(SKIP_1) | instid1(VALU_DEP_1)
	v_add_co_ci_u32_e64 v22, null, 0, s9, s0
	s_mov_b32 s0, exec_lo
	v_cmpx_gt_i64_e64 s[2:3], v[21:22]
	s_cbranch_execz .LBB117_11
; %bb.13:                               ;   in Loop: Header=BB117_12 Depth=1
	global_load_b32 v21, v[16:17], off
	s_waitcnt vmcnt(0)
	v_subrev_nc_u32_e32 v23, s14, v21
	s_delay_alu instid0(VALU_DEP_1) | instskip(NEXT) | instid1(VALU_DEP_1)
	v_mad_u64_u32 v[21:22], null, v23, 22, v[13:14]
	v_ashrrev_i32_e32 v22, 31, v21
	s_delay_alu instid0(VALU_DEP_1) | instskip(NEXT) | instid1(VALU_DEP_1)
	v_lshlrev_b64 v[21:22], 4, v[21:22]
	v_add_co_u32 v25, vcc_lo, s6, v21
	s_delay_alu instid0(VALU_DEP_2)
	v_add_co_ci_u32_e32 v26, vcc_lo, s7, v22, vcc_lo
	global_load_b128 v[21:24], v[14:15], off
	global_load_b128 v[25:28], v[25:26], off
	v_add_co_u32 v14, vcc_lo, 0x1e40, v14
	v_add_co_ci_u32_e32 v15, vcc_lo, 0, v15, vcc_lo
	s_waitcnt vmcnt(0)
	v_fma_f64 v[0:1], v[21:22], v[25:26], v[0:1]
	v_fma_f64 v[2:3], v[23:24], v[25:26], v[2:3]
	s_delay_alu instid0(VALU_DEP_2) | instskip(NEXT) | instid1(VALU_DEP_2)
	v_fma_f64 v[0:1], -v[23:24], v[27:28], v[0:1]
	v_fma_f64 v[2:3], v[21:22], v[27:28], v[2:3]
	s_branch .LBB117_11
.LBB117_14:
	s_set_inst_prefetch_distance 0x2
	s_and_b32 vcc_lo, exec_lo, s1
	ds_store_b128 v18, v[0:3]
	s_waitcnt vmcnt(0) lgkmcnt(0)
	s_barrier
	buffer_gl0_inv
	s_cbranch_vccz .LBB117_26
; %bb.15:
	s_mov_b32 s0, exec_lo
	v_cmpx_gt_u16_e32 6, v19
	s_cbranch_execz .LBB117_17
; %bb.16:
	ds_load_b128 v[13:16], v18 offset:256
	ds_load_b128 v[20:23], v18
	s_waitcnt lgkmcnt(0)
	v_add_f64 v[13:14], v[13:14], v[20:21]
	v_add_f64 v[15:16], v[15:16], v[22:23]
	ds_store_b128 v18, v[13:16]
.LBB117_17:
	s_or_b32 exec_lo, exec_lo, s0
	s_delay_alu instid0(SALU_CYCLE_1)
	s_mov_b32 s0, exec_lo
	s_waitcnt lgkmcnt(0)
	s_barrier
	buffer_gl0_inv
	v_cmpx_gt_u16_e32 8, v19
	s_cbranch_execz .LBB117_19
; %bb.18:
	ds_load_b128 v[13:16], v18 offset:128
	ds_load_b128 v[20:23], v18
	s_waitcnt lgkmcnt(0)
	v_add_f64 v[13:14], v[13:14], v[20:21]
	v_add_f64 v[15:16], v[15:16], v[22:23]
	ds_store_b128 v18, v[13:16]
.LBB117_19:
	s_or_b32 exec_lo, exec_lo, s0
	s_delay_alu instid0(SALU_CYCLE_1)
	s_mov_b32 s0, exec_lo
	s_waitcnt lgkmcnt(0)
	s_barrier
	buffer_gl0_inv
	;; [unrolled: 16-line block ×3, first 2 shown]
	v_cmpx_gt_u16_e32 2, v19
	s_cbranch_execz .LBB117_23
; %bb.22:
	ds_load_b128 v[13:16], v18
	ds_load_b128 v[19:22], v18 offset:32
	s_waitcnt lgkmcnt(0)
	v_add_f64 v[13:14], v[19:20], v[13:14]
	v_add_f64 v[15:16], v[21:22], v[15:16]
	ds_store_b128 v18, v[13:16]
.LBB117_23:
	s_or_b32 exec_lo, exec_lo, s0
	v_dual_mov_b32 v16, v3 :: v_dual_mov_b32 v15, v2
	v_dual_mov_b32 v14, v1 :: v_dual_mov_b32 v13, v0
	s_mov_b32 s0, exec_lo
	s_waitcnt lgkmcnt(0)
	s_barrier
	buffer_gl0_inv
	v_cmpx_gt_u32_e32 22, v4
	s_cbranch_execz .LBB117_25
; %bb.24:
	v_mul_u32_u24_e32 v13, 22, v4
	s_delay_alu instid0(VALU_DEP_1)
	v_lshlrev_b32_e32 v17, 4, v13
	ds_load_b128 v[13:16], v17
	ds_load_b128 v[19:22], v17 offset:16
	s_waitcnt lgkmcnt(0)
	v_add_f64 v[13:14], v[19:20], v[13:14]
	v_add_f64 v[15:16], v[21:22], v[15:16]
.LBB117_25:
	s_or_b32 exec_lo, exec_lo, s0
	s_branch .LBB117_38
.LBB117_26:
                                        ; implicit-def: $vgpr15_vgpr16
                                        ; implicit-def: $vgpr13_vgpr14
	s_cbranch_execz .LBB117_38
; %bb.27:
	s_mov_b32 s0, exec_lo
	v_cmpx_gt_u32_e32 0x84, v4
	s_cbranch_execz .LBB117_29
; %bb.28:
	ds_load_b128 v[13:16], v18 offset:5632
	ds_load_b128 v[19:22], v18
	s_waitcnt lgkmcnt(0)
	v_add_f64 v[13:14], v[13:14], v[19:20]
	v_add_f64 v[15:16], v[15:16], v[21:22]
	ds_store_b128 v18, v[13:16]
.LBB117_29:
	s_or_b32 exec_lo, exec_lo, s0
	s_delay_alu instid0(SALU_CYCLE_1)
	s_mov_b32 s0, exec_lo
	s_waitcnt lgkmcnt(0)
	s_barrier
	buffer_gl0_inv
	v_cmpx_gt_u32_e32 0xb0, v4
	s_cbranch_execz .LBB117_31
; %bb.30:
	ds_load_b128 v[13:16], v18 offset:2816
	ds_load_b128 v[19:22], v18
	s_waitcnt lgkmcnt(0)
	v_add_f64 v[13:14], v[13:14], v[19:20]
	v_add_f64 v[15:16], v[15:16], v[21:22]
	ds_store_b128 v18, v[13:16]
.LBB117_31:
	s_or_b32 exec_lo, exec_lo, s0
	s_delay_alu instid0(SALU_CYCLE_1)
	s_mov_b32 s0, exec_lo
	s_waitcnt lgkmcnt(0)
	s_barrier
	buffer_gl0_inv
	;; [unrolled: 16-line block ×3, first 2 shown]
	v_cmpx_gt_u32_e32 44, v4
	s_cbranch_execz .LBB117_35
; %bb.34:
	ds_load_b128 v[13:16], v18 offset:704
	ds_load_b128 v[19:22], v18
	s_waitcnt lgkmcnt(0)
	v_add_f64 v[13:14], v[13:14], v[19:20]
	v_add_f64 v[15:16], v[15:16], v[21:22]
	ds_store_b128 v18, v[13:16]
.LBB117_35:
	s_or_b32 exec_lo, exec_lo, s0
	s_delay_alu instid0(SALU_CYCLE_1)
	s_mov_b32 s0, exec_lo
	s_waitcnt lgkmcnt(0)
	buffer_gl0_inv
	v_cmpx_gt_u32_e32 22, v4
	s_cbranch_execz .LBB117_37
; %bb.36:
	ds_load_b128 v[0:3], v18 offset:352
	ds_load_b128 v[13:16], v18
	s_waitcnt lgkmcnt(0)
	v_add_f64 v[0:1], v[0:1], v[13:14]
	v_add_f64 v[2:3], v[2:3], v[15:16]
.LBB117_37:
	s_or_b32 exec_lo, exec_lo, s0
	s_delay_alu instid0(VALU_DEP_1) | instskip(NEXT) | instid1(VALU_DEP_3)
	v_dual_mov_b32 v16, v3 :: v_dual_mov_b32 v15, v2
	v_dual_mov_b32 v14, v1 :: v_dual_mov_b32 v13, v0
.LBB117_38:
	v_cmp_gt_u32_e32 vcc_lo, 22, v4
	s_and_b32 exec_lo, exec_lo, vcc_lo
	s_cbranch_execz .LBB117_43
; %bb.39:
	s_delay_alu instid0(VALU_DEP_2) | instskip(SKIP_3) | instid1(VALU_DEP_4)
	v_mul_f64 v[0:1], v[15:16], -v[11:12]
	v_mul_f64 v[2:3], v[9:10], v[15:16]
	v_cmp_eq_f64_e32 vcc_lo, 0, v[5:6]
	v_cmp_eq_f64_e64 s0, 0, v[7:8]
	v_fma_f64 v[0:1], v[9:10], v[13:14], v[0:1]
	s_delay_alu instid0(VALU_DEP_4) | instskip(NEXT) | instid1(VALU_DEP_3)
	v_fma_f64 v[2:3], v[11:12], v[13:14], v[2:3]
	s_and_b32 s0, vcc_lo, s0
	s_delay_alu instid0(SALU_CYCLE_1) | instskip(NEXT) | instid1(SALU_CYCLE_1)
	s_and_saveexec_b32 s1, s0
	s_xor_b32 s0, exec_lo, s1
	s_cbranch_execz .LBB117_41
; %bb.40:
	v_mad_u64_u32 v[5:6], null, s12, 22, v[4:5]
	v_mov_b32_e32 v6, 0
                                        ; implicit-def: $vgpr7_vgpr8
	s_delay_alu instid0(VALU_DEP_1) | instskip(NEXT) | instid1(VALU_DEP_1)
	v_lshlrev_b64 v[4:5], 4, v[5:6]
	v_add_co_u32 v4, vcc_lo, s4, v4
	s_delay_alu instid0(VALU_DEP_2)
	v_add_co_ci_u32_e32 v5, vcc_lo, s5, v5, vcc_lo
	global_store_b128 v[4:5], v[0:3], off
                                        ; implicit-def: $vgpr4
                                        ; implicit-def: $vgpr5_vgpr6
                                        ; implicit-def: $vgpr0_vgpr1
.LBB117_41:
	s_and_not1_saveexec_b32 s0, s0
	s_cbranch_execz .LBB117_43
; %bb.42:
	v_mad_u64_u32 v[9:10], null, s12, 22, v[4:5]
	v_mov_b32_e32 v10, 0
	s_delay_alu instid0(VALU_DEP_1) | instskip(NEXT) | instid1(VALU_DEP_1)
	v_lshlrev_b64 v[9:10], 4, v[9:10]
	v_add_co_u32 v13, vcc_lo, s4, v9
	s_delay_alu instid0(VALU_DEP_2) | instskip(SKIP_4) | instid1(VALU_DEP_2)
	v_add_co_ci_u32_e32 v14, vcc_lo, s5, v10, vcc_lo
	global_load_b128 v[9:12], v[13:14], off
	s_waitcnt vmcnt(0)
	v_fma_f64 v[0:1], v[5:6], v[9:10], v[0:1]
	v_fma_f64 v[2:3], v[7:8], v[9:10], v[2:3]
	v_fma_f64 v[0:1], -v[7:8], v[11:12], v[0:1]
	s_delay_alu instid0(VALU_DEP_2)
	v_fma_f64 v[2:3], v[5:6], v[11:12], v[2:3]
	global_store_b128 v[13:14], v[0:3], off
.LBB117_43:
	s_nop 0
	s_sendmsg sendmsg(MSG_DEALLOC_VGPRS)
	s_endpgm
	.section	.rodata,"a",@progbits
	.p2align	6, 0x0
	.amdhsa_kernel _ZN9rocsparseL20bsrxmvn_17_32_kernelILj22E21rocsparse_complex_numIdEliS2_S2_S2_EEvT2_20rocsparse_direction_NS_24const_host_device_scalarIT0_EES3_PKS3_PKT1_SC_S9_PKT3_PKT4_S7_PT5_21rocsparse_index_base_b
		.amdhsa_group_segment_fixed_size 15488
		.amdhsa_private_segment_fixed_size 0
		.amdhsa_kernarg_size 112
		.amdhsa_user_sgpr_count 15
		.amdhsa_user_sgpr_dispatch_ptr 1
		.amdhsa_user_sgpr_queue_ptr 0
		.amdhsa_user_sgpr_kernarg_segment_ptr 1
		.amdhsa_user_sgpr_dispatch_id 0
		.amdhsa_user_sgpr_private_segment_size 0
		.amdhsa_wavefront_size32 1
		.amdhsa_uses_dynamic_stack 0
		.amdhsa_enable_private_segment 0
		.amdhsa_system_sgpr_workgroup_id_x 1
		.amdhsa_system_sgpr_workgroup_id_y 0
		.amdhsa_system_sgpr_workgroup_id_z 0
		.amdhsa_system_sgpr_workgroup_info 0
		.amdhsa_system_vgpr_workitem_id 2
		.amdhsa_next_free_vgpr 29
		.amdhsa_next_free_sgpr 20
		.amdhsa_reserve_vcc 1
		.amdhsa_float_round_mode_32 0
		.amdhsa_float_round_mode_16_64 0
		.amdhsa_float_denorm_mode_32 3
		.amdhsa_float_denorm_mode_16_64 3
		.amdhsa_dx10_clamp 1
		.amdhsa_ieee_mode 1
		.amdhsa_fp16_overflow 0
		.amdhsa_workgroup_processor_mode 1
		.amdhsa_memory_ordered 1
		.amdhsa_forward_progress 0
		.amdhsa_shared_vgpr_count 0
		.amdhsa_exception_fp_ieee_invalid_op 0
		.amdhsa_exception_fp_denorm_src 0
		.amdhsa_exception_fp_ieee_div_zero 0
		.amdhsa_exception_fp_ieee_overflow 0
		.amdhsa_exception_fp_ieee_underflow 0
		.amdhsa_exception_fp_ieee_inexact 0
		.amdhsa_exception_int_div_zero 0
	.end_amdhsa_kernel
	.section	.text._ZN9rocsparseL20bsrxmvn_17_32_kernelILj22E21rocsparse_complex_numIdEliS2_S2_S2_EEvT2_20rocsparse_direction_NS_24const_host_device_scalarIT0_EES3_PKS3_PKT1_SC_S9_PKT3_PKT4_S7_PT5_21rocsparse_index_base_b,"axG",@progbits,_ZN9rocsparseL20bsrxmvn_17_32_kernelILj22E21rocsparse_complex_numIdEliS2_S2_S2_EEvT2_20rocsparse_direction_NS_24const_host_device_scalarIT0_EES3_PKS3_PKT1_SC_S9_PKT3_PKT4_S7_PT5_21rocsparse_index_base_b,comdat
.Lfunc_end117:
	.size	_ZN9rocsparseL20bsrxmvn_17_32_kernelILj22E21rocsparse_complex_numIdEliS2_S2_S2_EEvT2_20rocsparse_direction_NS_24const_host_device_scalarIT0_EES3_PKS3_PKT1_SC_S9_PKT3_PKT4_S7_PT5_21rocsparse_index_base_b, .Lfunc_end117-_ZN9rocsparseL20bsrxmvn_17_32_kernelILj22E21rocsparse_complex_numIdEliS2_S2_S2_EEvT2_20rocsparse_direction_NS_24const_host_device_scalarIT0_EES3_PKS3_PKT1_SC_S9_PKT3_PKT4_S7_PT5_21rocsparse_index_base_b
                                        ; -- End function
	.section	.AMDGPU.csdata,"",@progbits
; Kernel info:
; codeLenInByte = 2172
; NumSgprs: 22
; NumVgprs: 29
; ScratchSize: 0
; MemoryBound: 0
; FloatMode: 240
; IeeeMode: 1
; LDSByteSize: 15488 bytes/workgroup (compile time only)
; SGPRBlocks: 2
; VGPRBlocks: 3
; NumSGPRsForWavesPerEU: 22
; NumVGPRsForWavesPerEU: 29
; Occupancy: 16
; WaveLimiterHint : 1
; COMPUTE_PGM_RSRC2:SCRATCH_EN: 0
; COMPUTE_PGM_RSRC2:USER_SGPR: 15
; COMPUTE_PGM_RSRC2:TRAP_HANDLER: 0
; COMPUTE_PGM_RSRC2:TGID_X_EN: 1
; COMPUTE_PGM_RSRC2:TGID_Y_EN: 0
; COMPUTE_PGM_RSRC2:TGID_Z_EN: 0
; COMPUTE_PGM_RSRC2:TIDIG_COMP_CNT: 2
	.section	.text._ZN9rocsparseL20bsrxmvn_17_32_kernelILj23E21rocsparse_complex_numIdEliS2_S2_S2_EEvT2_20rocsparse_direction_NS_24const_host_device_scalarIT0_EES3_PKS3_PKT1_SC_S9_PKT3_PKT4_S7_PT5_21rocsparse_index_base_b,"axG",@progbits,_ZN9rocsparseL20bsrxmvn_17_32_kernelILj23E21rocsparse_complex_numIdEliS2_S2_S2_EEvT2_20rocsparse_direction_NS_24const_host_device_scalarIT0_EES3_PKS3_PKT1_SC_S9_PKT3_PKT4_S7_PT5_21rocsparse_index_base_b,comdat
	.globl	_ZN9rocsparseL20bsrxmvn_17_32_kernelILj23E21rocsparse_complex_numIdEliS2_S2_S2_EEvT2_20rocsparse_direction_NS_24const_host_device_scalarIT0_EES3_PKS3_PKT1_SC_S9_PKT3_PKT4_S7_PT5_21rocsparse_index_base_b ; -- Begin function _ZN9rocsparseL20bsrxmvn_17_32_kernelILj23E21rocsparse_complex_numIdEliS2_S2_S2_EEvT2_20rocsparse_direction_NS_24const_host_device_scalarIT0_EES3_PKS3_PKT1_SC_S9_PKT3_PKT4_S7_PT5_21rocsparse_index_base_b
	.p2align	8
	.type	_ZN9rocsparseL20bsrxmvn_17_32_kernelILj23E21rocsparse_complex_numIdEliS2_S2_S2_EEvT2_20rocsparse_direction_NS_24const_host_device_scalarIT0_EES3_PKS3_PKT1_SC_S9_PKT3_PKT4_S7_PT5_21rocsparse_index_base_b,@function
_ZN9rocsparseL20bsrxmvn_17_32_kernelILj23E21rocsparse_complex_numIdEliS2_S2_S2_EEvT2_20rocsparse_direction_NS_24const_host_device_scalarIT0_EES3_PKS3_PKT1_SC_S9_PKT3_PKT4_S7_PT5_21rocsparse_index_base_b: ; @_ZN9rocsparseL20bsrxmvn_17_32_kernelILj23E21rocsparse_complex_numIdEliS2_S2_S2_EEvT2_20rocsparse_direction_NS_24const_host_device_scalarIT0_EES3_PKS3_PKT1_SC_S9_PKT3_PKT4_S7_PT5_21rocsparse_index_base_b
; %bb.0:
	s_mov_b32 s12, s15
	s_clause 0x1
	s_load_b64 s[14:15], s[2:3], 0x68
	s_load_b128 s[4:7], s[2:3], 0x8
	s_load_b64 s[16:17], s[0:1], 0x4
	s_mov_b64 s[0:1], src_shared_base
	v_and_b32_e32 v4, 0x3ff, v0
	s_load_b128 s[8:11], s[2:3], 0x50
	v_bfe_u32 v2, v0, 10, 10
	v_bfe_u32 v0, v0, 20, 10
	s_waitcnt lgkmcnt(0)
	s_bitcmp1_b32 s15, 0
	v_mov_b32_e32 v12, s7
	s_cselect_b32 s0, -1, 0
	v_mov_b32_e32 v11, s6
	s_and_b32 vcc_lo, s0, exec_lo
	s_cselect_b32 s13, s1, s5
	s_lshr_b32 s15, s16, 16
	v_mov_b32_e32 v6, s13
	s_mul_i32 s15, s15, s17
	s_xor_b32 s6, s0, -1
	v_mul_lo_u32 v1, s15, v4
	s_delay_alu instid0(VALU_DEP_1) | instskip(SKIP_1) | instid1(VALU_DEP_2)
	v_mad_u32_u24 v1, v2, s17, v1
	v_dual_mov_b32 v2, s8 :: v_dual_mov_b32 v3, s9
	v_add_lshl_u32 v7, v1, v0, 3
	v_dual_mov_b32 v0, s4 :: v_dual_mov_b32 v1, s5
	ds_store_b64 v7, v[0:1] offset:12696
	ds_store_b64 v7, v[2:3] offset:8464
	v_add_nc_u32_e32 v5, 0x3198, v7
	v_add_nc_u32_e32 v0, 0x2110, v7
	s_delay_alu instid0(VALU_DEP_2)
	v_cndmask_b32_e64 v5, s4, v5, s0
	flat_load_b64 v[9:10], v[5:6]
	s_cbranch_vccnz .LBB118_2
; %bb.1:
	v_dual_mov_b32 v1, s4 :: v_dual_mov_b32 v2, s5
	flat_load_b64 v[11:12], v[1:2] offset:8
.LBB118_2:
	s_and_b32 s4, s0, exec_lo
	s_cselect_b32 s1, s1, s9
	v_cndmask_b32_e64 v0, s8, v0, s0
	v_mov_b32_e32 v1, s1
	v_dual_mov_b32 v7, s10 :: v_dual_mov_b32 v8, s11
	s_and_not1_b32 vcc_lo, exec_lo, s6
	flat_load_b64 v[5:6], v[0:1]
	s_cbranch_vccnz .LBB118_4
; %bb.3:
	v_dual_mov_b32 v0, s8 :: v_dual_mov_b32 v1, s9
	flat_load_b64 v[7:8], v[0:1] offset:8
.LBB118_4:
	s_waitcnt vmcnt(1) lgkmcnt(1)
	v_cmp_eq_f64_e32 vcc_lo, 0, v[9:10]
	v_cmp_eq_f64_e64 s0, 0, v[11:12]
	s_delay_alu instid0(VALU_DEP_1)
	s_and_b32 s4, vcc_lo, s0
	s_mov_b32 s0, -1
	s_and_saveexec_b32 s1, s4
	s_cbranch_execz .LBB118_6
; %bb.5:
	s_waitcnt vmcnt(0) lgkmcnt(0)
	v_cmp_neq_f64_e32 vcc_lo, 1.0, v[5:6]
	v_cmp_neq_f64_e64 s0, 0, v[7:8]
	s_delay_alu instid0(VALU_DEP_1) | instskip(NEXT) | instid1(SALU_CYCLE_1)
	s_or_b32 s0, vcc_lo, s0
	s_or_not1_b32 s0, s0, exec_lo
.LBB118_6:
	s_or_b32 exec_lo, exec_lo, s1
	s_and_saveexec_b32 s1, s0
	s_cbranch_execz .LBB118_43
; %bb.7:
	s_clause 0x1
	s_load_b128 s[4:7], s[2:3], 0x20
	s_load_b64 s[8:9], s[2:3], 0x30
	s_waitcnt lgkmcnt(0)
	s_cmp_eq_u64 s[4:5], 0
	s_cbranch_scc1 .LBB118_9
; %bb.8:
	s_ashr_i32 s13, s12, 31
	s_delay_alu instid0(SALU_CYCLE_1) | instskip(NEXT) | instid1(SALU_CYCLE_1)
	s_lshl_b64 s[0:1], s[12:13], 2
	s_add_u32 s0, s4, s0
	s_addc_u32 s1, s5, s1
	s_load_b32 s0, s[0:1], 0x0
	s_waitcnt lgkmcnt(0)
	s_sub_i32 s12, s0, s14
.LBB118_9:
	s_load_b32 s1, s[2:3], 0x4
	v_mul_u32_u24_e32 v0, 0xb22, v4
	v_dual_mov_b32 v2, 0 :: v_dual_lshlrev_b32 v17, 4, v4
	v_mov_b32_e32 v3, 0
	s_delay_alu instid0(VALU_DEP_3) | instskip(NEXT) | instid1(VALU_DEP_1)
	v_lshrrev_b32_e32 v13, 16, v0
	v_mul_lo_u16 v0, v13, 23
	s_delay_alu instid0(VALU_DEP_1) | instskip(NEXT) | instid1(VALU_DEP_4)
	v_sub_nc_u16 v16, v4, v0
	v_dual_mov_b32 v0, v2 :: v_dual_mov_b32 v1, v3
	s_waitcnt lgkmcnt(0)
	s_cmp_eq_u32 s1, 1
	s_cselect_b32 s0, -1, 0
	s_cmp_lg_u32 s1, 1
	s_cselect_b32 s20, -1, 0
	s_ashr_i32 s13, s12, 31
	s_delay_alu instid0(SALU_CYCLE_1) | instskip(NEXT) | instid1(SALU_CYCLE_1)
	s_lshl_b64 s[4:5], s[12:13], 3
	s_add_u32 s6, s6, s4
	s_addc_u32 s7, s7, s5
	s_add_u32 s1, s6, 8
	s_addc_u32 s10, s7, 0
	;; [unrolled: 2-line block ×3, first 2 shown]
	s_cmp_eq_u64 s[8:9], 0
	s_load_b64 s[8:9], s[2:3], 0x60
	s_cselect_b32 s5, s10, s5
	s_cselect_b32 s4, s1, s4
	s_load_b64 s[18:19], s[6:7], 0x0
	s_load_b64 s[10:11], s[4:5], 0x0
	s_waitcnt lgkmcnt(0)
	v_cmp_ge_i64_e64 s1, s[18:19], s[10:11]
	s_delay_alu instid0(VALU_DEP_1)
	s_and_b32 vcc_lo, exec_lo, s1
	s_cbranch_vccnz .LBB118_14
; %bb.10:
	s_clause 0x1
	s_load_b128 s[4:7], s[2:3], 0x38
	s_load_b64 s[2:3], s[2:3], 0x48
	s_sub_u32 s10, s10, s14
	s_subb_u32 s11, s11, 0
	s_sub_u32 s16, s18, s14
	s_subb_u32 s17, s19, 0
	v_and_b32_e32 v0, 0xffff, v16
	v_dual_mov_b32 v2, 0 :: v_dual_and_b32 v1, 0xffff, v13
	s_mul_hi_u32 s1, s16, 0x2110
	s_mul_i32 s21, s17, 0x2110
	s_mul_i32 s13, s16, 0x2110
	v_mov_b32_e32 v3, 0
	s_add_i32 s1, s1, s21
	s_mov_b32 s15, 0
	v_cndmask_b32_e64 v13, v0, v1, s0
	s_delay_alu instid0(VALU_DEP_2)
	v_dual_mov_b32 v0, v2 :: v_dual_mov_b32 v1, v3
	s_waitcnt lgkmcnt(0)
	s_add_u32 s13, s6, s13
	s_addc_u32 s21, s7, s1
	s_lshl_b64 s[0:1], s[18:19], 2
	s_lshl_b64 s[6:7], s[14:15], 2
	v_add_co_u32 v14, s13, s13, v17
	s_delay_alu instid0(VALU_DEP_1)
	v_add_co_ci_u32_e64 v15, null, s21, 0, s13
	s_sub_u32 s0, s0, s6
	s_subb_u32 s1, s1, s7
	s_add_u32 s0, s4, s0
	s_addc_u32 s1, s5, s1
	s_set_inst_prefetch_distance 0x1
	s_branch .LBB118_12
	.p2align	6
.LBB118_11:                             ;   in Loop: Header=BB118_12 Depth=1
	s_add_u32 s16, s16, 1
	s_addc_u32 s17, s17, 0
	s_add_u32 s0, s0, 4
	v_cmp_lt_i64_e64 s4, s[16:17], s[10:11]
	s_addc_u32 s1, s1, 0
	s_delay_alu instid0(VALU_DEP_1)
	s_and_b32 vcc_lo, exec_lo, s4
	s_cbranch_vccz .LBB118_14
.LBB118_12:                             ; =>This Inner Loop Header: Depth=1
	v_cmp_ge_i64_e64 s4, s[16:17], s[10:11]
	s_delay_alu instid0(VALU_DEP_1)
	s_and_b32 vcc_lo, exec_lo, s4
	s_cbranch_vccnz .LBB118_11
; %bb.13:                               ;   in Loop: Header=BB118_12 Depth=1
	s_load_b32 s4, s[0:1], 0x0
	s_waitcnt lgkmcnt(0)
	s_sub_i32 s4, s4, s14
	s_delay_alu instid0(SALU_CYCLE_1) | instskip(NEXT) | instid1(VALU_DEP_1)
	v_mad_u64_u32 v[18:19], null, s4, 23, v[13:14]
	v_ashrrev_i32_e32 v19, 31, v18
	s_delay_alu instid0(VALU_DEP_1) | instskip(NEXT) | instid1(VALU_DEP_1)
	v_lshlrev_b64 v[18:19], 4, v[18:19]
	v_add_co_u32 v22, vcc_lo, s2, v18
	s_delay_alu instid0(VALU_DEP_2)
	v_add_co_ci_u32_e32 v23, vcc_lo, s3, v19, vcc_lo
	global_load_b128 v[18:21], v[14:15], off
	global_load_b128 v[22:25], v[22:23], off
	v_add_co_u32 v14, vcc_lo, 0x2110, v14
	v_add_co_ci_u32_e32 v15, vcc_lo, 0, v15, vcc_lo
	s_waitcnt vmcnt(0)
	v_fma_f64 v[0:1], v[18:19], v[22:23], v[0:1]
	v_fma_f64 v[2:3], v[20:21], v[22:23], v[2:3]
	s_delay_alu instid0(VALU_DEP_2) | instskip(NEXT) | instid1(VALU_DEP_2)
	v_fma_f64 v[0:1], -v[20:21], v[24:25], v[0:1]
	v_fma_f64 v[2:3], v[18:19], v[24:25], v[2:3]
	s_branch .LBB118_11
.LBB118_14:
	s_set_inst_prefetch_distance 0x2
	s_and_b32 vcc_lo, exec_lo, s20
	ds_store_b128 v17, v[0:3]
	s_waitcnt vmcnt(0) lgkmcnt(0)
	s_barrier
	buffer_gl0_inv
	s_cbranch_vccz .LBB118_26
; %bb.15:
	s_mov_b32 s0, exec_lo
	v_cmpx_gt_u16_e32 7, v16
	s_cbranch_execz .LBB118_17
; %bb.16:
	ds_load_b128 v[18:21], v17 offset:256
	ds_load_b128 v[22:25], v17
	s_waitcnt lgkmcnt(0)
	v_add_f64 v[18:19], v[18:19], v[22:23]
	v_add_f64 v[20:21], v[20:21], v[24:25]
	ds_store_b128 v17, v[18:21]
.LBB118_17:
	s_or_b32 exec_lo, exec_lo, s0
	s_delay_alu instid0(SALU_CYCLE_1)
	s_mov_b32 s0, exec_lo
	s_waitcnt lgkmcnt(0)
	s_barrier
	buffer_gl0_inv
	v_cmpx_gt_u16_e32 8, v16
	s_cbranch_execz .LBB118_19
; %bb.18:
	ds_load_b128 v[18:21], v17 offset:128
	ds_load_b128 v[22:25], v17
	s_waitcnt lgkmcnt(0)
	v_add_f64 v[18:19], v[18:19], v[22:23]
	v_add_f64 v[20:21], v[20:21], v[24:25]
	ds_store_b128 v17, v[18:21]
.LBB118_19:
	s_or_b32 exec_lo, exec_lo, s0
	s_delay_alu instid0(SALU_CYCLE_1)
	s_mov_b32 s0, exec_lo
	s_waitcnt lgkmcnt(0)
	s_barrier
	buffer_gl0_inv
	;; [unrolled: 16-line block ×3, first 2 shown]
	v_cmpx_gt_u16_e32 2, v16
	s_cbranch_execz .LBB118_23
; %bb.22:
	ds_load_b128 v[13:16], v17
	ds_load_b128 v[18:21], v17 offset:32
	s_waitcnt lgkmcnt(0)
	v_add_f64 v[13:14], v[18:19], v[13:14]
	v_add_f64 v[15:16], v[20:21], v[15:16]
	ds_store_b128 v17, v[13:16]
.LBB118_23:
	s_or_b32 exec_lo, exec_lo, s0
	v_dual_mov_b32 v16, v3 :: v_dual_mov_b32 v15, v2
	v_dual_mov_b32 v14, v1 :: v_dual_mov_b32 v13, v0
	s_mov_b32 s0, exec_lo
	s_waitcnt lgkmcnt(0)
	s_barrier
	buffer_gl0_inv
	v_cmpx_gt_u32_e32 23, v4
	s_cbranch_execz .LBB118_25
; %bb.24:
	v_mul_u32_u24_e32 v13, 23, v4
	s_delay_alu instid0(VALU_DEP_1)
	v_lshlrev_b32_e32 v18, 4, v13
	ds_load_b128 v[13:16], v18
	ds_load_b128 v[18:21], v18 offset:16
	s_waitcnt lgkmcnt(0)
	v_add_f64 v[13:14], v[18:19], v[13:14]
	v_add_f64 v[15:16], v[20:21], v[15:16]
.LBB118_25:
	s_or_b32 exec_lo, exec_lo, s0
	s_branch .LBB118_38
.LBB118_26:
                                        ; implicit-def: $vgpr15_vgpr16
                                        ; implicit-def: $vgpr13_vgpr14
	s_cbranch_execz .LBB118_38
; %bb.27:
	s_mov_b32 s0, exec_lo
	v_cmpx_gt_u32_e32 0xa1, v4
	s_cbranch_execz .LBB118_29
; %bb.28:
	ds_load_b128 v[13:16], v17 offset:5888
	ds_load_b128 v[18:21], v17
	s_waitcnt lgkmcnt(0)
	v_add_f64 v[13:14], v[13:14], v[18:19]
	v_add_f64 v[15:16], v[15:16], v[20:21]
	ds_store_b128 v17, v[13:16]
.LBB118_29:
	s_or_b32 exec_lo, exec_lo, s0
	s_delay_alu instid0(SALU_CYCLE_1)
	s_mov_b32 s0, exec_lo
	s_waitcnt lgkmcnt(0)
	s_barrier
	buffer_gl0_inv
	v_cmpx_gt_u32_e32 0xb8, v4
	s_cbranch_execz .LBB118_31
; %bb.30:
	ds_load_b128 v[13:16], v17 offset:2944
	ds_load_b128 v[18:21], v17
	s_waitcnt lgkmcnt(0)
	v_add_f64 v[13:14], v[13:14], v[18:19]
	v_add_f64 v[15:16], v[15:16], v[20:21]
	ds_store_b128 v17, v[13:16]
.LBB118_31:
	s_or_b32 exec_lo, exec_lo, s0
	s_delay_alu instid0(SALU_CYCLE_1)
	s_mov_b32 s0, exec_lo
	s_waitcnt lgkmcnt(0)
	s_barrier
	buffer_gl0_inv
	;; [unrolled: 16-line block ×3, first 2 shown]
	v_cmpx_gt_u32_e32 46, v4
	s_cbranch_execz .LBB118_35
; %bb.34:
	ds_load_b128 v[13:16], v17 offset:736
	ds_load_b128 v[18:21], v17
	s_waitcnt lgkmcnt(0)
	v_add_f64 v[13:14], v[13:14], v[18:19]
	v_add_f64 v[15:16], v[15:16], v[20:21]
	ds_store_b128 v17, v[13:16]
.LBB118_35:
	s_or_b32 exec_lo, exec_lo, s0
	s_delay_alu instid0(SALU_CYCLE_1)
	s_mov_b32 s0, exec_lo
	s_waitcnt lgkmcnt(0)
	buffer_gl0_inv
	v_cmpx_gt_u32_e32 23, v4
	s_cbranch_execz .LBB118_37
; %bb.36:
	ds_load_b128 v[0:3], v17 offset:368
	ds_load_b128 v[13:16], v17
	s_waitcnt lgkmcnt(0)
	v_add_f64 v[0:1], v[0:1], v[13:14]
	v_add_f64 v[2:3], v[2:3], v[15:16]
.LBB118_37:
	s_or_b32 exec_lo, exec_lo, s0
	s_delay_alu instid0(VALU_DEP_1) | instskip(NEXT) | instid1(VALU_DEP_3)
	v_dual_mov_b32 v16, v3 :: v_dual_mov_b32 v15, v2
	v_dual_mov_b32 v14, v1 :: v_dual_mov_b32 v13, v0
.LBB118_38:
	v_cmp_gt_u32_e32 vcc_lo, 23, v4
	s_and_b32 exec_lo, exec_lo, vcc_lo
	s_cbranch_execz .LBB118_43
; %bb.39:
	s_delay_alu instid0(VALU_DEP_2) | instskip(SKIP_3) | instid1(VALU_DEP_4)
	v_mul_f64 v[0:1], v[15:16], -v[11:12]
	v_mul_f64 v[2:3], v[9:10], v[15:16]
	v_cmp_eq_f64_e32 vcc_lo, 0, v[5:6]
	v_cmp_eq_f64_e64 s0, 0, v[7:8]
	v_fma_f64 v[0:1], v[9:10], v[13:14], v[0:1]
	s_delay_alu instid0(VALU_DEP_4) | instskip(NEXT) | instid1(VALU_DEP_3)
	v_fma_f64 v[2:3], v[11:12], v[13:14], v[2:3]
	s_and_b32 s0, vcc_lo, s0
	s_delay_alu instid0(SALU_CYCLE_1) | instskip(NEXT) | instid1(SALU_CYCLE_1)
	s_and_saveexec_b32 s1, s0
	s_xor_b32 s0, exec_lo, s1
	s_cbranch_execz .LBB118_41
; %bb.40:
	v_mad_u64_u32 v[5:6], null, s12, 23, v[4:5]
	v_mov_b32_e32 v6, 0
                                        ; implicit-def: $vgpr7_vgpr8
	s_delay_alu instid0(VALU_DEP_1) | instskip(NEXT) | instid1(VALU_DEP_1)
	v_lshlrev_b64 v[4:5], 4, v[5:6]
	v_add_co_u32 v4, vcc_lo, s8, v4
	s_delay_alu instid0(VALU_DEP_2)
	v_add_co_ci_u32_e32 v5, vcc_lo, s9, v5, vcc_lo
	global_store_b128 v[4:5], v[0:3], off
                                        ; implicit-def: $vgpr4
                                        ; implicit-def: $vgpr5_vgpr6
                                        ; implicit-def: $vgpr0_vgpr1
.LBB118_41:
	s_and_not1_saveexec_b32 s0, s0
	s_cbranch_execz .LBB118_43
; %bb.42:
	v_mad_u64_u32 v[9:10], null, s12, 23, v[4:5]
	v_mov_b32_e32 v10, 0
	s_delay_alu instid0(VALU_DEP_1) | instskip(NEXT) | instid1(VALU_DEP_1)
	v_lshlrev_b64 v[9:10], 4, v[9:10]
	v_add_co_u32 v13, vcc_lo, s8, v9
	s_delay_alu instid0(VALU_DEP_2) | instskip(SKIP_4) | instid1(VALU_DEP_2)
	v_add_co_ci_u32_e32 v14, vcc_lo, s9, v10, vcc_lo
	global_load_b128 v[9:12], v[13:14], off
	s_waitcnt vmcnt(0)
	v_fma_f64 v[0:1], v[5:6], v[9:10], v[0:1]
	v_fma_f64 v[2:3], v[7:8], v[9:10], v[2:3]
	v_fma_f64 v[0:1], -v[7:8], v[11:12], v[0:1]
	s_delay_alu instid0(VALU_DEP_2)
	v_fma_f64 v[2:3], v[5:6], v[11:12], v[2:3]
	global_store_b128 v[13:14], v[0:3], off
.LBB118_43:
	s_nop 0
	s_sendmsg sendmsg(MSG_DEALLOC_VGPRS)
	s_endpgm
	.section	.rodata,"a",@progbits
	.p2align	6, 0x0
	.amdhsa_kernel _ZN9rocsparseL20bsrxmvn_17_32_kernelILj23E21rocsparse_complex_numIdEliS2_S2_S2_EEvT2_20rocsparse_direction_NS_24const_host_device_scalarIT0_EES3_PKS3_PKT1_SC_S9_PKT3_PKT4_S7_PT5_21rocsparse_index_base_b
		.amdhsa_group_segment_fixed_size 16928
		.amdhsa_private_segment_fixed_size 0
		.amdhsa_kernarg_size 112
		.amdhsa_user_sgpr_count 15
		.amdhsa_user_sgpr_dispatch_ptr 1
		.amdhsa_user_sgpr_queue_ptr 0
		.amdhsa_user_sgpr_kernarg_segment_ptr 1
		.amdhsa_user_sgpr_dispatch_id 0
		.amdhsa_user_sgpr_private_segment_size 0
		.amdhsa_wavefront_size32 1
		.amdhsa_uses_dynamic_stack 0
		.amdhsa_enable_private_segment 0
		.amdhsa_system_sgpr_workgroup_id_x 1
		.amdhsa_system_sgpr_workgroup_id_y 0
		.amdhsa_system_sgpr_workgroup_id_z 0
		.amdhsa_system_sgpr_workgroup_info 0
		.amdhsa_system_vgpr_workitem_id 2
		.amdhsa_next_free_vgpr 26
		.amdhsa_next_free_sgpr 22
		.amdhsa_reserve_vcc 1
		.amdhsa_float_round_mode_32 0
		.amdhsa_float_round_mode_16_64 0
		.amdhsa_float_denorm_mode_32 3
		.amdhsa_float_denorm_mode_16_64 3
		.amdhsa_dx10_clamp 1
		.amdhsa_ieee_mode 1
		.amdhsa_fp16_overflow 0
		.amdhsa_workgroup_processor_mode 1
		.amdhsa_memory_ordered 1
		.amdhsa_forward_progress 0
		.amdhsa_shared_vgpr_count 0
		.amdhsa_exception_fp_ieee_invalid_op 0
		.amdhsa_exception_fp_denorm_src 0
		.amdhsa_exception_fp_ieee_div_zero 0
		.amdhsa_exception_fp_ieee_overflow 0
		.amdhsa_exception_fp_ieee_underflow 0
		.amdhsa_exception_fp_ieee_inexact 0
		.amdhsa_exception_int_div_zero 0
	.end_amdhsa_kernel
	.section	.text._ZN9rocsparseL20bsrxmvn_17_32_kernelILj23E21rocsparse_complex_numIdEliS2_S2_S2_EEvT2_20rocsparse_direction_NS_24const_host_device_scalarIT0_EES3_PKS3_PKT1_SC_S9_PKT3_PKT4_S7_PT5_21rocsparse_index_base_b,"axG",@progbits,_ZN9rocsparseL20bsrxmvn_17_32_kernelILj23E21rocsparse_complex_numIdEliS2_S2_S2_EEvT2_20rocsparse_direction_NS_24const_host_device_scalarIT0_EES3_PKS3_PKT1_SC_S9_PKT3_PKT4_S7_PT5_21rocsparse_index_base_b,comdat
.Lfunc_end118:
	.size	_ZN9rocsparseL20bsrxmvn_17_32_kernelILj23E21rocsparse_complex_numIdEliS2_S2_S2_EEvT2_20rocsparse_direction_NS_24const_host_device_scalarIT0_EES3_PKS3_PKT1_SC_S9_PKT3_PKT4_S7_PT5_21rocsparse_index_base_b, .Lfunc_end118-_ZN9rocsparseL20bsrxmvn_17_32_kernelILj23E21rocsparse_complex_numIdEliS2_S2_S2_EEvT2_20rocsparse_direction_NS_24const_host_device_scalarIT0_EES3_PKS3_PKT1_SC_S9_PKT3_PKT4_S7_PT5_21rocsparse_index_base_b
                                        ; -- End function
	.section	.AMDGPU.csdata,"",@progbits
; Kernel info:
; codeLenInByte = 2068
; NumSgprs: 24
; NumVgprs: 26
; ScratchSize: 0
; MemoryBound: 0
; FloatMode: 240
; IeeeMode: 1
; LDSByteSize: 16928 bytes/workgroup (compile time only)
; SGPRBlocks: 2
; VGPRBlocks: 3
; NumSGPRsForWavesPerEU: 24
; NumVGPRsForWavesPerEU: 26
; Occupancy: 13
; WaveLimiterHint : 1
; COMPUTE_PGM_RSRC2:SCRATCH_EN: 0
; COMPUTE_PGM_RSRC2:USER_SGPR: 15
; COMPUTE_PGM_RSRC2:TRAP_HANDLER: 0
; COMPUTE_PGM_RSRC2:TGID_X_EN: 1
; COMPUTE_PGM_RSRC2:TGID_Y_EN: 0
; COMPUTE_PGM_RSRC2:TGID_Z_EN: 0
; COMPUTE_PGM_RSRC2:TIDIG_COMP_CNT: 2
	.section	.text._ZN9rocsparseL20bsrxmvn_17_32_kernelILj24E21rocsparse_complex_numIdEliS2_S2_S2_EEvT2_20rocsparse_direction_NS_24const_host_device_scalarIT0_EES3_PKS3_PKT1_SC_S9_PKT3_PKT4_S7_PT5_21rocsparse_index_base_b,"axG",@progbits,_ZN9rocsparseL20bsrxmvn_17_32_kernelILj24E21rocsparse_complex_numIdEliS2_S2_S2_EEvT2_20rocsparse_direction_NS_24const_host_device_scalarIT0_EES3_PKS3_PKT1_SC_S9_PKT3_PKT4_S7_PT5_21rocsparse_index_base_b,comdat
	.globl	_ZN9rocsparseL20bsrxmvn_17_32_kernelILj24E21rocsparse_complex_numIdEliS2_S2_S2_EEvT2_20rocsparse_direction_NS_24const_host_device_scalarIT0_EES3_PKS3_PKT1_SC_S9_PKT3_PKT4_S7_PT5_21rocsparse_index_base_b ; -- Begin function _ZN9rocsparseL20bsrxmvn_17_32_kernelILj24E21rocsparse_complex_numIdEliS2_S2_S2_EEvT2_20rocsparse_direction_NS_24const_host_device_scalarIT0_EES3_PKS3_PKT1_SC_S9_PKT3_PKT4_S7_PT5_21rocsparse_index_base_b
	.p2align	8
	.type	_ZN9rocsparseL20bsrxmvn_17_32_kernelILj24E21rocsparse_complex_numIdEliS2_S2_S2_EEvT2_20rocsparse_direction_NS_24const_host_device_scalarIT0_EES3_PKS3_PKT1_SC_S9_PKT3_PKT4_S7_PT5_21rocsparse_index_base_b,@function
_ZN9rocsparseL20bsrxmvn_17_32_kernelILj24E21rocsparse_complex_numIdEliS2_S2_S2_EEvT2_20rocsparse_direction_NS_24const_host_device_scalarIT0_EES3_PKS3_PKT1_SC_S9_PKT3_PKT4_S7_PT5_21rocsparse_index_base_b: ; @_ZN9rocsparseL20bsrxmvn_17_32_kernelILj24E21rocsparse_complex_numIdEliS2_S2_S2_EEvT2_20rocsparse_direction_NS_24const_host_device_scalarIT0_EES3_PKS3_PKT1_SC_S9_PKT3_PKT4_S7_PT5_21rocsparse_index_base_b
; %bb.0:
	s_mov_b32 s12, s15
	s_clause 0x1
	s_load_b64 s[14:15], s[2:3], 0x68
	s_load_b128 s[4:7], s[2:3], 0x8
	s_load_b64 s[16:17], s[0:1], 0x4
	s_mov_b64 s[0:1], src_shared_base
	v_and_b32_e32 v4, 0x3ff, v0
	s_load_b128 s[8:11], s[2:3], 0x50
	v_bfe_u32 v2, v0, 10, 10
	v_bfe_u32 v0, v0, 20, 10
	s_waitcnt lgkmcnt(0)
	s_bitcmp1_b32 s15, 0
	v_mov_b32_e32 v12, s7
	s_cselect_b32 s0, -1, 0
	v_mov_b32_e32 v11, s6
	s_and_b32 vcc_lo, s0, exec_lo
	s_cselect_b32 s13, s1, s5
	s_lshr_b32 s15, s16, 16
	v_mov_b32_e32 v6, s13
	s_mul_i32 s15, s15, s17
	s_xor_b32 s6, s0, -1
	v_mul_lo_u32 v1, s15, v4
	s_delay_alu instid0(VALU_DEP_1) | instskip(SKIP_1) | instid1(VALU_DEP_2)
	v_mad_u32_u24 v1, v2, s17, v1
	v_dual_mov_b32 v2, s8 :: v_dual_mov_b32 v3, s9
	v_add_lshl_u32 v7, v1, v0, 3
	v_dual_mov_b32 v0, s4 :: v_dual_mov_b32 v1, s5
	s_delay_alu instid0(VALU_DEP_2)
	v_add_nc_u32_e32 v5, 0x3600, v7
	ds_store_2addr_stride64_b64 v7, v[2:3], v[0:1] offset0:18 offset1:27
	v_add_nc_u32_e32 v0, 0x2400, v7
	v_cndmask_b32_e64 v5, s4, v5, s0
	flat_load_b64 v[9:10], v[5:6]
	s_cbranch_vccnz .LBB119_2
; %bb.1:
	v_dual_mov_b32 v1, s4 :: v_dual_mov_b32 v2, s5
	flat_load_b64 v[11:12], v[1:2] offset:8
.LBB119_2:
	s_and_b32 s4, s0, exec_lo
	s_cselect_b32 s1, s1, s9
	v_cndmask_b32_e64 v0, s8, v0, s0
	v_mov_b32_e32 v1, s1
	v_dual_mov_b32 v7, s10 :: v_dual_mov_b32 v8, s11
	s_and_not1_b32 vcc_lo, exec_lo, s6
	flat_load_b64 v[5:6], v[0:1]
	s_cbranch_vccnz .LBB119_4
; %bb.3:
	v_dual_mov_b32 v0, s8 :: v_dual_mov_b32 v1, s9
	flat_load_b64 v[7:8], v[0:1] offset:8
.LBB119_4:
	s_waitcnt vmcnt(1) lgkmcnt(1)
	v_cmp_eq_f64_e32 vcc_lo, 0, v[9:10]
	v_cmp_eq_f64_e64 s0, 0, v[11:12]
	s_delay_alu instid0(VALU_DEP_1)
	s_and_b32 s4, vcc_lo, s0
	s_mov_b32 s0, -1
	s_and_saveexec_b32 s1, s4
	s_cbranch_execz .LBB119_6
; %bb.5:
	s_waitcnt vmcnt(0) lgkmcnt(0)
	v_cmp_neq_f64_e32 vcc_lo, 1.0, v[5:6]
	v_cmp_neq_f64_e64 s0, 0, v[7:8]
	s_delay_alu instid0(VALU_DEP_1) | instskip(NEXT) | instid1(SALU_CYCLE_1)
	s_or_b32 s0, vcc_lo, s0
	s_or_not1_b32 s0, s0, exec_lo
.LBB119_6:
	s_or_b32 exec_lo, exec_lo, s1
	s_and_saveexec_b32 s1, s0
	s_cbranch_execz .LBB119_43
; %bb.7:
	s_clause 0x1
	s_load_b128 s[4:7], s[2:3], 0x20
	s_load_b64 s[8:9], s[2:3], 0x30
	s_waitcnt lgkmcnt(0)
	s_cmp_eq_u64 s[4:5], 0
	s_cbranch_scc1 .LBB119_9
; %bb.8:
	s_ashr_i32 s13, s12, 31
	s_delay_alu instid0(SALU_CYCLE_1) | instskip(NEXT) | instid1(SALU_CYCLE_1)
	s_lshl_b64 s[0:1], s[12:13], 2
	s_add_u32 s0, s4, s0
	s_addc_u32 s1, s5, s1
	s_load_b32 s0, s[0:1], 0x0
	s_waitcnt lgkmcnt(0)
	s_sub_i32 s12, s0, s14
.LBB119_9:
	s_load_b32 s1, s[2:3], 0x4
	v_mul_u32_u24_e32 v0, 0xaab, v4
	v_dual_mov_b32 v2, 0 :: v_dual_lshlrev_b32 v17, 4, v4
	v_mov_b32_e32 v3, 0
	s_delay_alu instid0(VALU_DEP_3) | instskip(NEXT) | instid1(VALU_DEP_1)
	v_lshrrev_b32_e32 v13, 16, v0
	v_mul_lo_u16 v0, v13, 24
	s_delay_alu instid0(VALU_DEP_1) | instskip(NEXT) | instid1(VALU_DEP_4)
	v_sub_nc_u16 v16, v4, v0
	v_dual_mov_b32 v0, v2 :: v_dual_mov_b32 v1, v3
	s_waitcnt lgkmcnt(0)
	s_cmp_eq_u32 s1, 1
	s_cselect_b32 s0, -1, 0
	s_cmp_lg_u32 s1, 1
	s_cselect_b32 s20, -1, 0
	s_ashr_i32 s13, s12, 31
	s_delay_alu instid0(SALU_CYCLE_1) | instskip(NEXT) | instid1(SALU_CYCLE_1)
	s_lshl_b64 s[4:5], s[12:13], 3
	s_add_u32 s6, s6, s4
	s_addc_u32 s7, s7, s5
	s_add_u32 s1, s6, 8
	s_addc_u32 s10, s7, 0
	;; [unrolled: 2-line block ×3, first 2 shown]
	s_cmp_eq_u64 s[8:9], 0
	s_load_b64 s[8:9], s[2:3], 0x60
	s_cselect_b32 s5, s10, s5
	s_cselect_b32 s4, s1, s4
	s_load_b64 s[18:19], s[6:7], 0x0
	s_load_b64 s[10:11], s[4:5], 0x0
	s_waitcnt lgkmcnt(0)
	v_cmp_ge_i64_e64 s1, s[18:19], s[10:11]
	s_delay_alu instid0(VALU_DEP_1)
	s_and_b32 vcc_lo, exec_lo, s1
	s_cbranch_vccnz .LBB119_14
; %bb.10:
	s_clause 0x1
	s_load_b128 s[4:7], s[2:3], 0x38
	s_load_b64 s[2:3], s[2:3], 0x48
	s_sub_u32 s10, s10, s14
	s_subb_u32 s11, s11, 0
	s_sub_u32 s16, s18, s14
	s_subb_u32 s17, s19, 0
	v_and_b32_e32 v0, 0xffff, v16
	v_dual_mov_b32 v2, 0 :: v_dual_and_b32 v1, 0xffff, v13
	s_mul_hi_u32 s1, s16, 0x2400
	s_mul_i32 s21, s17, 0x2400
	s_mul_i32 s13, s16, 0x2400
	v_mov_b32_e32 v3, 0
	s_add_i32 s1, s1, s21
	s_mov_b32 s15, 0
	v_cndmask_b32_e64 v13, v0, v1, s0
	s_delay_alu instid0(VALU_DEP_2)
	v_dual_mov_b32 v0, v2 :: v_dual_mov_b32 v1, v3
	s_waitcnt lgkmcnt(0)
	s_add_u32 s13, s6, s13
	s_addc_u32 s21, s7, s1
	s_lshl_b64 s[0:1], s[18:19], 2
	s_lshl_b64 s[6:7], s[14:15], 2
	v_add_co_u32 v14, s13, s13, v17
	s_delay_alu instid0(VALU_DEP_1)
	v_add_co_ci_u32_e64 v15, null, s21, 0, s13
	s_sub_u32 s0, s0, s6
	s_subb_u32 s1, s1, s7
	s_add_u32 s0, s4, s0
	s_addc_u32 s1, s5, s1
	s_set_inst_prefetch_distance 0x1
	s_branch .LBB119_12
	.p2align	6
.LBB119_11:                             ;   in Loop: Header=BB119_12 Depth=1
	s_add_u32 s16, s16, 1
	s_addc_u32 s17, s17, 0
	s_add_u32 s0, s0, 4
	v_cmp_lt_i64_e64 s4, s[16:17], s[10:11]
	s_addc_u32 s1, s1, 0
	s_delay_alu instid0(VALU_DEP_1)
	s_and_b32 vcc_lo, exec_lo, s4
	s_cbranch_vccz .LBB119_14
.LBB119_12:                             ; =>This Inner Loop Header: Depth=1
	v_cmp_ge_i64_e64 s4, s[16:17], s[10:11]
	s_delay_alu instid0(VALU_DEP_1)
	s_and_b32 vcc_lo, exec_lo, s4
	s_cbranch_vccnz .LBB119_11
; %bb.13:                               ;   in Loop: Header=BB119_12 Depth=1
	s_load_b32 s4, s[0:1], 0x0
	s_waitcnt lgkmcnt(0)
	s_sub_i32 s4, s4, s14
	s_delay_alu instid0(SALU_CYCLE_1) | instskip(NEXT) | instid1(VALU_DEP_1)
	v_mad_u64_u32 v[18:19], null, s4, 24, v[13:14]
	v_ashrrev_i32_e32 v19, 31, v18
	s_delay_alu instid0(VALU_DEP_1) | instskip(NEXT) | instid1(VALU_DEP_1)
	v_lshlrev_b64 v[18:19], 4, v[18:19]
	v_add_co_u32 v22, vcc_lo, s2, v18
	s_delay_alu instid0(VALU_DEP_2)
	v_add_co_ci_u32_e32 v23, vcc_lo, s3, v19, vcc_lo
	global_load_b128 v[18:21], v[14:15], off
	global_load_b128 v[22:25], v[22:23], off
	v_add_co_u32 v14, vcc_lo, 0x2400, v14
	v_add_co_ci_u32_e32 v15, vcc_lo, 0, v15, vcc_lo
	s_waitcnt vmcnt(0)
	v_fma_f64 v[0:1], v[18:19], v[22:23], v[0:1]
	v_fma_f64 v[2:3], v[20:21], v[22:23], v[2:3]
	s_delay_alu instid0(VALU_DEP_2) | instskip(NEXT) | instid1(VALU_DEP_2)
	v_fma_f64 v[0:1], -v[20:21], v[24:25], v[0:1]
	v_fma_f64 v[2:3], v[18:19], v[24:25], v[2:3]
	s_branch .LBB119_11
.LBB119_14:
	s_set_inst_prefetch_distance 0x2
	s_and_b32 vcc_lo, exec_lo, s20
	ds_store_b128 v17, v[0:3]
	s_waitcnt vmcnt(0) lgkmcnt(0)
	s_barrier
	buffer_gl0_inv
	s_cbranch_vccz .LBB119_26
; %bb.15:
	v_cmp_gt_u16_e32 vcc_lo, 8, v16
	s_and_saveexec_b32 s0, vcc_lo
	s_cbranch_execz .LBB119_17
; %bb.16:
	ds_load_b128 v[18:21], v17 offset:256
	ds_load_b128 v[22:25], v17
	s_waitcnt lgkmcnt(0)
	v_add_f64 v[18:19], v[18:19], v[22:23]
	v_add_f64 v[20:21], v[20:21], v[24:25]
	ds_store_b128 v17, v[18:21]
.LBB119_17:
	s_or_b32 exec_lo, exec_lo, s0
	s_waitcnt lgkmcnt(0)
	s_barrier
	buffer_gl0_inv
	s_and_saveexec_b32 s0, vcc_lo
	s_cbranch_execz .LBB119_19
; %bb.18:
	ds_load_b128 v[18:21], v17 offset:128
	ds_load_b128 v[22:25], v17
	s_waitcnt lgkmcnt(0)
	v_add_f64 v[18:19], v[18:19], v[22:23]
	v_add_f64 v[20:21], v[20:21], v[24:25]
	ds_store_b128 v17, v[18:21]
.LBB119_19:
	s_or_b32 exec_lo, exec_lo, s0
	s_delay_alu instid0(SALU_CYCLE_1)
	s_mov_b32 s0, exec_lo
	s_waitcnt lgkmcnt(0)
	s_barrier
	buffer_gl0_inv
	v_cmpx_gt_u16_e32 4, v16
	s_cbranch_execz .LBB119_21
; %bb.20:
	ds_load_b128 v[18:21], v17 offset:64
	ds_load_b128 v[22:25], v17
	s_waitcnt lgkmcnt(0)
	v_add_f64 v[18:19], v[18:19], v[22:23]
	v_add_f64 v[20:21], v[20:21], v[24:25]
	ds_store_b128 v17, v[18:21]
.LBB119_21:
	s_or_b32 exec_lo, exec_lo, s0
	s_delay_alu instid0(SALU_CYCLE_1)
	s_mov_b32 s0, exec_lo
	s_waitcnt lgkmcnt(0)
	s_barrier
	buffer_gl0_inv
	v_cmpx_gt_u16_e32 2, v16
	s_cbranch_execz .LBB119_23
; %bb.22:
	ds_load_b128 v[13:16], v17
	ds_load_b128 v[18:21], v17 offset:32
	s_waitcnt lgkmcnt(0)
	v_add_f64 v[13:14], v[18:19], v[13:14]
	v_add_f64 v[15:16], v[20:21], v[15:16]
	ds_store_b128 v17, v[13:16]
.LBB119_23:
	s_or_b32 exec_lo, exec_lo, s0
	v_dual_mov_b32 v16, v3 :: v_dual_mov_b32 v15, v2
	v_dual_mov_b32 v14, v1 :: v_dual_mov_b32 v13, v0
	s_mov_b32 s0, exec_lo
	s_waitcnt lgkmcnt(0)
	s_barrier
	buffer_gl0_inv
	v_cmpx_gt_u32_e32 24, v4
	s_cbranch_execz .LBB119_25
; %bb.24:
	v_mul_u32_u24_e32 v13, 24, v4
	s_delay_alu instid0(VALU_DEP_1)
	v_lshlrev_b32_e32 v18, 4, v13
	ds_load_b128 v[13:16], v18
	ds_load_b128 v[18:21], v18 offset:16
	s_waitcnt lgkmcnt(0)
	v_add_f64 v[13:14], v[18:19], v[13:14]
	v_add_f64 v[15:16], v[20:21], v[15:16]
.LBB119_25:
	s_or_b32 exec_lo, exec_lo, s0
	s_branch .LBB119_38
.LBB119_26:
                                        ; implicit-def: $vgpr15_vgpr16
                                        ; implicit-def: $vgpr13_vgpr14
	s_cbranch_execz .LBB119_38
; %bb.27:
	v_cmp_gt_u32_e32 vcc_lo, 0xc0, v4
	s_and_saveexec_b32 s0, vcc_lo
	s_cbranch_execz .LBB119_29
; %bb.28:
	ds_load_b128 v[13:16], v17 offset:6144
	ds_load_b128 v[18:21], v17
	s_waitcnt lgkmcnt(0)
	v_add_f64 v[13:14], v[13:14], v[18:19]
	v_add_f64 v[15:16], v[15:16], v[20:21]
	ds_store_b128 v17, v[13:16]
.LBB119_29:
	s_or_b32 exec_lo, exec_lo, s0
	s_waitcnt lgkmcnt(0)
	s_barrier
	buffer_gl0_inv
	s_and_saveexec_b32 s0, vcc_lo
	s_cbranch_execz .LBB119_31
; %bb.30:
	ds_load_b128 v[13:16], v17 offset:3072
	ds_load_b128 v[18:21], v17
	s_waitcnt lgkmcnt(0)
	v_add_f64 v[13:14], v[13:14], v[18:19]
	v_add_f64 v[15:16], v[15:16], v[20:21]
	ds_store_b128 v17, v[13:16]
.LBB119_31:
	s_or_b32 exec_lo, exec_lo, s0
	s_delay_alu instid0(SALU_CYCLE_1)
	s_mov_b32 s0, exec_lo
	s_waitcnt lgkmcnt(0)
	s_barrier
	buffer_gl0_inv
	v_cmpx_gt_u32_e32 0x60, v4
	s_cbranch_execz .LBB119_33
; %bb.32:
	ds_load_b128 v[13:16], v17 offset:1536
	ds_load_b128 v[18:21], v17
	s_waitcnt lgkmcnt(0)
	v_add_f64 v[13:14], v[13:14], v[18:19]
	v_add_f64 v[15:16], v[15:16], v[20:21]
	ds_store_b128 v17, v[13:16]
.LBB119_33:
	s_or_b32 exec_lo, exec_lo, s0
	s_delay_alu instid0(SALU_CYCLE_1)
	s_mov_b32 s0, exec_lo
	s_waitcnt lgkmcnt(0)
	s_barrier
	buffer_gl0_inv
	v_cmpx_gt_u32_e32 48, v4
	s_cbranch_execz .LBB119_35
; %bb.34:
	ds_load_b128 v[13:16], v17 offset:768
	ds_load_b128 v[18:21], v17
	s_waitcnt lgkmcnt(0)
	v_add_f64 v[13:14], v[13:14], v[18:19]
	v_add_f64 v[15:16], v[15:16], v[20:21]
	ds_store_b128 v17, v[13:16]
.LBB119_35:
	s_or_b32 exec_lo, exec_lo, s0
	s_delay_alu instid0(SALU_CYCLE_1)
	s_mov_b32 s0, exec_lo
	s_waitcnt lgkmcnt(0)
	buffer_gl0_inv
	v_cmpx_gt_u32_e32 24, v4
	s_cbranch_execz .LBB119_37
; %bb.36:
	ds_load_b128 v[0:3], v17 offset:384
	ds_load_b128 v[13:16], v17
	s_waitcnt lgkmcnt(0)
	v_add_f64 v[0:1], v[0:1], v[13:14]
	v_add_f64 v[2:3], v[2:3], v[15:16]
.LBB119_37:
	s_or_b32 exec_lo, exec_lo, s0
	s_delay_alu instid0(VALU_DEP_1) | instskip(NEXT) | instid1(VALU_DEP_3)
	v_dual_mov_b32 v16, v3 :: v_dual_mov_b32 v15, v2
	v_dual_mov_b32 v14, v1 :: v_dual_mov_b32 v13, v0
.LBB119_38:
	v_cmp_gt_u32_e32 vcc_lo, 24, v4
	s_and_b32 exec_lo, exec_lo, vcc_lo
	s_cbranch_execz .LBB119_43
; %bb.39:
	s_delay_alu instid0(VALU_DEP_2) | instskip(SKIP_3) | instid1(VALU_DEP_4)
	v_mul_f64 v[0:1], v[15:16], -v[11:12]
	v_mul_f64 v[2:3], v[9:10], v[15:16]
	v_cmp_eq_f64_e32 vcc_lo, 0, v[5:6]
	v_cmp_eq_f64_e64 s0, 0, v[7:8]
	v_fma_f64 v[0:1], v[9:10], v[13:14], v[0:1]
	s_delay_alu instid0(VALU_DEP_4) | instskip(NEXT) | instid1(VALU_DEP_3)
	v_fma_f64 v[2:3], v[11:12], v[13:14], v[2:3]
	s_and_b32 s0, vcc_lo, s0
	s_delay_alu instid0(SALU_CYCLE_1) | instskip(NEXT) | instid1(SALU_CYCLE_1)
	s_and_saveexec_b32 s1, s0
	s_xor_b32 s0, exec_lo, s1
	s_cbranch_execz .LBB119_41
; %bb.40:
	v_mad_u64_u32 v[5:6], null, s12, 24, v[4:5]
	v_mov_b32_e32 v6, 0
                                        ; implicit-def: $vgpr7_vgpr8
	s_delay_alu instid0(VALU_DEP_1) | instskip(NEXT) | instid1(VALU_DEP_1)
	v_lshlrev_b64 v[4:5], 4, v[5:6]
	v_add_co_u32 v4, vcc_lo, s8, v4
	s_delay_alu instid0(VALU_DEP_2)
	v_add_co_ci_u32_e32 v5, vcc_lo, s9, v5, vcc_lo
	global_store_b128 v[4:5], v[0:3], off
                                        ; implicit-def: $vgpr4
                                        ; implicit-def: $vgpr5_vgpr6
                                        ; implicit-def: $vgpr0_vgpr1
.LBB119_41:
	s_and_not1_saveexec_b32 s0, s0
	s_cbranch_execz .LBB119_43
; %bb.42:
	v_mad_u64_u32 v[9:10], null, s12, 24, v[4:5]
	v_mov_b32_e32 v10, 0
	s_delay_alu instid0(VALU_DEP_1) | instskip(NEXT) | instid1(VALU_DEP_1)
	v_lshlrev_b64 v[9:10], 4, v[9:10]
	v_add_co_u32 v13, vcc_lo, s8, v9
	s_delay_alu instid0(VALU_DEP_2) | instskip(SKIP_4) | instid1(VALU_DEP_2)
	v_add_co_ci_u32_e32 v14, vcc_lo, s9, v10, vcc_lo
	global_load_b128 v[9:12], v[13:14], off
	s_waitcnt vmcnt(0)
	v_fma_f64 v[0:1], v[5:6], v[9:10], v[0:1]
	v_fma_f64 v[2:3], v[7:8], v[9:10], v[2:3]
	v_fma_f64 v[0:1], -v[7:8], v[11:12], v[0:1]
	s_delay_alu instid0(VALU_DEP_2)
	v_fma_f64 v[2:3], v[5:6], v[11:12], v[2:3]
	global_store_b128 v[13:14], v[0:3], off
.LBB119_43:
	s_nop 0
	s_sendmsg sendmsg(MSG_DEALLOC_VGPRS)
	s_endpgm
	.section	.rodata,"a",@progbits
	.p2align	6, 0x0
	.amdhsa_kernel _ZN9rocsparseL20bsrxmvn_17_32_kernelILj24E21rocsparse_complex_numIdEliS2_S2_S2_EEvT2_20rocsparse_direction_NS_24const_host_device_scalarIT0_EES3_PKS3_PKT1_SC_S9_PKT3_PKT4_S7_PT5_21rocsparse_index_base_b
		.amdhsa_group_segment_fixed_size 18432
		.amdhsa_private_segment_fixed_size 0
		.amdhsa_kernarg_size 112
		.amdhsa_user_sgpr_count 15
		.amdhsa_user_sgpr_dispatch_ptr 1
		.amdhsa_user_sgpr_queue_ptr 0
		.amdhsa_user_sgpr_kernarg_segment_ptr 1
		.amdhsa_user_sgpr_dispatch_id 0
		.amdhsa_user_sgpr_private_segment_size 0
		.amdhsa_wavefront_size32 1
		.amdhsa_uses_dynamic_stack 0
		.amdhsa_enable_private_segment 0
		.amdhsa_system_sgpr_workgroup_id_x 1
		.amdhsa_system_sgpr_workgroup_id_y 0
		.amdhsa_system_sgpr_workgroup_id_z 0
		.amdhsa_system_sgpr_workgroup_info 0
		.amdhsa_system_vgpr_workitem_id 2
		.amdhsa_next_free_vgpr 26
		.amdhsa_next_free_sgpr 22
		.amdhsa_reserve_vcc 1
		.amdhsa_float_round_mode_32 0
		.amdhsa_float_round_mode_16_64 0
		.amdhsa_float_denorm_mode_32 3
		.amdhsa_float_denorm_mode_16_64 3
		.amdhsa_dx10_clamp 1
		.amdhsa_ieee_mode 1
		.amdhsa_fp16_overflow 0
		.amdhsa_workgroup_processor_mode 1
		.amdhsa_memory_ordered 1
		.amdhsa_forward_progress 0
		.amdhsa_shared_vgpr_count 0
		.amdhsa_exception_fp_ieee_invalid_op 0
		.amdhsa_exception_fp_denorm_src 0
		.amdhsa_exception_fp_ieee_div_zero 0
		.amdhsa_exception_fp_ieee_overflow 0
		.amdhsa_exception_fp_ieee_underflow 0
		.amdhsa_exception_fp_ieee_inexact 0
		.amdhsa_exception_int_div_zero 0
	.end_amdhsa_kernel
	.section	.text._ZN9rocsparseL20bsrxmvn_17_32_kernelILj24E21rocsparse_complex_numIdEliS2_S2_S2_EEvT2_20rocsparse_direction_NS_24const_host_device_scalarIT0_EES3_PKS3_PKT1_SC_S9_PKT3_PKT4_S7_PT5_21rocsparse_index_base_b,"axG",@progbits,_ZN9rocsparseL20bsrxmvn_17_32_kernelILj24E21rocsparse_complex_numIdEliS2_S2_S2_EEvT2_20rocsparse_direction_NS_24const_host_device_scalarIT0_EES3_PKS3_PKT1_SC_S9_PKT3_PKT4_S7_PT5_21rocsparse_index_base_b,comdat
.Lfunc_end119:
	.size	_ZN9rocsparseL20bsrxmvn_17_32_kernelILj24E21rocsparse_complex_numIdEliS2_S2_S2_EEvT2_20rocsparse_direction_NS_24const_host_device_scalarIT0_EES3_PKS3_PKT1_SC_S9_PKT3_PKT4_S7_PT5_21rocsparse_index_base_b, .Lfunc_end119-_ZN9rocsparseL20bsrxmvn_17_32_kernelILj24E21rocsparse_complex_numIdEliS2_S2_S2_EEvT2_20rocsparse_direction_NS_24const_host_device_scalarIT0_EES3_PKS3_PKT1_SC_S9_PKT3_PKT4_S7_PT5_21rocsparse_index_base_b
                                        ; -- End function
	.section	.AMDGPU.csdata,"",@progbits
; Kernel info:
; codeLenInByte = 2040
; NumSgprs: 24
; NumVgprs: 26
; ScratchSize: 0
; MemoryBound: 0
; FloatMode: 240
; IeeeMode: 1
; LDSByteSize: 18432 bytes/workgroup (compile time only)
; SGPRBlocks: 2
; VGPRBlocks: 3
; NumSGPRsForWavesPerEU: 24
; NumVGPRsForWavesPerEU: 26
; Occupancy: 14
; WaveLimiterHint : 1
; COMPUTE_PGM_RSRC2:SCRATCH_EN: 0
; COMPUTE_PGM_RSRC2:USER_SGPR: 15
; COMPUTE_PGM_RSRC2:TRAP_HANDLER: 0
; COMPUTE_PGM_RSRC2:TGID_X_EN: 1
; COMPUTE_PGM_RSRC2:TGID_Y_EN: 0
; COMPUTE_PGM_RSRC2:TGID_Z_EN: 0
; COMPUTE_PGM_RSRC2:TIDIG_COMP_CNT: 2
	.section	.text._ZN9rocsparseL20bsrxmvn_17_32_kernelILj25E21rocsparse_complex_numIdEliS2_S2_S2_EEvT2_20rocsparse_direction_NS_24const_host_device_scalarIT0_EES3_PKS3_PKT1_SC_S9_PKT3_PKT4_S7_PT5_21rocsparse_index_base_b,"axG",@progbits,_ZN9rocsparseL20bsrxmvn_17_32_kernelILj25E21rocsparse_complex_numIdEliS2_S2_S2_EEvT2_20rocsparse_direction_NS_24const_host_device_scalarIT0_EES3_PKS3_PKT1_SC_S9_PKT3_PKT4_S7_PT5_21rocsparse_index_base_b,comdat
	.globl	_ZN9rocsparseL20bsrxmvn_17_32_kernelILj25E21rocsparse_complex_numIdEliS2_S2_S2_EEvT2_20rocsparse_direction_NS_24const_host_device_scalarIT0_EES3_PKS3_PKT1_SC_S9_PKT3_PKT4_S7_PT5_21rocsparse_index_base_b ; -- Begin function _ZN9rocsparseL20bsrxmvn_17_32_kernelILj25E21rocsparse_complex_numIdEliS2_S2_S2_EEvT2_20rocsparse_direction_NS_24const_host_device_scalarIT0_EES3_PKS3_PKT1_SC_S9_PKT3_PKT4_S7_PT5_21rocsparse_index_base_b
	.p2align	8
	.type	_ZN9rocsparseL20bsrxmvn_17_32_kernelILj25E21rocsparse_complex_numIdEliS2_S2_S2_EEvT2_20rocsparse_direction_NS_24const_host_device_scalarIT0_EES3_PKS3_PKT1_SC_S9_PKT3_PKT4_S7_PT5_21rocsparse_index_base_b,@function
_ZN9rocsparseL20bsrxmvn_17_32_kernelILj25E21rocsparse_complex_numIdEliS2_S2_S2_EEvT2_20rocsparse_direction_NS_24const_host_device_scalarIT0_EES3_PKS3_PKT1_SC_S9_PKT3_PKT4_S7_PT5_21rocsparse_index_base_b: ; @_ZN9rocsparseL20bsrxmvn_17_32_kernelILj25E21rocsparse_complex_numIdEliS2_S2_S2_EEvT2_20rocsparse_direction_NS_24const_host_device_scalarIT0_EES3_PKS3_PKT1_SC_S9_PKT3_PKT4_S7_PT5_21rocsparse_index_base_b
; %bb.0:
	s_mov_b32 s12, s15
	s_clause 0x1
	s_load_b64 s[14:15], s[2:3], 0x68
	s_load_b128 s[4:7], s[2:3], 0x8
	s_load_b64 s[16:17], s[0:1], 0x4
	s_mov_b64 s[0:1], src_shared_base
	v_and_b32_e32 v4, 0x3ff, v0
	s_load_b128 s[8:11], s[2:3], 0x50
	v_bfe_u32 v2, v0, 10, 10
	v_bfe_u32 v0, v0, 20, 10
	s_waitcnt lgkmcnt(0)
	s_bitcmp1_b32 s15, 0
	v_mov_b32_e32 v12, s7
	s_cselect_b32 s0, -1, 0
	v_mov_b32_e32 v11, s6
	s_and_b32 vcc_lo, s0, exec_lo
	s_cselect_b32 s13, s1, s5
	s_lshr_b32 s15, s16, 16
	v_mov_b32_e32 v6, s13
	s_mul_i32 s15, s15, s17
	s_xor_b32 s6, s0, -1
	v_mul_lo_u32 v1, s15, v4
	s_delay_alu instid0(VALU_DEP_1) | instskip(SKIP_1) | instid1(VALU_DEP_2)
	v_mad_u32_u24 v1, v2, s17, v1
	v_dual_mov_b32 v2, s8 :: v_dual_mov_b32 v3, s9
	v_add_lshl_u32 v7, v1, v0, 3
	v_dual_mov_b32 v0, s4 :: v_dual_mov_b32 v1, s5
	ds_store_b64 v7, v[0:1] offset:15000
	ds_store_b64 v7, v[2:3] offset:10000
	v_add_nc_u32_e32 v5, 0x3a98, v7
	v_add_nc_u32_e32 v0, 0x2710, v7
	s_delay_alu instid0(VALU_DEP_2)
	v_cndmask_b32_e64 v5, s4, v5, s0
	flat_load_b64 v[9:10], v[5:6]
	s_cbranch_vccnz .LBB120_2
; %bb.1:
	v_dual_mov_b32 v1, s4 :: v_dual_mov_b32 v2, s5
	flat_load_b64 v[11:12], v[1:2] offset:8
.LBB120_2:
	s_and_b32 s4, s0, exec_lo
	s_cselect_b32 s1, s1, s9
	v_cndmask_b32_e64 v0, s8, v0, s0
	v_mov_b32_e32 v1, s1
	v_dual_mov_b32 v7, s10 :: v_dual_mov_b32 v8, s11
	s_and_not1_b32 vcc_lo, exec_lo, s6
	flat_load_b64 v[5:6], v[0:1]
	s_cbranch_vccnz .LBB120_4
; %bb.3:
	v_dual_mov_b32 v0, s8 :: v_dual_mov_b32 v1, s9
	flat_load_b64 v[7:8], v[0:1] offset:8
.LBB120_4:
	s_waitcnt vmcnt(1) lgkmcnt(1)
	v_cmp_eq_f64_e32 vcc_lo, 0, v[9:10]
	v_cmp_eq_f64_e64 s0, 0, v[11:12]
	s_delay_alu instid0(VALU_DEP_1)
	s_and_b32 s4, vcc_lo, s0
	s_mov_b32 s0, -1
	s_and_saveexec_b32 s1, s4
	s_cbranch_execz .LBB120_6
; %bb.5:
	s_waitcnt vmcnt(0) lgkmcnt(0)
	v_cmp_neq_f64_e32 vcc_lo, 1.0, v[5:6]
	v_cmp_neq_f64_e64 s0, 0, v[7:8]
	s_delay_alu instid0(VALU_DEP_1) | instskip(NEXT) | instid1(SALU_CYCLE_1)
	s_or_b32 s0, vcc_lo, s0
	s_or_not1_b32 s0, s0, exec_lo
.LBB120_6:
	s_or_b32 exec_lo, exec_lo, s1
	s_and_saveexec_b32 s1, s0
	s_cbranch_execz .LBB120_43
; %bb.7:
	s_clause 0x1
	s_load_b128 s[4:7], s[2:3], 0x20
	s_load_b64 s[8:9], s[2:3], 0x30
	s_waitcnt lgkmcnt(0)
	s_cmp_eq_u64 s[4:5], 0
	s_cbranch_scc1 .LBB120_9
; %bb.8:
	s_ashr_i32 s13, s12, 31
	s_delay_alu instid0(SALU_CYCLE_1) | instskip(NEXT) | instid1(SALU_CYCLE_1)
	s_lshl_b64 s[0:1], s[12:13], 2
	s_add_u32 s0, s4, s0
	s_addc_u32 s1, s5, s1
	s_load_b32 s0, s[0:1], 0x0
	s_waitcnt lgkmcnt(0)
	s_sub_i32 s12, s0, s14
.LBB120_9:
	s_load_b32 s1, s[2:3], 0x4
	v_mul_u32_u24_e32 v0, 0xa3e, v4
	v_dual_mov_b32 v2, 0 :: v_dual_lshlrev_b32 v17, 4, v4
	v_mov_b32_e32 v3, 0
	s_delay_alu instid0(VALU_DEP_3) | instskip(NEXT) | instid1(VALU_DEP_1)
	v_lshrrev_b32_e32 v13, 16, v0
	v_mul_lo_u16 v0, v13, 25
	s_delay_alu instid0(VALU_DEP_1) | instskip(NEXT) | instid1(VALU_DEP_4)
	v_sub_nc_u16 v16, v4, v0
	v_dual_mov_b32 v0, v2 :: v_dual_mov_b32 v1, v3
	s_waitcnt lgkmcnt(0)
	s_cmp_eq_u32 s1, 1
	s_cselect_b32 s0, -1, 0
	s_cmp_lg_u32 s1, 1
	s_cselect_b32 s20, -1, 0
	s_ashr_i32 s13, s12, 31
	s_delay_alu instid0(SALU_CYCLE_1) | instskip(NEXT) | instid1(SALU_CYCLE_1)
	s_lshl_b64 s[4:5], s[12:13], 3
	s_add_u32 s6, s6, s4
	s_addc_u32 s7, s7, s5
	s_add_u32 s1, s6, 8
	s_addc_u32 s10, s7, 0
	;; [unrolled: 2-line block ×3, first 2 shown]
	s_cmp_eq_u64 s[8:9], 0
	s_load_b64 s[8:9], s[2:3], 0x60
	s_cselect_b32 s5, s10, s5
	s_cselect_b32 s4, s1, s4
	s_load_b64 s[18:19], s[6:7], 0x0
	s_load_b64 s[10:11], s[4:5], 0x0
	s_waitcnt lgkmcnt(0)
	v_cmp_ge_i64_e64 s1, s[18:19], s[10:11]
	s_delay_alu instid0(VALU_DEP_1)
	s_and_b32 vcc_lo, exec_lo, s1
	s_cbranch_vccnz .LBB120_14
; %bb.10:
	s_clause 0x1
	s_load_b128 s[4:7], s[2:3], 0x38
	s_load_b64 s[2:3], s[2:3], 0x48
	s_sub_u32 s10, s10, s14
	s_subb_u32 s11, s11, 0
	s_sub_u32 s16, s18, s14
	s_subb_u32 s17, s19, 0
	v_and_b32_e32 v0, 0xffff, v16
	v_dual_mov_b32 v2, 0 :: v_dual_and_b32 v1, 0xffff, v13
	s_mul_hi_u32 s1, s16, 0x2710
	s_mul_i32 s21, s17, 0x2710
	s_mul_i32 s13, s16, 0x2710
	v_mov_b32_e32 v3, 0
	s_add_i32 s1, s1, s21
	s_mov_b32 s15, 0
	v_cndmask_b32_e64 v13, v0, v1, s0
	s_delay_alu instid0(VALU_DEP_2)
	v_dual_mov_b32 v0, v2 :: v_dual_mov_b32 v1, v3
	s_waitcnt lgkmcnt(0)
	s_add_u32 s13, s6, s13
	s_addc_u32 s21, s7, s1
	s_lshl_b64 s[0:1], s[18:19], 2
	s_lshl_b64 s[6:7], s[14:15], 2
	v_add_co_u32 v14, s13, s13, v17
	s_delay_alu instid0(VALU_DEP_1)
	v_add_co_ci_u32_e64 v15, null, s21, 0, s13
	s_sub_u32 s0, s0, s6
	s_subb_u32 s1, s1, s7
	s_add_u32 s0, s4, s0
	s_addc_u32 s1, s5, s1
	s_set_inst_prefetch_distance 0x1
	s_branch .LBB120_12
	.p2align	6
.LBB120_11:                             ;   in Loop: Header=BB120_12 Depth=1
	s_add_u32 s16, s16, 1
	s_addc_u32 s17, s17, 0
	s_add_u32 s0, s0, 4
	v_cmp_lt_i64_e64 s4, s[16:17], s[10:11]
	s_addc_u32 s1, s1, 0
	s_delay_alu instid0(VALU_DEP_1)
	s_and_b32 vcc_lo, exec_lo, s4
	s_cbranch_vccz .LBB120_14
.LBB120_12:                             ; =>This Inner Loop Header: Depth=1
	v_cmp_ge_i64_e64 s4, s[16:17], s[10:11]
	s_delay_alu instid0(VALU_DEP_1)
	s_and_b32 vcc_lo, exec_lo, s4
	s_cbranch_vccnz .LBB120_11
; %bb.13:                               ;   in Loop: Header=BB120_12 Depth=1
	s_load_b32 s4, s[0:1], 0x0
	s_waitcnt lgkmcnt(0)
	s_sub_i32 s4, s4, s14
	s_delay_alu instid0(SALU_CYCLE_1) | instskip(NEXT) | instid1(VALU_DEP_1)
	v_mad_u64_u32 v[18:19], null, s4, 25, v[13:14]
	v_ashrrev_i32_e32 v19, 31, v18
	s_delay_alu instid0(VALU_DEP_1) | instskip(NEXT) | instid1(VALU_DEP_1)
	v_lshlrev_b64 v[18:19], 4, v[18:19]
	v_add_co_u32 v22, vcc_lo, s2, v18
	s_delay_alu instid0(VALU_DEP_2)
	v_add_co_ci_u32_e32 v23, vcc_lo, s3, v19, vcc_lo
	global_load_b128 v[18:21], v[14:15], off
	global_load_b128 v[22:25], v[22:23], off
	v_add_co_u32 v14, vcc_lo, 0x2710, v14
	v_add_co_ci_u32_e32 v15, vcc_lo, 0, v15, vcc_lo
	s_waitcnt vmcnt(0)
	v_fma_f64 v[0:1], v[18:19], v[22:23], v[0:1]
	v_fma_f64 v[2:3], v[20:21], v[22:23], v[2:3]
	s_delay_alu instid0(VALU_DEP_2) | instskip(NEXT) | instid1(VALU_DEP_2)
	v_fma_f64 v[0:1], -v[20:21], v[24:25], v[0:1]
	v_fma_f64 v[2:3], v[18:19], v[24:25], v[2:3]
	s_branch .LBB120_11
.LBB120_14:
	s_set_inst_prefetch_distance 0x2
	s_and_b32 vcc_lo, exec_lo, s20
	ds_store_b128 v17, v[0:3]
	s_waitcnt vmcnt(0) lgkmcnt(0)
	s_barrier
	buffer_gl0_inv
	s_cbranch_vccz .LBB120_26
; %bb.15:
	s_mov_b32 s0, exec_lo
	v_cmpx_gt_u16_e32 9, v16
	s_cbranch_execz .LBB120_17
; %bb.16:
	ds_load_b128 v[18:21], v17 offset:256
	ds_load_b128 v[22:25], v17
	s_waitcnt lgkmcnt(0)
	v_add_f64 v[18:19], v[18:19], v[22:23]
	v_add_f64 v[20:21], v[20:21], v[24:25]
	ds_store_b128 v17, v[18:21]
.LBB120_17:
	s_or_b32 exec_lo, exec_lo, s0
	s_delay_alu instid0(SALU_CYCLE_1)
	s_mov_b32 s0, exec_lo
	s_waitcnt lgkmcnt(0)
	s_barrier
	buffer_gl0_inv
	v_cmpx_gt_u16_e32 8, v16
	s_cbranch_execz .LBB120_19
; %bb.18:
	ds_load_b128 v[18:21], v17 offset:128
	ds_load_b128 v[22:25], v17
	s_waitcnt lgkmcnt(0)
	v_add_f64 v[18:19], v[18:19], v[22:23]
	v_add_f64 v[20:21], v[20:21], v[24:25]
	ds_store_b128 v17, v[18:21]
.LBB120_19:
	s_or_b32 exec_lo, exec_lo, s0
	s_delay_alu instid0(SALU_CYCLE_1)
	s_mov_b32 s0, exec_lo
	s_waitcnt lgkmcnt(0)
	s_barrier
	buffer_gl0_inv
	v_cmpx_gt_u16_e32 4, v16
	s_cbranch_execz .LBB120_21
; %bb.20:
	ds_load_b128 v[18:21], v17 offset:64
	ds_load_b128 v[22:25], v17
	s_waitcnt lgkmcnt(0)
	v_add_f64 v[18:19], v[18:19], v[22:23]
	v_add_f64 v[20:21], v[20:21], v[24:25]
	ds_store_b128 v17, v[18:21]
.LBB120_21:
	s_or_b32 exec_lo, exec_lo, s0
	s_delay_alu instid0(SALU_CYCLE_1)
	s_mov_b32 s0, exec_lo
	s_waitcnt lgkmcnt(0)
	s_barrier
	buffer_gl0_inv
	v_cmpx_gt_u16_e32 2, v16
	s_cbranch_execz .LBB120_23
; %bb.22:
	ds_load_b128 v[13:16], v17
	ds_load_b128 v[18:21], v17 offset:32
	s_waitcnt lgkmcnt(0)
	v_add_f64 v[13:14], v[18:19], v[13:14]
	v_add_f64 v[15:16], v[20:21], v[15:16]
	ds_store_b128 v17, v[13:16]
.LBB120_23:
	s_or_b32 exec_lo, exec_lo, s0
	v_dual_mov_b32 v16, v3 :: v_dual_mov_b32 v15, v2
	v_dual_mov_b32 v14, v1 :: v_dual_mov_b32 v13, v0
	s_mov_b32 s0, exec_lo
	s_waitcnt lgkmcnt(0)
	s_barrier
	buffer_gl0_inv
	v_cmpx_gt_u32_e32 25, v4
	s_cbranch_execz .LBB120_25
; %bb.24:
	v_mul_u32_u24_e32 v13, 25, v4
	s_delay_alu instid0(VALU_DEP_1)
	v_lshlrev_b32_e32 v18, 4, v13
	ds_load_b128 v[13:16], v18
	ds_load_b128 v[18:21], v18 offset:16
	s_waitcnt lgkmcnt(0)
	v_add_f64 v[13:14], v[18:19], v[13:14]
	v_add_f64 v[15:16], v[20:21], v[15:16]
.LBB120_25:
	s_or_b32 exec_lo, exec_lo, s0
	s_branch .LBB120_38
.LBB120_26:
                                        ; implicit-def: $vgpr15_vgpr16
                                        ; implicit-def: $vgpr13_vgpr14
	s_cbranch_execz .LBB120_38
; %bb.27:
	s_mov_b32 s0, exec_lo
	v_cmpx_gt_u32_e32 0xe1, v4
	s_cbranch_execz .LBB120_29
; %bb.28:
	ds_load_b128 v[13:16], v17 offset:6400
	ds_load_b128 v[18:21], v17
	s_waitcnt lgkmcnt(0)
	v_add_f64 v[13:14], v[13:14], v[18:19]
	v_add_f64 v[15:16], v[15:16], v[20:21]
	ds_store_b128 v17, v[13:16]
.LBB120_29:
	s_or_b32 exec_lo, exec_lo, s0
	s_delay_alu instid0(SALU_CYCLE_1)
	s_mov_b32 s0, exec_lo
	s_waitcnt lgkmcnt(0)
	s_barrier
	buffer_gl0_inv
	v_cmpx_gt_u32_e32 0xc8, v4
	s_cbranch_execz .LBB120_31
; %bb.30:
	ds_load_b128 v[13:16], v17 offset:3200
	ds_load_b128 v[18:21], v17
	s_waitcnt lgkmcnt(0)
	v_add_f64 v[13:14], v[13:14], v[18:19]
	v_add_f64 v[15:16], v[15:16], v[20:21]
	ds_store_b128 v17, v[13:16]
.LBB120_31:
	s_or_b32 exec_lo, exec_lo, s0
	s_delay_alu instid0(SALU_CYCLE_1)
	s_mov_b32 s0, exec_lo
	s_waitcnt lgkmcnt(0)
	s_barrier
	buffer_gl0_inv
	;; [unrolled: 16-line block ×3, first 2 shown]
	v_cmpx_gt_u32_e32 50, v4
	s_cbranch_execz .LBB120_35
; %bb.34:
	ds_load_b128 v[13:16], v17 offset:800
	ds_load_b128 v[18:21], v17
	s_waitcnt lgkmcnt(0)
	v_add_f64 v[13:14], v[13:14], v[18:19]
	v_add_f64 v[15:16], v[15:16], v[20:21]
	ds_store_b128 v17, v[13:16]
.LBB120_35:
	s_or_b32 exec_lo, exec_lo, s0
	s_delay_alu instid0(SALU_CYCLE_1)
	s_mov_b32 s0, exec_lo
	s_waitcnt lgkmcnt(0)
	buffer_gl0_inv
	v_cmpx_gt_u32_e32 25, v4
	s_cbranch_execz .LBB120_37
; %bb.36:
	ds_load_b128 v[0:3], v17 offset:400
	ds_load_b128 v[13:16], v17
	s_waitcnt lgkmcnt(0)
	v_add_f64 v[0:1], v[0:1], v[13:14]
	v_add_f64 v[2:3], v[2:3], v[15:16]
.LBB120_37:
	s_or_b32 exec_lo, exec_lo, s0
	s_delay_alu instid0(VALU_DEP_1) | instskip(NEXT) | instid1(VALU_DEP_3)
	v_dual_mov_b32 v16, v3 :: v_dual_mov_b32 v15, v2
	v_dual_mov_b32 v14, v1 :: v_dual_mov_b32 v13, v0
.LBB120_38:
	v_cmp_gt_u32_e32 vcc_lo, 25, v4
	s_and_b32 exec_lo, exec_lo, vcc_lo
	s_cbranch_execz .LBB120_43
; %bb.39:
	s_delay_alu instid0(VALU_DEP_2) | instskip(SKIP_3) | instid1(VALU_DEP_4)
	v_mul_f64 v[0:1], v[15:16], -v[11:12]
	v_mul_f64 v[2:3], v[9:10], v[15:16]
	v_cmp_eq_f64_e32 vcc_lo, 0, v[5:6]
	v_cmp_eq_f64_e64 s0, 0, v[7:8]
	v_fma_f64 v[0:1], v[9:10], v[13:14], v[0:1]
	s_delay_alu instid0(VALU_DEP_4) | instskip(NEXT) | instid1(VALU_DEP_3)
	v_fma_f64 v[2:3], v[11:12], v[13:14], v[2:3]
	s_and_b32 s0, vcc_lo, s0
	s_delay_alu instid0(SALU_CYCLE_1) | instskip(NEXT) | instid1(SALU_CYCLE_1)
	s_and_saveexec_b32 s1, s0
	s_xor_b32 s0, exec_lo, s1
	s_cbranch_execz .LBB120_41
; %bb.40:
	v_mad_u64_u32 v[5:6], null, s12, 25, v[4:5]
	v_mov_b32_e32 v6, 0
                                        ; implicit-def: $vgpr7_vgpr8
	s_delay_alu instid0(VALU_DEP_1) | instskip(NEXT) | instid1(VALU_DEP_1)
	v_lshlrev_b64 v[4:5], 4, v[5:6]
	v_add_co_u32 v4, vcc_lo, s8, v4
	s_delay_alu instid0(VALU_DEP_2)
	v_add_co_ci_u32_e32 v5, vcc_lo, s9, v5, vcc_lo
	global_store_b128 v[4:5], v[0:3], off
                                        ; implicit-def: $vgpr4
                                        ; implicit-def: $vgpr5_vgpr6
                                        ; implicit-def: $vgpr0_vgpr1
.LBB120_41:
	s_and_not1_saveexec_b32 s0, s0
	s_cbranch_execz .LBB120_43
; %bb.42:
	v_mad_u64_u32 v[9:10], null, s12, 25, v[4:5]
	v_mov_b32_e32 v10, 0
	s_delay_alu instid0(VALU_DEP_1) | instskip(NEXT) | instid1(VALU_DEP_1)
	v_lshlrev_b64 v[9:10], 4, v[9:10]
	v_add_co_u32 v13, vcc_lo, s8, v9
	s_delay_alu instid0(VALU_DEP_2) | instskip(SKIP_4) | instid1(VALU_DEP_2)
	v_add_co_ci_u32_e32 v14, vcc_lo, s9, v10, vcc_lo
	global_load_b128 v[9:12], v[13:14], off
	s_waitcnt vmcnt(0)
	v_fma_f64 v[0:1], v[5:6], v[9:10], v[0:1]
	v_fma_f64 v[2:3], v[7:8], v[9:10], v[2:3]
	v_fma_f64 v[0:1], -v[7:8], v[11:12], v[0:1]
	s_delay_alu instid0(VALU_DEP_2)
	v_fma_f64 v[2:3], v[5:6], v[11:12], v[2:3]
	global_store_b128 v[13:14], v[0:3], off
.LBB120_43:
	s_nop 0
	s_sendmsg sendmsg(MSG_DEALLOC_VGPRS)
	s_endpgm
	.section	.rodata,"a",@progbits
	.p2align	6, 0x0
	.amdhsa_kernel _ZN9rocsparseL20bsrxmvn_17_32_kernelILj25E21rocsparse_complex_numIdEliS2_S2_S2_EEvT2_20rocsparse_direction_NS_24const_host_device_scalarIT0_EES3_PKS3_PKT1_SC_S9_PKT3_PKT4_S7_PT5_21rocsparse_index_base_b
		.amdhsa_group_segment_fixed_size 20000
		.amdhsa_private_segment_fixed_size 0
		.amdhsa_kernarg_size 112
		.amdhsa_user_sgpr_count 15
		.amdhsa_user_sgpr_dispatch_ptr 1
		.amdhsa_user_sgpr_queue_ptr 0
		.amdhsa_user_sgpr_kernarg_segment_ptr 1
		.amdhsa_user_sgpr_dispatch_id 0
		.amdhsa_user_sgpr_private_segment_size 0
		.amdhsa_wavefront_size32 1
		.amdhsa_uses_dynamic_stack 0
		.amdhsa_enable_private_segment 0
		.amdhsa_system_sgpr_workgroup_id_x 1
		.amdhsa_system_sgpr_workgroup_id_y 0
		.amdhsa_system_sgpr_workgroup_id_z 0
		.amdhsa_system_sgpr_workgroup_info 0
		.amdhsa_system_vgpr_workitem_id 2
		.amdhsa_next_free_vgpr 26
		.amdhsa_next_free_sgpr 22
		.amdhsa_reserve_vcc 1
		.amdhsa_float_round_mode_32 0
		.amdhsa_float_round_mode_16_64 0
		.amdhsa_float_denorm_mode_32 3
		.amdhsa_float_denorm_mode_16_64 3
		.amdhsa_dx10_clamp 1
		.amdhsa_ieee_mode 1
		.amdhsa_fp16_overflow 0
		.amdhsa_workgroup_processor_mode 1
		.amdhsa_memory_ordered 1
		.amdhsa_forward_progress 0
		.amdhsa_shared_vgpr_count 0
		.amdhsa_exception_fp_ieee_invalid_op 0
		.amdhsa_exception_fp_denorm_src 0
		.amdhsa_exception_fp_ieee_div_zero 0
		.amdhsa_exception_fp_ieee_overflow 0
		.amdhsa_exception_fp_ieee_underflow 0
		.amdhsa_exception_fp_ieee_inexact 0
		.amdhsa_exception_int_div_zero 0
	.end_amdhsa_kernel
	.section	.text._ZN9rocsparseL20bsrxmvn_17_32_kernelILj25E21rocsparse_complex_numIdEliS2_S2_S2_EEvT2_20rocsparse_direction_NS_24const_host_device_scalarIT0_EES3_PKS3_PKT1_SC_S9_PKT3_PKT4_S7_PT5_21rocsparse_index_base_b,"axG",@progbits,_ZN9rocsparseL20bsrxmvn_17_32_kernelILj25E21rocsparse_complex_numIdEliS2_S2_S2_EEvT2_20rocsparse_direction_NS_24const_host_device_scalarIT0_EES3_PKS3_PKT1_SC_S9_PKT3_PKT4_S7_PT5_21rocsparse_index_base_b,comdat
.Lfunc_end120:
	.size	_ZN9rocsparseL20bsrxmvn_17_32_kernelILj25E21rocsparse_complex_numIdEliS2_S2_S2_EEvT2_20rocsparse_direction_NS_24const_host_device_scalarIT0_EES3_PKS3_PKT1_SC_S9_PKT3_PKT4_S7_PT5_21rocsparse_index_base_b, .Lfunc_end120-_ZN9rocsparseL20bsrxmvn_17_32_kernelILj25E21rocsparse_complex_numIdEliS2_S2_S2_EEvT2_20rocsparse_direction_NS_24const_host_device_scalarIT0_EES3_PKS3_PKT1_SC_S9_PKT3_PKT4_S7_PT5_21rocsparse_index_base_b
                                        ; -- End function
	.section	.AMDGPU.csdata,"",@progbits
; Kernel info:
; codeLenInByte = 2068
; NumSgprs: 24
; NumVgprs: 26
; ScratchSize: 0
; MemoryBound: 0
; FloatMode: 240
; IeeeMode: 1
; LDSByteSize: 20000 bytes/workgroup (compile time only)
; SGPRBlocks: 2
; VGPRBlocks: 3
; NumSGPRsForWavesPerEU: 24
; NumVGPRsForWavesPerEU: 26
; Occupancy: 15
; WaveLimiterHint : 1
; COMPUTE_PGM_RSRC2:SCRATCH_EN: 0
; COMPUTE_PGM_RSRC2:USER_SGPR: 15
; COMPUTE_PGM_RSRC2:TRAP_HANDLER: 0
; COMPUTE_PGM_RSRC2:TGID_X_EN: 1
; COMPUTE_PGM_RSRC2:TGID_Y_EN: 0
; COMPUTE_PGM_RSRC2:TGID_Z_EN: 0
; COMPUTE_PGM_RSRC2:TIDIG_COMP_CNT: 2
	.section	.text._ZN9rocsparseL20bsrxmvn_17_32_kernelILj26E21rocsparse_complex_numIdEliS2_S2_S2_EEvT2_20rocsparse_direction_NS_24const_host_device_scalarIT0_EES3_PKS3_PKT1_SC_S9_PKT3_PKT4_S7_PT5_21rocsparse_index_base_b,"axG",@progbits,_ZN9rocsparseL20bsrxmvn_17_32_kernelILj26E21rocsparse_complex_numIdEliS2_S2_S2_EEvT2_20rocsparse_direction_NS_24const_host_device_scalarIT0_EES3_PKS3_PKT1_SC_S9_PKT3_PKT4_S7_PT5_21rocsparse_index_base_b,comdat
	.globl	_ZN9rocsparseL20bsrxmvn_17_32_kernelILj26E21rocsparse_complex_numIdEliS2_S2_S2_EEvT2_20rocsparse_direction_NS_24const_host_device_scalarIT0_EES3_PKS3_PKT1_SC_S9_PKT3_PKT4_S7_PT5_21rocsparse_index_base_b ; -- Begin function _ZN9rocsparseL20bsrxmvn_17_32_kernelILj26E21rocsparse_complex_numIdEliS2_S2_S2_EEvT2_20rocsparse_direction_NS_24const_host_device_scalarIT0_EES3_PKS3_PKT1_SC_S9_PKT3_PKT4_S7_PT5_21rocsparse_index_base_b
	.p2align	8
	.type	_ZN9rocsparseL20bsrxmvn_17_32_kernelILj26E21rocsparse_complex_numIdEliS2_S2_S2_EEvT2_20rocsparse_direction_NS_24const_host_device_scalarIT0_EES3_PKS3_PKT1_SC_S9_PKT3_PKT4_S7_PT5_21rocsparse_index_base_b,@function
_ZN9rocsparseL20bsrxmvn_17_32_kernelILj26E21rocsparse_complex_numIdEliS2_S2_S2_EEvT2_20rocsparse_direction_NS_24const_host_device_scalarIT0_EES3_PKS3_PKT1_SC_S9_PKT3_PKT4_S7_PT5_21rocsparse_index_base_b: ; @_ZN9rocsparseL20bsrxmvn_17_32_kernelILj26E21rocsparse_complex_numIdEliS2_S2_S2_EEvT2_20rocsparse_direction_NS_24const_host_device_scalarIT0_EES3_PKS3_PKT1_SC_S9_PKT3_PKT4_S7_PT5_21rocsparse_index_base_b
; %bb.0:
	s_mov_b32 s12, s15
	s_clause 0x1
	s_load_b64 s[14:15], s[2:3], 0x68
	s_load_b128 s[4:7], s[2:3], 0x8
	s_load_b64 s[16:17], s[0:1], 0x4
	s_mov_b64 s[0:1], src_shared_base
	v_and_b32_e32 v4, 0x3ff, v0
	s_load_b128 s[8:11], s[2:3], 0x50
	v_bfe_u32 v2, v0, 10, 10
	v_bfe_u32 v0, v0, 20, 10
	s_waitcnt lgkmcnt(0)
	s_bitcmp1_b32 s15, 0
	v_mov_b32_e32 v12, s7
	s_cselect_b32 s0, -1, 0
	v_mov_b32_e32 v11, s6
	s_and_b32 vcc_lo, s0, exec_lo
	s_cselect_b32 s13, s1, s5
	s_lshr_b32 s15, s16, 16
	v_mov_b32_e32 v6, s13
	s_mul_i32 s15, s15, s17
	s_xor_b32 s6, s0, -1
	v_mul_lo_u32 v1, s15, v4
	s_delay_alu instid0(VALU_DEP_1) | instskip(SKIP_1) | instid1(VALU_DEP_2)
	v_mad_u32_u24 v1, v2, s17, v1
	v_dual_mov_b32 v2, s8 :: v_dual_mov_b32 v3, s9
	v_add_lshl_u32 v7, v1, v0, 3
	v_dual_mov_b32 v0, s4 :: v_dual_mov_b32 v1, s5
	ds_store_b64 v7, v[0:1] offset:16224
	ds_store_b64 v7, v[2:3] offset:10816
	v_add_nc_u32_e32 v5, 0x3f60, v7
	v_add_nc_u32_e32 v0, 0x2a40, v7
	s_delay_alu instid0(VALU_DEP_2)
	v_cndmask_b32_e64 v5, s4, v5, s0
	flat_load_b64 v[9:10], v[5:6]
	s_cbranch_vccnz .LBB121_2
; %bb.1:
	v_dual_mov_b32 v1, s4 :: v_dual_mov_b32 v2, s5
	flat_load_b64 v[11:12], v[1:2] offset:8
.LBB121_2:
	s_and_b32 s4, s0, exec_lo
	s_cselect_b32 s1, s1, s9
	v_cndmask_b32_e64 v0, s8, v0, s0
	v_mov_b32_e32 v1, s1
	v_dual_mov_b32 v7, s10 :: v_dual_mov_b32 v8, s11
	s_and_not1_b32 vcc_lo, exec_lo, s6
	flat_load_b64 v[5:6], v[0:1]
	s_cbranch_vccnz .LBB121_4
; %bb.3:
	v_dual_mov_b32 v0, s8 :: v_dual_mov_b32 v1, s9
	flat_load_b64 v[7:8], v[0:1] offset:8
.LBB121_4:
	s_waitcnt vmcnt(1) lgkmcnt(1)
	v_cmp_eq_f64_e32 vcc_lo, 0, v[9:10]
	v_cmp_eq_f64_e64 s0, 0, v[11:12]
	s_delay_alu instid0(VALU_DEP_1)
	s_and_b32 s4, vcc_lo, s0
	s_mov_b32 s0, -1
	s_and_saveexec_b32 s1, s4
	s_cbranch_execz .LBB121_6
; %bb.5:
	s_waitcnt vmcnt(0) lgkmcnt(0)
	v_cmp_neq_f64_e32 vcc_lo, 1.0, v[5:6]
	v_cmp_neq_f64_e64 s0, 0, v[7:8]
	s_delay_alu instid0(VALU_DEP_1) | instskip(NEXT) | instid1(SALU_CYCLE_1)
	s_or_b32 s0, vcc_lo, s0
	s_or_not1_b32 s0, s0, exec_lo
.LBB121_6:
	s_or_b32 exec_lo, exec_lo, s1
	s_and_saveexec_b32 s1, s0
	s_cbranch_execz .LBB121_43
; %bb.7:
	s_clause 0x1
	s_load_b128 s[4:7], s[2:3], 0x20
	s_load_b64 s[8:9], s[2:3], 0x30
	s_waitcnt lgkmcnt(0)
	s_cmp_eq_u64 s[4:5], 0
	s_cbranch_scc1 .LBB121_9
; %bb.8:
	s_ashr_i32 s13, s12, 31
	s_delay_alu instid0(SALU_CYCLE_1) | instskip(NEXT) | instid1(SALU_CYCLE_1)
	s_lshl_b64 s[0:1], s[12:13], 2
	s_add_u32 s0, s4, s0
	s_addc_u32 s1, s5, s1
	s_load_b32 s0, s[0:1], 0x0
	s_waitcnt lgkmcnt(0)
	s_sub_i32 s12, s0, s14
.LBB121_9:
	s_load_b32 s1, s[2:3], 0x4
	v_mul_u32_u24_e32 v0, 0x9d9, v4
	v_dual_mov_b32 v2, 0 :: v_dual_lshlrev_b32 v17, 4, v4
	v_mov_b32_e32 v3, 0
	s_delay_alu instid0(VALU_DEP_3) | instskip(NEXT) | instid1(VALU_DEP_1)
	v_lshrrev_b32_e32 v13, 16, v0
	v_mul_lo_u16 v0, v13, 26
	s_delay_alu instid0(VALU_DEP_1) | instskip(NEXT) | instid1(VALU_DEP_4)
	v_sub_nc_u16 v16, v4, v0
	v_dual_mov_b32 v0, v2 :: v_dual_mov_b32 v1, v3
	s_waitcnt lgkmcnt(0)
	s_cmp_eq_u32 s1, 1
	s_cselect_b32 s0, -1, 0
	s_cmp_lg_u32 s1, 1
	s_cselect_b32 s20, -1, 0
	s_ashr_i32 s13, s12, 31
	s_delay_alu instid0(SALU_CYCLE_1) | instskip(NEXT) | instid1(SALU_CYCLE_1)
	s_lshl_b64 s[4:5], s[12:13], 3
	s_add_u32 s6, s6, s4
	s_addc_u32 s7, s7, s5
	s_add_u32 s1, s6, 8
	s_addc_u32 s10, s7, 0
	;; [unrolled: 2-line block ×3, first 2 shown]
	s_cmp_eq_u64 s[8:9], 0
	s_load_b64 s[8:9], s[2:3], 0x60
	s_cselect_b32 s5, s10, s5
	s_cselect_b32 s4, s1, s4
	s_load_b64 s[18:19], s[6:7], 0x0
	s_load_b64 s[10:11], s[4:5], 0x0
	s_waitcnt lgkmcnt(0)
	v_cmp_ge_i64_e64 s1, s[18:19], s[10:11]
	s_delay_alu instid0(VALU_DEP_1)
	s_and_b32 vcc_lo, exec_lo, s1
	s_cbranch_vccnz .LBB121_14
; %bb.10:
	s_clause 0x1
	s_load_b128 s[4:7], s[2:3], 0x38
	s_load_b64 s[2:3], s[2:3], 0x48
	s_sub_u32 s10, s10, s14
	s_subb_u32 s11, s11, 0
	s_sub_u32 s16, s18, s14
	s_subb_u32 s17, s19, 0
	v_and_b32_e32 v0, 0xffff, v16
	v_dual_mov_b32 v2, 0 :: v_dual_and_b32 v1, 0xffff, v13
	s_mul_hi_u32 s1, s16, 0x2a40
	s_mul_i32 s21, s17, 0x2a40
	s_mul_i32 s13, s16, 0x2a40
	v_mov_b32_e32 v3, 0
	s_add_i32 s1, s1, s21
	s_mov_b32 s15, 0
	v_cndmask_b32_e64 v13, v0, v1, s0
	s_delay_alu instid0(VALU_DEP_2)
	v_dual_mov_b32 v0, v2 :: v_dual_mov_b32 v1, v3
	s_waitcnt lgkmcnt(0)
	s_add_u32 s13, s6, s13
	s_addc_u32 s21, s7, s1
	s_lshl_b64 s[0:1], s[18:19], 2
	s_lshl_b64 s[6:7], s[14:15], 2
	v_add_co_u32 v14, s13, s13, v17
	s_delay_alu instid0(VALU_DEP_1)
	v_add_co_ci_u32_e64 v15, null, s21, 0, s13
	s_sub_u32 s0, s0, s6
	s_subb_u32 s1, s1, s7
	s_add_u32 s0, s4, s0
	s_addc_u32 s1, s5, s1
	s_set_inst_prefetch_distance 0x1
	s_branch .LBB121_12
	.p2align	6
.LBB121_11:                             ;   in Loop: Header=BB121_12 Depth=1
	s_add_u32 s16, s16, 1
	s_addc_u32 s17, s17, 0
	s_add_u32 s0, s0, 4
	v_cmp_lt_i64_e64 s4, s[16:17], s[10:11]
	s_addc_u32 s1, s1, 0
	s_delay_alu instid0(VALU_DEP_1)
	s_and_b32 vcc_lo, exec_lo, s4
	s_cbranch_vccz .LBB121_14
.LBB121_12:                             ; =>This Inner Loop Header: Depth=1
	v_cmp_ge_i64_e64 s4, s[16:17], s[10:11]
	s_delay_alu instid0(VALU_DEP_1)
	s_and_b32 vcc_lo, exec_lo, s4
	s_cbranch_vccnz .LBB121_11
; %bb.13:                               ;   in Loop: Header=BB121_12 Depth=1
	s_load_b32 s4, s[0:1], 0x0
	s_waitcnt lgkmcnt(0)
	s_sub_i32 s4, s4, s14
	s_delay_alu instid0(SALU_CYCLE_1) | instskip(NEXT) | instid1(VALU_DEP_1)
	v_mad_u64_u32 v[18:19], null, s4, 26, v[13:14]
	v_ashrrev_i32_e32 v19, 31, v18
	s_delay_alu instid0(VALU_DEP_1) | instskip(NEXT) | instid1(VALU_DEP_1)
	v_lshlrev_b64 v[18:19], 4, v[18:19]
	v_add_co_u32 v22, vcc_lo, s2, v18
	s_delay_alu instid0(VALU_DEP_2)
	v_add_co_ci_u32_e32 v23, vcc_lo, s3, v19, vcc_lo
	global_load_b128 v[18:21], v[14:15], off
	global_load_b128 v[22:25], v[22:23], off
	v_add_co_u32 v14, vcc_lo, 0x2a40, v14
	v_add_co_ci_u32_e32 v15, vcc_lo, 0, v15, vcc_lo
	s_waitcnt vmcnt(0)
	v_fma_f64 v[0:1], v[18:19], v[22:23], v[0:1]
	v_fma_f64 v[2:3], v[20:21], v[22:23], v[2:3]
	s_delay_alu instid0(VALU_DEP_2) | instskip(NEXT) | instid1(VALU_DEP_2)
	v_fma_f64 v[0:1], -v[20:21], v[24:25], v[0:1]
	v_fma_f64 v[2:3], v[18:19], v[24:25], v[2:3]
	s_branch .LBB121_11
.LBB121_14:
	s_set_inst_prefetch_distance 0x2
	s_and_b32 vcc_lo, exec_lo, s20
	ds_store_b128 v17, v[0:3]
	s_waitcnt vmcnt(0) lgkmcnt(0)
	s_barrier
	buffer_gl0_inv
	s_cbranch_vccz .LBB121_26
; %bb.15:
	s_mov_b32 s0, exec_lo
	v_cmpx_gt_u16_e32 10, v16
	s_cbranch_execz .LBB121_17
; %bb.16:
	ds_load_b128 v[18:21], v17 offset:256
	ds_load_b128 v[22:25], v17
	s_waitcnt lgkmcnt(0)
	v_add_f64 v[18:19], v[18:19], v[22:23]
	v_add_f64 v[20:21], v[20:21], v[24:25]
	ds_store_b128 v17, v[18:21]
.LBB121_17:
	s_or_b32 exec_lo, exec_lo, s0
	s_delay_alu instid0(SALU_CYCLE_1)
	s_mov_b32 s0, exec_lo
	s_waitcnt lgkmcnt(0)
	s_barrier
	buffer_gl0_inv
	v_cmpx_gt_u16_e32 8, v16
	s_cbranch_execz .LBB121_19
; %bb.18:
	ds_load_b128 v[18:21], v17 offset:128
	ds_load_b128 v[22:25], v17
	s_waitcnt lgkmcnt(0)
	v_add_f64 v[18:19], v[18:19], v[22:23]
	v_add_f64 v[20:21], v[20:21], v[24:25]
	ds_store_b128 v17, v[18:21]
.LBB121_19:
	s_or_b32 exec_lo, exec_lo, s0
	s_delay_alu instid0(SALU_CYCLE_1)
	s_mov_b32 s0, exec_lo
	s_waitcnt lgkmcnt(0)
	s_barrier
	buffer_gl0_inv
	;; [unrolled: 16-line block ×3, first 2 shown]
	v_cmpx_gt_u16_e32 2, v16
	s_cbranch_execz .LBB121_23
; %bb.22:
	ds_load_b128 v[13:16], v17
	ds_load_b128 v[18:21], v17 offset:32
	s_waitcnt lgkmcnt(0)
	v_add_f64 v[13:14], v[18:19], v[13:14]
	v_add_f64 v[15:16], v[20:21], v[15:16]
	ds_store_b128 v17, v[13:16]
.LBB121_23:
	s_or_b32 exec_lo, exec_lo, s0
	v_dual_mov_b32 v16, v3 :: v_dual_mov_b32 v15, v2
	v_dual_mov_b32 v14, v1 :: v_dual_mov_b32 v13, v0
	s_mov_b32 s0, exec_lo
	s_waitcnt lgkmcnt(0)
	s_barrier
	buffer_gl0_inv
	v_cmpx_gt_u32_e32 26, v4
	s_cbranch_execz .LBB121_25
; %bb.24:
	v_mul_u32_u24_e32 v13, 26, v4
	s_delay_alu instid0(VALU_DEP_1)
	v_lshlrev_b32_e32 v18, 4, v13
	ds_load_b128 v[13:16], v18
	ds_load_b128 v[18:21], v18 offset:16
	s_waitcnt lgkmcnt(0)
	v_add_f64 v[13:14], v[18:19], v[13:14]
	v_add_f64 v[15:16], v[20:21], v[15:16]
.LBB121_25:
	s_or_b32 exec_lo, exec_lo, s0
	s_branch .LBB121_38
.LBB121_26:
                                        ; implicit-def: $vgpr15_vgpr16
                                        ; implicit-def: $vgpr13_vgpr14
	s_cbranch_execz .LBB121_38
; %bb.27:
	s_mov_b32 s0, exec_lo
	v_cmpx_gt_u32_e32 0x104, v4
	s_cbranch_execz .LBB121_29
; %bb.28:
	ds_load_b128 v[13:16], v17 offset:6656
	ds_load_b128 v[18:21], v17
	s_waitcnt lgkmcnt(0)
	v_add_f64 v[13:14], v[13:14], v[18:19]
	v_add_f64 v[15:16], v[15:16], v[20:21]
	ds_store_b128 v17, v[13:16]
.LBB121_29:
	s_or_b32 exec_lo, exec_lo, s0
	s_delay_alu instid0(SALU_CYCLE_1)
	s_mov_b32 s0, exec_lo
	s_waitcnt lgkmcnt(0)
	s_barrier
	buffer_gl0_inv
	v_cmpx_gt_u32_e32 0xd0, v4
	s_cbranch_execz .LBB121_31
; %bb.30:
	ds_load_b128 v[13:16], v17 offset:3328
	ds_load_b128 v[18:21], v17
	s_waitcnt lgkmcnt(0)
	v_add_f64 v[13:14], v[13:14], v[18:19]
	v_add_f64 v[15:16], v[15:16], v[20:21]
	ds_store_b128 v17, v[13:16]
.LBB121_31:
	s_or_b32 exec_lo, exec_lo, s0
	s_delay_alu instid0(SALU_CYCLE_1)
	s_mov_b32 s0, exec_lo
	s_waitcnt lgkmcnt(0)
	s_barrier
	buffer_gl0_inv
	;; [unrolled: 16-line block ×3, first 2 shown]
	v_cmpx_gt_u32_e32 52, v4
	s_cbranch_execz .LBB121_35
; %bb.34:
	ds_load_b128 v[13:16], v17 offset:832
	ds_load_b128 v[18:21], v17
	s_waitcnt lgkmcnt(0)
	v_add_f64 v[13:14], v[13:14], v[18:19]
	v_add_f64 v[15:16], v[15:16], v[20:21]
	ds_store_b128 v17, v[13:16]
.LBB121_35:
	s_or_b32 exec_lo, exec_lo, s0
	s_delay_alu instid0(SALU_CYCLE_1)
	s_mov_b32 s0, exec_lo
	s_waitcnt lgkmcnt(0)
	buffer_gl0_inv
	v_cmpx_gt_u32_e32 26, v4
	s_cbranch_execz .LBB121_37
; %bb.36:
	ds_load_b128 v[0:3], v17 offset:416
	ds_load_b128 v[13:16], v17
	s_waitcnt lgkmcnt(0)
	v_add_f64 v[0:1], v[0:1], v[13:14]
	v_add_f64 v[2:3], v[2:3], v[15:16]
.LBB121_37:
	s_or_b32 exec_lo, exec_lo, s0
	s_delay_alu instid0(VALU_DEP_1) | instskip(NEXT) | instid1(VALU_DEP_3)
	v_dual_mov_b32 v16, v3 :: v_dual_mov_b32 v15, v2
	v_dual_mov_b32 v14, v1 :: v_dual_mov_b32 v13, v0
.LBB121_38:
	v_cmp_gt_u32_e32 vcc_lo, 26, v4
	s_and_b32 exec_lo, exec_lo, vcc_lo
	s_cbranch_execz .LBB121_43
; %bb.39:
	s_delay_alu instid0(VALU_DEP_2) | instskip(SKIP_3) | instid1(VALU_DEP_4)
	v_mul_f64 v[0:1], v[15:16], -v[11:12]
	v_mul_f64 v[2:3], v[9:10], v[15:16]
	v_cmp_eq_f64_e32 vcc_lo, 0, v[5:6]
	v_cmp_eq_f64_e64 s0, 0, v[7:8]
	v_fma_f64 v[0:1], v[9:10], v[13:14], v[0:1]
	s_delay_alu instid0(VALU_DEP_4) | instskip(NEXT) | instid1(VALU_DEP_3)
	v_fma_f64 v[2:3], v[11:12], v[13:14], v[2:3]
	s_and_b32 s0, vcc_lo, s0
	s_delay_alu instid0(SALU_CYCLE_1) | instskip(NEXT) | instid1(SALU_CYCLE_1)
	s_and_saveexec_b32 s1, s0
	s_xor_b32 s0, exec_lo, s1
	s_cbranch_execz .LBB121_41
; %bb.40:
	v_mad_u64_u32 v[5:6], null, s12, 26, v[4:5]
	v_mov_b32_e32 v6, 0
                                        ; implicit-def: $vgpr7_vgpr8
	s_delay_alu instid0(VALU_DEP_1) | instskip(NEXT) | instid1(VALU_DEP_1)
	v_lshlrev_b64 v[4:5], 4, v[5:6]
	v_add_co_u32 v4, vcc_lo, s8, v4
	s_delay_alu instid0(VALU_DEP_2)
	v_add_co_ci_u32_e32 v5, vcc_lo, s9, v5, vcc_lo
	global_store_b128 v[4:5], v[0:3], off
                                        ; implicit-def: $vgpr4
                                        ; implicit-def: $vgpr5_vgpr6
                                        ; implicit-def: $vgpr0_vgpr1
.LBB121_41:
	s_and_not1_saveexec_b32 s0, s0
	s_cbranch_execz .LBB121_43
; %bb.42:
	v_mad_u64_u32 v[9:10], null, s12, 26, v[4:5]
	v_mov_b32_e32 v10, 0
	s_delay_alu instid0(VALU_DEP_1) | instskip(NEXT) | instid1(VALU_DEP_1)
	v_lshlrev_b64 v[9:10], 4, v[9:10]
	v_add_co_u32 v13, vcc_lo, s8, v9
	s_delay_alu instid0(VALU_DEP_2) | instskip(SKIP_4) | instid1(VALU_DEP_2)
	v_add_co_ci_u32_e32 v14, vcc_lo, s9, v10, vcc_lo
	global_load_b128 v[9:12], v[13:14], off
	s_waitcnt vmcnt(0)
	v_fma_f64 v[0:1], v[5:6], v[9:10], v[0:1]
	v_fma_f64 v[2:3], v[7:8], v[9:10], v[2:3]
	v_fma_f64 v[0:1], -v[7:8], v[11:12], v[0:1]
	s_delay_alu instid0(VALU_DEP_2)
	v_fma_f64 v[2:3], v[5:6], v[11:12], v[2:3]
	global_store_b128 v[13:14], v[0:3], off
.LBB121_43:
	s_nop 0
	s_sendmsg sendmsg(MSG_DEALLOC_VGPRS)
	s_endpgm
	.section	.rodata,"a",@progbits
	.p2align	6, 0x0
	.amdhsa_kernel _ZN9rocsparseL20bsrxmvn_17_32_kernelILj26E21rocsparse_complex_numIdEliS2_S2_S2_EEvT2_20rocsparse_direction_NS_24const_host_device_scalarIT0_EES3_PKS3_PKT1_SC_S9_PKT3_PKT4_S7_PT5_21rocsparse_index_base_b
		.amdhsa_group_segment_fixed_size 21632
		.amdhsa_private_segment_fixed_size 0
		.amdhsa_kernarg_size 112
		.amdhsa_user_sgpr_count 15
		.amdhsa_user_sgpr_dispatch_ptr 1
		.amdhsa_user_sgpr_queue_ptr 0
		.amdhsa_user_sgpr_kernarg_segment_ptr 1
		.amdhsa_user_sgpr_dispatch_id 0
		.amdhsa_user_sgpr_private_segment_size 0
		.amdhsa_wavefront_size32 1
		.amdhsa_uses_dynamic_stack 0
		.amdhsa_enable_private_segment 0
		.amdhsa_system_sgpr_workgroup_id_x 1
		.amdhsa_system_sgpr_workgroup_id_y 0
		.amdhsa_system_sgpr_workgroup_id_z 0
		.amdhsa_system_sgpr_workgroup_info 0
		.amdhsa_system_vgpr_workitem_id 2
		.amdhsa_next_free_vgpr 26
		.amdhsa_next_free_sgpr 22
		.amdhsa_reserve_vcc 1
		.amdhsa_float_round_mode_32 0
		.amdhsa_float_round_mode_16_64 0
		.amdhsa_float_denorm_mode_32 3
		.amdhsa_float_denorm_mode_16_64 3
		.amdhsa_dx10_clamp 1
		.amdhsa_ieee_mode 1
		.amdhsa_fp16_overflow 0
		.amdhsa_workgroup_processor_mode 1
		.amdhsa_memory_ordered 1
		.amdhsa_forward_progress 0
		.amdhsa_shared_vgpr_count 0
		.amdhsa_exception_fp_ieee_invalid_op 0
		.amdhsa_exception_fp_denorm_src 0
		.amdhsa_exception_fp_ieee_div_zero 0
		.amdhsa_exception_fp_ieee_overflow 0
		.amdhsa_exception_fp_ieee_underflow 0
		.amdhsa_exception_fp_ieee_inexact 0
		.amdhsa_exception_int_div_zero 0
	.end_amdhsa_kernel
	.section	.text._ZN9rocsparseL20bsrxmvn_17_32_kernelILj26E21rocsparse_complex_numIdEliS2_S2_S2_EEvT2_20rocsparse_direction_NS_24const_host_device_scalarIT0_EES3_PKS3_PKT1_SC_S9_PKT3_PKT4_S7_PT5_21rocsparse_index_base_b,"axG",@progbits,_ZN9rocsparseL20bsrxmvn_17_32_kernelILj26E21rocsparse_complex_numIdEliS2_S2_S2_EEvT2_20rocsparse_direction_NS_24const_host_device_scalarIT0_EES3_PKS3_PKT1_SC_S9_PKT3_PKT4_S7_PT5_21rocsparse_index_base_b,comdat
.Lfunc_end121:
	.size	_ZN9rocsparseL20bsrxmvn_17_32_kernelILj26E21rocsparse_complex_numIdEliS2_S2_S2_EEvT2_20rocsparse_direction_NS_24const_host_device_scalarIT0_EES3_PKS3_PKT1_SC_S9_PKT3_PKT4_S7_PT5_21rocsparse_index_base_b, .Lfunc_end121-_ZN9rocsparseL20bsrxmvn_17_32_kernelILj26E21rocsparse_complex_numIdEliS2_S2_S2_EEvT2_20rocsparse_direction_NS_24const_host_device_scalarIT0_EES3_PKS3_PKT1_SC_S9_PKT3_PKT4_S7_PT5_21rocsparse_index_base_b
                                        ; -- End function
	.section	.AMDGPU.csdata,"",@progbits
; Kernel info:
; codeLenInByte = 2068
; NumSgprs: 24
; NumVgprs: 26
; ScratchSize: 0
; MemoryBound: 0
; FloatMode: 240
; IeeeMode: 1
; LDSByteSize: 21632 bytes/workgroup (compile time only)
; SGPRBlocks: 2
; VGPRBlocks: 3
; NumSGPRsForWavesPerEU: 24
; NumVGPRsForWavesPerEU: 26
; Occupancy: 11
; WaveLimiterHint : 1
; COMPUTE_PGM_RSRC2:SCRATCH_EN: 0
; COMPUTE_PGM_RSRC2:USER_SGPR: 15
; COMPUTE_PGM_RSRC2:TRAP_HANDLER: 0
; COMPUTE_PGM_RSRC2:TGID_X_EN: 1
; COMPUTE_PGM_RSRC2:TGID_Y_EN: 0
; COMPUTE_PGM_RSRC2:TGID_Z_EN: 0
; COMPUTE_PGM_RSRC2:TIDIG_COMP_CNT: 2
	.section	.text._ZN9rocsparseL20bsrxmvn_17_32_kernelILj27E21rocsparse_complex_numIdEliS2_S2_S2_EEvT2_20rocsparse_direction_NS_24const_host_device_scalarIT0_EES3_PKS3_PKT1_SC_S9_PKT3_PKT4_S7_PT5_21rocsparse_index_base_b,"axG",@progbits,_ZN9rocsparseL20bsrxmvn_17_32_kernelILj27E21rocsparse_complex_numIdEliS2_S2_S2_EEvT2_20rocsparse_direction_NS_24const_host_device_scalarIT0_EES3_PKS3_PKT1_SC_S9_PKT3_PKT4_S7_PT5_21rocsparse_index_base_b,comdat
	.globl	_ZN9rocsparseL20bsrxmvn_17_32_kernelILj27E21rocsparse_complex_numIdEliS2_S2_S2_EEvT2_20rocsparse_direction_NS_24const_host_device_scalarIT0_EES3_PKS3_PKT1_SC_S9_PKT3_PKT4_S7_PT5_21rocsparse_index_base_b ; -- Begin function _ZN9rocsparseL20bsrxmvn_17_32_kernelILj27E21rocsparse_complex_numIdEliS2_S2_S2_EEvT2_20rocsparse_direction_NS_24const_host_device_scalarIT0_EES3_PKS3_PKT1_SC_S9_PKT3_PKT4_S7_PT5_21rocsparse_index_base_b
	.p2align	8
	.type	_ZN9rocsparseL20bsrxmvn_17_32_kernelILj27E21rocsparse_complex_numIdEliS2_S2_S2_EEvT2_20rocsparse_direction_NS_24const_host_device_scalarIT0_EES3_PKS3_PKT1_SC_S9_PKT3_PKT4_S7_PT5_21rocsparse_index_base_b,@function
_ZN9rocsparseL20bsrxmvn_17_32_kernelILj27E21rocsparse_complex_numIdEliS2_S2_S2_EEvT2_20rocsparse_direction_NS_24const_host_device_scalarIT0_EES3_PKS3_PKT1_SC_S9_PKT3_PKT4_S7_PT5_21rocsparse_index_base_b: ; @_ZN9rocsparseL20bsrxmvn_17_32_kernelILj27E21rocsparse_complex_numIdEliS2_S2_S2_EEvT2_20rocsparse_direction_NS_24const_host_device_scalarIT0_EES3_PKS3_PKT1_SC_S9_PKT3_PKT4_S7_PT5_21rocsparse_index_base_b
; %bb.0:
	s_mov_b32 s12, s15
	s_clause 0x1
	s_load_b64 s[14:15], s[2:3], 0x68
	s_load_b128 s[4:7], s[2:3], 0x8
	s_load_b64 s[16:17], s[0:1], 0x4
	s_mov_b64 s[0:1], src_shared_base
	v_and_b32_e32 v4, 0x3ff, v0
	s_load_b128 s[8:11], s[2:3], 0x50
	v_bfe_u32 v2, v0, 10, 10
	v_bfe_u32 v0, v0, 20, 10
	s_waitcnt lgkmcnt(0)
	s_bitcmp1_b32 s15, 0
	v_mov_b32_e32 v12, s7
	s_cselect_b32 s0, -1, 0
	v_mov_b32_e32 v11, s6
	s_and_b32 vcc_lo, s0, exec_lo
	s_cselect_b32 s13, s1, s5
	s_lshr_b32 s15, s16, 16
	v_mov_b32_e32 v6, s13
	s_mul_i32 s15, s15, s17
	s_xor_b32 s6, s0, -1
	v_mul_lo_u32 v1, s15, v4
	s_delay_alu instid0(VALU_DEP_1) | instskip(SKIP_1) | instid1(VALU_DEP_2)
	v_mad_u32_u24 v1, v2, s17, v1
	v_dual_mov_b32 v2, s8 :: v_dual_mov_b32 v3, s9
	v_add_lshl_u32 v7, v1, v0, 3
	v_dual_mov_b32 v0, s4 :: v_dual_mov_b32 v1, s5
	ds_store_b64 v7, v[0:1] offset:17496
	ds_store_b64 v7, v[2:3] offset:11664
	v_add_nc_u32_e32 v5, 0x4458, v7
	v_add_nc_u32_e32 v0, 0x2d90, v7
	s_delay_alu instid0(VALU_DEP_2)
	v_cndmask_b32_e64 v5, s4, v5, s0
	flat_load_b64 v[9:10], v[5:6]
	s_cbranch_vccnz .LBB122_2
; %bb.1:
	v_dual_mov_b32 v1, s4 :: v_dual_mov_b32 v2, s5
	flat_load_b64 v[11:12], v[1:2] offset:8
.LBB122_2:
	s_and_b32 s4, s0, exec_lo
	s_cselect_b32 s1, s1, s9
	v_cndmask_b32_e64 v0, s8, v0, s0
	v_mov_b32_e32 v1, s1
	v_dual_mov_b32 v7, s10 :: v_dual_mov_b32 v8, s11
	s_and_not1_b32 vcc_lo, exec_lo, s6
	flat_load_b64 v[5:6], v[0:1]
	s_cbranch_vccnz .LBB122_4
; %bb.3:
	v_dual_mov_b32 v0, s8 :: v_dual_mov_b32 v1, s9
	flat_load_b64 v[7:8], v[0:1] offset:8
.LBB122_4:
	s_waitcnt vmcnt(1) lgkmcnt(1)
	v_cmp_eq_f64_e32 vcc_lo, 0, v[9:10]
	v_cmp_eq_f64_e64 s0, 0, v[11:12]
	s_delay_alu instid0(VALU_DEP_1)
	s_and_b32 s4, vcc_lo, s0
	s_mov_b32 s0, -1
	s_and_saveexec_b32 s1, s4
	s_cbranch_execz .LBB122_6
; %bb.5:
	s_waitcnt vmcnt(0) lgkmcnt(0)
	v_cmp_neq_f64_e32 vcc_lo, 1.0, v[5:6]
	v_cmp_neq_f64_e64 s0, 0, v[7:8]
	s_delay_alu instid0(VALU_DEP_1) | instskip(NEXT) | instid1(SALU_CYCLE_1)
	s_or_b32 s0, vcc_lo, s0
	s_or_not1_b32 s0, s0, exec_lo
.LBB122_6:
	s_or_b32 exec_lo, exec_lo, s1
	s_and_saveexec_b32 s1, s0
	s_cbranch_execz .LBB122_43
; %bb.7:
	s_clause 0x1
	s_load_b128 s[4:7], s[2:3], 0x20
	s_load_b64 s[8:9], s[2:3], 0x30
	s_waitcnt lgkmcnt(0)
	s_cmp_eq_u64 s[4:5], 0
	s_cbranch_scc1 .LBB122_9
; %bb.8:
	s_ashr_i32 s13, s12, 31
	s_delay_alu instid0(SALU_CYCLE_1) | instskip(NEXT) | instid1(SALU_CYCLE_1)
	s_lshl_b64 s[0:1], s[12:13], 2
	s_add_u32 s0, s4, s0
	s_addc_u32 s1, s5, s1
	s_load_b32 s0, s[0:1], 0x0
	s_waitcnt lgkmcnt(0)
	s_sub_i32 s12, s0, s14
.LBB122_9:
	s_load_b32 s1, s[2:3], 0x4
	v_mul_u32_u24_e32 v0, 0x97c, v4
	v_dual_mov_b32 v2, 0 :: v_dual_lshlrev_b32 v17, 4, v4
	v_mov_b32_e32 v3, 0
	s_delay_alu instid0(VALU_DEP_3) | instskip(NEXT) | instid1(VALU_DEP_1)
	v_lshrrev_b32_e32 v13, 16, v0
	v_mul_lo_u16 v0, v13, 27
	s_delay_alu instid0(VALU_DEP_1) | instskip(NEXT) | instid1(VALU_DEP_4)
	v_sub_nc_u16 v16, v4, v0
	v_dual_mov_b32 v0, v2 :: v_dual_mov_b32 v1, v3
	s_waitcnt lgkmcnt(0)
	s_cmp_eq_u32 s1, 1
	s_cselect_b32 s0, -1, 0
	s_cmp_lg_u32 s1, 1
	s_cselect_b32 s20, -1, 0
	s_ashr_i32 s13, s12, 31
	s_delay_alu instid0(SALU_CYCLE_1) | instskip(NEXT) | instid1(SALU_CYCLE_1)
	s_lshl_b64 s[4:5], s[12:13], 3
	s_add_u32 s6, s6, s4
	s_addc_u32 s7, s7, s5
	s_add_u32 s1, s6, 8
	s_addc_u32 s10, s7, 0
	;; [unrolled: 2-line block ×3, first 2 shown]
	s_cmp_eq_u64 s[8:9], 0
	s_load_b64 s[8:9], s[2:3], 0x60
	s_cselect_b32 s5, s10, s5
	s_cselect_b32 s4, s1, s4
	s_load_b64 s[18:19], s[6:7], 0x0
	s_load_b64 s[10:11], s[4:5], 0x0
	s_waitcnt lgkmcnt(0)
	v_cmp_ge_i64_e64 s1, s[18:19], s[10:11]
	s_delay_alu instid0(VALU_DEP_1)
	s_and_b32 vcc_lo, exec_lo, s1
	s_cbranch_vccnz .LBB122_14
; %bb.10:
	s_clause 0x1
	s_load_b128 s[4:7], s[2:3], 0x38
	s_load_b64 s[2:3], s[2:3], 0x48
	s_sub_u32 s10, s10, s14
	s_subb_u32 s11, s11, 0
	s_sub_u32 s16, s18, s14
	s_subb_u32 s17, s19, 0
	v_and_b32_e32 v0, 0xffff, v16
	v_dual_mov_b32 v2, 0 :: v_dual_and_b32 v1, 0xffff, v13
	s_mul_hi_u32 s1, s16, 0x2d90
	s_mul_i32 s21, s17, 0x2d90
	s_mul_i32 s13, s16, 0x2d90
	v_mov_b32_e32 v3, 0
	s_add_i32 s1, s1, s21
	s_mov_b32 s15, 0
	v_cndmask_b32_e64 v13, v0, v1, s0
	s_delay_alu instid0(VALU_DEP_2)
	v_dual_mov_b32 v0, v2 :: v_dual_mov_b32 v1, v3
	s_waitcnt lgkmcnt(0)
	s_add_u32 s13, s6, s13
	s_addc_u32 s21, s7, s1
	s_lshl_b64 s[0:1], s[18:19], 2
	s_lshl_b64 s[6:7], s[14:15], 2
	v_add_co_u32 v14, s13, s13, v17
	s_delay_alu instid0(VALU_DEP_1)
	v_add_co_ci_u32_e64 v15, null, s21, 0, s13
	s_sub_u32 s0, s0, s6
	s_subb_u32 s1, s1, s7
	s_add_u32 s0, s4, s0
	s_addc_u32 s1, s5, s1
	s_set_inst_prefetch_distance 0x1
	s_branch .LBB122_12
	.p2align	6
.LBB122_11:                             ;   in Loop: Header=BB122_12 Depth=1
	s_add_u32 s16, s16, 1
	s_addc_u32 s17, s17, 0
	s_add_u32 s0, s0, 4
	v_cmp_lt_i64_e64 s4, s[16:17], s[10:11]
	s_addc_u32 s1, s1, 0
	s_delay_alu instid0(VALU_DEP_1)
	s_and_b32 vcc_lo, exec_lo, s4
	s_cbranch_vccz .LBB122_14
.LBB122_12:                             ; =>This Inner Loop Header: Depth=1
	v_cmp_ge_i64_e64 s4, s[16:17], s[10:11]
	s_delay_alu instid0(VALU_DEP_1)
	s_and_b32 vcc_lo, exec_lo, s4
	s_cbranch_vccnz .LBB122_11
; %bb.13:                               ;   in Loop: Header=BB122_12 Depth=1
	s_load_b32 s4, s[0:1], 0x0
	s_waitcnt lgkmcnt(0)
	s_sub_i32 s4, s4, s14
	s_delay_alu instid0(SALU_CYCLE_1) | instskip(NEXT) | instid1(VALU_DEP_1)
	v_mad_u64_u32 v[18:19], null, s4, 27, v[13:14]
	v_ashrrev_i32_e32 v19, 31, v18
	s_delay_alu instid0(VALU_DEP_1) | instskip(NEXT) | instid1(VALU_DEP_1)
	v_lshlrev_b64 v[18:19], 4, v[18:19]
	v_add_co_u32 v22, vcc_lo, s2, v18
	s_delay_alu instid0(VALU_DEP_2)
	v_add_co_ci_u32_e32 v23, vcc_lo, s3, v19, vcc_lo
	global_load_b128 v[18:21], v[14:15], off
	global_load_b128 v[22:25], v[22:23], off
	v_add_co_u32 v14, vcc_lo, 0x2d90, v14
	v_add_co_ci_u32_e32 v15, vcc_lo, 0, v15, vcc_lo
	s_waitcnt vmcnt(0)
	v_fma_f64 v[0:1], v[18:19], v[22:23], v[0:1]
	v_fma_f64 v[2:3], v[20:21], v[22:23], v[2:3]
	s_delay_alu instid0(VALU_DEP_2) | instskip(NEXT) | instid1(VALU_DEP_2)
	v_fma_f64 v[0:1], -v[20:21], v[24:25], v[0:1]
	v_fma_f64 v[2:3], v[18:19], v[24:25], v[2:3]
	s_branch .LBB122_11
.LBB122_14:
	s_set_inst_prefetch_distance 0x2
	s_and_b32 vcc_lo, exec_lo, s20
	ds_store_b128 v17, v[0:3]
	s_waitcnt vmcnt(0) lgkmcnt(0)
	s_barrier
	buffer_gl0_inv
	s_cbranch_vccz .LBB122_26
; %bb.15:
	s_mov_b32 s0, exec_lo
	v_cmpx_gt_u16_e32 11, v16
	s_cbranch_execz .LBB122_17
; %bb.16:
	ds_load_b128 v[18:21], v17 offset:256
	ds_load_b128 v[22:25], v17
	s_waitcnt lgkmcnt(0)
	v_add_f64 v[18:19], v[18:19], v[22:23]
	v_add_f64 v[20:21], v[20:21], v[24:25]
	ds_store_b128 v17, v[18:21]
.LBB122_17:
	s_or_b32 exec_lo, exec_lo, s0
	s_delay_alu instid0(SALU_CYCLE_1)
	s_mov_b32 s0, exec_lo
	s_waitcnt lgkmcnt(0)
	s_barrier
	buffer_gl0_inv
	v_cmpx_gt_u16_e32 8, v16
	s_cbranch_execz .LBB122_19
; %bb.18:
	ds_load_b128 v[18:21], v17 offset:128
	ds_load_b128 v[22:25], v17
	s_waitcnt lgkmcnt(0)
	v_add_f64 v[18:19], v[18:19], v[22:23]
	v_add_f64 v[20:21], v[20:21], v[24:25]
	ds_store_b128 v17, v[18:21]
.LBB122_19:
	s_or_b32 exec_lo, exec_lo, s0
	s_delay_alu instid0(SALU_CYCLE_1)
	s_mov_b32 s0, exec_lo
	s_waitcnt lgkmcnt(0)
	s_barrier
	buffer_gl0_inv
	;; [unrolled: 16-line block ×3, first 2 shown]
	v_cmpx_gt_u16_e32 2, v16
	s_cbranch_execz .LBB122_23
; %bb.22:
	ds_load_b128 v[13:16], v17
	ds_load_b128 v[18:21], v17 offset:32
	s_waitcnt lgkmcnt(0)
	v_add_f64 v[13:14], v[18:19], v[13:14]
	v_add_f64 v[15:16], v[20:21], v[15:16]
	ds_store_b128 v17, v[13:16]
.LBB122_23:
	s_or_b32 exec_lo, exec_lo, s0
	v_dual_mov_b32 v16, v3 :: v_dual_mov_b32 v15, v2
	v_dual_mov_b32 v14, v1 :: v_dual_mov_b32 v13, v0
	s_mov_b32 s0, exec_lo
	s_waitcnt lgkmcnt(0)
	s_barrier
	buffer_gl0_inv
	v_cmpx_gt_u32_e32 27, v4
	s_cbranch_execz .LBB122_25
; %bb.24:
	v_mul_u32_u24_e32 v13, 27, v4
	s_delay_alu instid0(VALU_DEP_1)
	v_lshlrev_b32_e32 v18, 4, v13
	ds_load_b128 v[13:16], v18
	ds_load_b128 v[18:21], v18 offset:16
	s_waitcnt lgkmcnt(0)
	v_add_f64 v[13:14], v[18:19], v[13:14]
	v_add_f64 v[15:16], v[20:21], v[15:16]
.LBB122_25:
	s_or_b32 exec_lo, exec_lo, s0
	s_branch .LBB122_38
.LBB122_26:
                                        ; implicit-def: $vgpr15_vgpr16
                                        ; implicit-def: $vgpr13_vgpr14
	s_cbranch_execz .LBB122_38
; %bb.27:
	s_mov_b32 s0, exec_lo
	v_cmpx_gt_u32_e32 0x129, v4
	s_cbranch_execz .LBB122_29
; %bb.28:
	ds_load_b128 v[13:16], v17 offset:6912
	ds_load_b128 v[18:21], v17
	s_waitcnt lgkmcnt(0)
	v_add_f64 v[13:14], v[13:14], v[18:19]
	v_add_f64 v[15:16], v[15:16], v[20:21]
	ds_store_b128 v17, v[13:16]
.LBB122_29:
	s_or_b32 exec_lo, exec_lo, s0
	s_delay_alu instid0(SALU_CYCLE_1)
	s_mov_b32 s0, exec_lo
	s_waitcnt lgkmcnt(0)
	s_barrier
	buffer_gl0_inv
	v_cmpx_gt_u32_e32 0xd8, v4
	s_cbranch_execz .LBB122_31
; %bb.30:
	ds_load_b128 v[13:16], v17 offset:3456
	ds_load_b128 v[18:21], v17
	s_waitcnt lgkmcnt(0)
	v_add_f64 v[13:14], v[13:14], v[18:19]
	v_add_f64 v[15:16], v[15:16], v[20:21]
	ds_store_b128 v17, v[13:16]
.LBB122_31:
	s_or_b32 exec_lo, exec_lo, s0
	s_delay_alu instid0(SALU_CYCLE_1)
	s_mov_b32 s0, exec_lo
	s_waitcnt lgkmcnt(0)
	s_barrier
	buffer_gl0_inv
	;; [unrolled: 16-line block ×3, first 2 shown]
	v_cmpx_gt_u32_e32 54, v4
	s_cbranch_execz .LBB122_35
; %bb.34:
	ds_load_b128 v[13:16], v17 offset:864
	ds_load_b128 v[18:21], v17
	s_waitcnt lgkmcnt(0)
	v_add_f64 v[13:14], v[13:14], v[18:19]
	v_add_f64 v[15:16], v[15:16], v[20:21]
	ds_store_b128 v17, v[13:16]
.LBB122_35:
	s_or_b32 exec_lo, exec_lo, s0
	s_delay_alu instid0(SALU_CYCLE_1)
	s_mov_b32 s0, exec_lo
	s_waitcnt lgkmcnt(0)
	buffer_gl0_inv
	v_cmpx_gt_u32_e32 27, v4
	s_cbranch_execz .LBB122_37
; %bb.36:
	ds_load_b128 v[0:3], v17 offset:432
	ds_load_b128 v[13:16], v17
	s_waitcnt lgkmcnt(0)
	v_add_f64 v[0:1], v[0:1], v[13:14]
	v_add_f64 v[2:3], v[2:3], v[15:16]
.LBB122_37:
	s_or_b32 exec_lo, exec_lo, s0
	s_delay_alu instid0(VALU_DEP_1) | instskip(NEXT) | instid1(VALU_DEP_3)
	v_dual_mov_b32 v16, v3 :: v_dual_mov_b32 v15, v2
	v_dual_mov_b32 v14, v1 :: v_dual_mov_b32 v13, v0
.LBB122_38:
	v_cmp_gt_u32_e32 vcc_lo, 27, v4
	s_and_b32 exec_lo, exec_lo, vcc_lo
	s_cbranch_execz .LBB122_43
; %bb.39:
	s_delay_alu instid0(VALU_DEP_2) | instskip(SKIP_3) | instid1(VALU_DEP_4)
	v_mul_f64 v[0:1], v[15:16], -v[11:12]
	v_mul_f64 v[2:3], v[9:10], v[15:16]
	v_cmp_eq_f64_e32 vcc_lo, 0, v[5:6]
	v_cmp_eq_f64_e64 s0, 0, v[7:8]
	v_fma_f64 v[0:1], v[9:10], v[13:14], v[0:1]
	s_delay_alu instid0(VALU_DEP_4) | instskip(NEXT) | instid1(VALU_DEP_3)
	v_fma_f64 v[2:3], v[11:12], v[13:14], v[2:3]
	s_and_b32 s0, vcc_lo, s0
	s_delay_alu instid0(SALU_CYCLE_1) | instskip(NEXT) | instid1(SALU_CYCLE_1)
	s_and_saveexec_b32 s1, s0
	s_xor_b32 s0, exec_lo, s1
	s_cbranch_execz .LBB122_41
; %bb.40:
	v_mad_u64_u32 v[5:6], null, s12, 27, v[4:5]
	v_mov_b32_e32 v6, 0
                                        ; implicit-def: $vgpr7_vgpr8
	s_delay_alu instid0(VALU_DEP_1) | instskip(NEXT) | instid1(VALU_DEP_1)
	v_lshlrev_b64 v[4:5], 4, v[5:6]
	v_add_co_u32 v4, vcc_lo, s8, v4
	s_delay_alu instid0(VALU_DEP_2)
	v_add_co_ci_u32_e32 v5, vcc_lo, s9, v5, vcc_lo
	global_store_b128 v[4:5], v[0:3], off
                                        ; implicit-def: $vgpr4
                                        ; implicit-def: $vgpr5_vgpr6
                                        ; implicit-def: $vgpr0_vgpr1
.LBB122_41:
	s_and_not1_saveexec_b32 s0, s0
	s_cbranch_execz .LBB122_43
; %bb.42:
	v_mad_u64_u32 v[9:10], null, s12, 27, v[4:5]
	v_mov_b32_e32 v10, 0
	s_delay_alu instid0(VALU_DEP_1) | instskip(NEXT) | instid1(VALU_DEP_1)
	v_lshlrev_b64 v[9:10], 4, v[9:10]
	v_add_co_u32 v13, vcc_lo, s8, v9
	s_delay_alu instid0(VALU_DEP_2) | instskip(SKIP_4) | instid1(VALU_DEP_2)
	v_add_co_ci_u32_e32 v14, vcc_lo, s9, v10, vcc_lo
	global_load_b128 v[9:12], v[13:14], off
	s_waitcnt vmcnt(0)
	v_fma_f64 v[0:1], v[5:6], v[9:10], v[0:1]
	v_fma_f64 v[2:3], v[7:8], v[9:10], v[2:3]
	v_fma_f64 v[0:1], -v[7:8], v[11:12], v[0:1]
	s_delay_alu instid0(VALU_DEP_2)
	v_fma_f64 v[2:3], v[5:6], v[11:12], v[2:3]
	global_store_b128 v[13:14], v[0:3], off
.LBB122_43:
	s_nop 0
	s_sendmsg sendmsg(MSG_DEALLOC_VGPRS)
	s_endpgm
	.section	.rodata,"a",@progbits
	.p2align	6, 0x0
	.amdhsa_kernel _ZN9rocsparseL20bsrxmvn_17_32_kernelILj27E21rocsparse_complex_numIdEliS2_S2_S2_EEvT2_20rocsparse_direction_NS_24const_host_device_scalarIT0_EES3_PKS3_PKT1_SC_S9_PKT3_PKT4_S7_PT5_21rocsparse_index_base_b
		.amdhsa_group_segment_fixed_size 23328
		.amdhsa_private_segment_fixed_size 0
		.amdhsa_kernarg_size 112
		.amdhsa_user_sgpr_count 15
		.amdhsa_user_sgpr_dispatch_ptr 1
		.amdhsa_user_sgpr_queue_ptr 0
		.amdhsa_user_sgpr_kernarg_segment_ptr 1
		.amdhsa_user_sgpr_dispatch_id 0
		.amdhsa_user_sgpr_private_segment_size 0
		.amdhsa_wavefront_size32 1
		.amdhsa_uses_dynamic_stack 0
		.amdhsa_enable_private_segment 0
		.amdhsa_system_sgpr_workgroup_id_x 1
		.amdhsa_system_sgpr_workgroup_id_y 0
		.amdhsa_system_sgpr_workgroup_id_z 0
		.amdhsa_system_sgpr_workgroup_info 0
		.amdhsa_system_vgpr_workitem_id 2
		.amdhsa_next_free_vgpr 26
		.amdhsa_next_free_sgpr 22
		.amdhsa_reserve_vcc 1
		.amdhsa_float_round_mode_32 0
		.amdhsa_float_round_mode_16_64 0
		.amdhsa_float_denorm_mode_32 3
		.amdhsa_float_denorm_mode_16_64 3
		.amdhsa_dx10_clamp 1
		.amdhsa_ieee_mode 1
		.amdhsa_fp16_overflow 0
		.amdhsa_workgroup_processor_mode 1
		.amdhsa_memory_ordered 1
		.amdhsa_forward_progress 0
		.amdhsa_shared_vgpr_count 0
		.amdhsa_exception_fp_ieee_invalid_op 0
		.amdhsa_exception_fp_denorm_src 0
		.amdhsa_exception_fp_ieee_div_zero 0
		.amdhsa_exception_fp_ieee_overflow 0
		.amdhsa_exception_fp_ieee_underflow 0
		.amdhsa_exception_fp_ieee_inexact 0
		.amdhsa_exception_int_div_zero 0
	.end_amdhsa_kernel
	.section	.text._ZN9rocsparseL20bsrxmvn_17_32_kernelILj27E21rocsparse_complex_numIdEliS2_S2_S2_EEvT2_20rocsparse_direction_NS_24const_host_device_scalarIT0_EES3_PKS3_PKT1_SC_S9_PKT3_PKT4_S7_PT5_21rocsparse_index_base_b,"axG",@progbits,_ZN9rocsparseL20bsrxmvn_17_32_kernelILj27E21rocsparse_complex_numIdEliS2_S2_S2_EEvT2_20rocsparse_direction_NS_24const_host_device_scalarIT0_EES3_PKS3_PKT1_SC_S9_PKT3_PKT4_S7_PT5_21rocsparse_index_base_b,comdat
.Lfunc_end122:
	.size	_ZN9rocsparseL20bsrxmvn_17_32_kernelILj27E21rocsparse_complex_numIdEliS2_S2_S2_EEvT2_20rocsparse_direction_NS_24const_host_device_scalarIT0_EES3_PKS3_PKT1_SC_S9_PKT3_PKT4_S7_PT5_21rocsparse_index_base_b, .Lfunc_end122-_ZN9rocsparseL20bsrxmvn_17_32_kernelILj27E21rocsparse_complex_numIdEliS2_S2_S2_EEvT2_20rocsparse_direction_NS_24const_host_device_scalarIT0_EES3_PKS3_PKT1_SC_S9_PKT3_PKT4_S7_PT5_21rocsparse_index_base_b
                                        ; -- End function
	.section	.AMDGPU.csdata,"",@progbits
; Kernel info:
; codeLenInByte = 2068
; NumSgprs: 24
; NumVgprs: 26
; ScratchSize: 0
; MemoryBound: 0
; FloatMode: 240
; IeeeMode: 1
; LDSByteSize: 23328 bytes/workgroup (compile time only)
; SGPRBlocks: 2
; VGPRBlocks: 3
; NumSGPRsForWavesPerEU: 24
; NumVGPRsForWavesPerEU: 26
; Occupancy: 12
; WaveLimiterHint : 1
; COMPUTE_PGM_RSRC2:SCRATCH_EN: 0
; COMPUTE_PGM_RSRC2:USER_SGPR: 15
; COMPUTE_PGM_RSRC2:TRAP_HANDLER: 0
; COMPUTE_PGM_RSRC2:TGID_X_EN: 1
; COMPUTE_PGM_RSRC2:TGID_Y_EN: 0
; COMPUTE_PGM_RSRC2:TGID_Z_EN: 0
; COMPUTE_PGM_RSRC2:TIDIG_COMP_CNT: 2
	.section	.text._ZN9rocsparseL20bsrxmvn_17_32_kernelILj28E21rocsparse_complex_numIdEliS2_S2_S2_EEvT2_20rocsparse_direction_NS_24const_host_device_scalarIT0_EES3_PKS3_PKT1_SC_S9_PKT3_PKT4_S7_PT5_21rocsparse_index_base_b,"axG",@progbits,_ZN9rocsparseL20bsrxmvn_17_32_kernelILj28E21rocsparse_complex_numIdEliS2_S2_S2_EEvT2_20rocsparse_direction_NS_24const_host_device_scalarIT0_EES3_PKS3_PKT1_SC_S9_PKT3_PKT4_S7_PT5_21rocsparse_index_base_b,comdat
	.globl	_ZN9rocsparseL20bsrxmvn_17_32_kernelILj28E21rocsparse_complex_numIdEliS2_S2_S2_EEvT2_20rocsparse_direction_NS_24const_host_device_scalarIT0_EES3_PKS3_PKT1_SC_S9_PKT3_PKT4_S7_PT5_21rocsparse_index_base_b ; -- Begin function _ZN9rocsparseL20bsrxmvn_17_32_kernelILj28E21rocsparse_complex_numIdEliS2_S2_S2_EEvT2_20rocsparse_direction_NS_24const_host_device_scalarIT0_EES3_PKS3_PKT1_SC_S9_PKT3_PKT4_S7_PT5_21rocsparse_index_base_b
	.p2align	8
	.type	_ZN9rocsparseL20bsrxmvn_17_32_kernelILj28E21rocsparse_complex_numIdEliS2_S2_S2_EEvT2_20rocsparse_direction_NS_24const_host_device_scalarIT0_EES3_PKS3_PKT1_SC_S9_PKT3_PKT4_S7_PT5_21rocsparse_index_base_b,@function
_ZN9rocsparseL20bsrxmvn_17_32_kernelILj28E21rocsparse_complex_numIdEliS2_S2_S2_EEvT2_20rocsparse_direction_NS_24const_host_device_scalarIT0_EES3_PKS3_PKT1_SC_S9_PKT3_PKT4_S7_PT5_21rocsparse_index_base_b: ; @_ZN9rocsparseL20bsrxmvn_17_32_kernelILj28E21rocsparse_complex_numIdEliS2_S2_S2_EEvT2_20rocsparse_direction_NS_24const_host_device_scalarIT0_EES3_PKS3_PKT1_SC_S9_PKT3_PKT4_S7_PT5_21rocsparse_index_base_b
; %bb.0:
	s_mov_b32 s12, s15
	s_clause 0x1
	s_load_b64 s[14:15], s[2:3], 0x68
	s_load_b128 s[4:7], s[2:3], 0x8
	s_load_b64 s[16:17], s[0:1], 0x4
	s_mov_b64 s[0:1], src_shared_base
	v_and_b32_e32 v4, 0x3ff, v0
	s_load_b128 s[8:11], s[2:3], 0x50
	v_bfe_u32 v2, v0, 10, 10
	v_bfe_u32 v0, v0, 20, 10
	s_waitcnt lgkmcnt(0)
	s_bitcmp1_b32 s15, 0
	v_mov_b32_e32 v12, s7
	s_cselect_b32 s0, -1, 0
	v_mov_b32_e32 v11, s6
	s_and_b32 vcc_lo, s0, exec_lo
	s_cselect_b32 s13, s1, s5
	s_lshr_b32 s15, s16, 16
	v_mov_b32_e32 v6, s13
	s_mul_i32 s15, s15, s17
	s_xor_b32 s6, s0, -1
	v_mul_lo_u32 v1, s15, v4
	s_delay_alu instid0(VALU_DEP_1) | instskip(SKIP_1) | instid1(VALU_DEP_2)
	v_mad_u32_u24 v1, v2, s17, v1
	v_dual_mov_b32 v2, s8 :: v_dual_mov_b32 v3, s9
	v_add_lshl_u32 v7, v1, v0, 3
	v_dual_mov_b32 v0, s4 :: v_dual_mov_b32 v1, s5
	ds_store_b64 v7, v[0:1] offset:18816
	ds_store_b64 v7, v[2:3] offset:12544
	v_add_nc_u32_e32 v5, 0x4980, v7
	v_add_nc_u32_e32 v0, 0x3100, v7
	s_delay_alu instid0(VALU_DEP_2)
	v_cndmask_b32_e64 v5, s4, v5, s0
	flat_load_b64 v[9:10], v[5:6]
	s_cbranch_vccnz .LBB123_2
; %bb.1:
	v_dual_mov_b32 v1, s4 :: v_dual_mov_b32 v2, s5
	flat_load_b64 v[11:12], v[1:2] offset:8
.LBB123_2:
	s_and_b32 s4, s0, exec_lo
	s_cselect_b32 s1, s1, s9
	v_cndmask_b32_e64 v0, s8, v0, s0
	v_mov_b32_e32 v1, s1
	v_dual_mov_b32 v7, s10 :: v_dual_mov_b32 v8, s11
	s_and_not1_b32 vcc_lo, exec_lo, s6
	flat_load_b64 v[5:6], v[0:1]
	s_cbranch_vccnz .LBB123_4
; %bb.3:
	v_dual_mov_b32 v0, s8 :: v_dual_mov_b32 v1, s9
	flat_load_b64 v[7:8], v[0:1] offset:8
.LBB123_4:
	s_waitcnt vmcnt(1) lgkmcnt(1)
	v_cmp_eq_f64_e32 vcc_lo, 0, v[9:10]
	v_cmp_eq_f64_e64 s0, 0, v[11:12]
	s_delay_alu instid0(VALU_DEP_1)
	s_and_b32 s4, vcc_lo, s0
	s_mov_b32 s0, -1
	s_and_saveexec_b32 s1, s4
	s_cbranch_execz .LBB123_6
; %bb.5:
	s_waitcnt vmcnt(0) lgkmcnt(0)
	v_cmp_neq_f64_e32 vcc_lo, 1.0, v[5:6]
	v_cmp_neq_f64_e64 s0, 0, v[7:8]
	s_delay_alu instid0(VALU_DEP_1) | instskip(NEXT) | instid1(SALU_CYCLE_1)
	s_or_b32 s0, vcc_lo, s0
	s_or_not1_b32 s0, s0, exec_lo
.LBB123_6:
	s_or_b32 exec_lo, exec_lo, s1
	s_and_saveexec_b32 s1, s0
	s_cbranch_execz .LBB123_43
; %bb.7:
	s_clause 0x1
	s_load_b128 s[4:7], s[2:3], 0x20
	s_load_b64 s[8:9], s[2:3], 0x30
	s_waitcnt lgkmcnt(0)
	s_cmp_eq_u64 s[4:5], 0
	s_cbranch_scc1 .LBB123_9
; %bb.8:
	s_ashr_i32 s13, s12, 31
	s_delay_alu instid0(SALU_CYCLE_1) | instskip(NEXT) | instid1(SALU_CYCLE_1)
	s_lshl_b64 s[0:1], s[12:13], 2
	s_add_u32 s0, s4, s0
	s_addc_u32 s1, s5, s1
	s_load_b32 s0, s[0:1], 0x0
	s_waitcnt lgkmcnt(0)
	s_sub_i32 s12, s0, s14
.LBB123_9:
	s_load_b32 s1, s[2:3], 0x4
	v_mul_u32_u24_e32 v0, 0x925, v4
	v_dual_mov_b32 v2, 0 :: v_dual_lshlrev_b32 v17, 4, v4
	v_mov_b32_e32 v3, 0
	s_delay_alu instid0(VALU_DEP_3) | instskip(NEXT) | instid1(VALU_DEP_1)
	v_lshrrev_b32_e32 v13, 16, v0
	v_mul_lo_u16 v0, v13, 28
	s_delay_alu instid0(VALU_DEP_1) | instskip(NEXT) | instid1(VALU_DEP_4)
	v_sub_nc_u16 v16, v4, v0
	v_dual_mov_b32 v0, v2 :: v_dual_mov_b32 v1, v3
	s_waitcnt lgkmcnt(0)
	s_cmp_eq_u32 s1, 1
	s_cselect_b32 s0, -1, 0
	s_cmp_lg_u32 s1, 1
	s_cselect_b32 s20, -1, 0
	s_ashr_i32 s13, s12, 31
	s_delay_alu instid0(SALU_CYCLE_1) | instskip(NEXT) | instid1(SALU_CYCLE_1)
	s_lshl_b64 s[4:5], s[12:13], 3
	s_add_u32 s6, s6, s4
	s_addc_u32 s7, s7, s5
	s_add_u32 s1, s6, 8
	s_addc_u32 s10, s7, 0
	;; [unrolled: 2-line block ×3, first 2 shown]
	s_cmp_eq_u64 s[8:9], 0
	s_load_b64 s[8:9], s[2:3], 0x60
	s_cselect_b32 s5, s10, s5
	s_cselect_b32 s4, s1, s4
	s_load_b64 s[18:19], s[6:7], 0x0
	s_load_b64 s[10:11], s[4:5], 0x0
	s_waitcnt lgkmcnt(0)
	v_cmp_ge_i64_e64 s1, s[18:19], s[10:11]
	s_delay_alu instid0(VALU_DEP_1)
	s_and_b32 vcc_lo, exec_lo, s1
	s_cbranch_vccnz .LBB123_14
; %bb.10:
	s_clause 0x1
	s_load_b128 s[4:7], s[2:3], 0x38
	s_load_b64 s[2:3], s[2:3], 0x48
	s_sub_u32 s10, s10, s14
	s_subb_u32 s11, s11, 0
	s_sub_u32 s16, s18, s14
	s_subb_u32 s17, s19, 0
	v_and_b32_e32 v0, 0xffff, v16
	v_dual_mov_b32 v2, 0 :: v_dual_and_b32 v1, 0xffff, v13
	s_mul_hi_u32 s1, s16, 0x3100
	s_mul_i32 s21, s17, 0x3100
	s_mul_i32 s13, s16, 0x3100
	v_mov_b32_e32 v3, 0
	s_add_i32 s1, s1, s21
	s_mov_b32 s15, 0
	v_cndmask_b32_e64 v13, v0, v1, s0
	s_delay_alu instid0(VALU_DEP_2)
	v_dual_mov_b32 v0, v2 :: v_dual_mov_b32 v1, v3
	s_waitcnt lgkmcnt(0)
	s_add_u32 s13, s6, s13
	s_addc_u32 s21, s7, s1
	s_lshl_b64 s[0:1], s[18:19], 2
	s_lshl_b64 s[6:7], s[14:15], 2
	v_add_co_u32 v14, s13, s13, v17
	s_delay_alu instid0(VALU_DEP_1)
	v_add_co_ci_u32_e64 v15, null, s21, 0, s13
	s_sub_u32 s0, s0, s6
	s_subb_u32 s1, s1, s7
	s_add_u32 s0, s4, s0
	s_addc_u32 s1, s5, s1
	s_set_inst_prefetch_distance 0x1
	s_branch .LBB123_12
	.p2align	6
.LBB123_11:                             ;   in Loop: Header=BB123_12 Depth=1
	s_add_u32 s16, s16, 1
	s_addc_u32 s17, s17, 0
	s_add_u32 s0, s0, 4
	v_cmp_lt_i64_e64 s4, s[16:17], s[10:11]
	s_addc_u32 s1, s1, 0
	s_delay_alu instid0(VALU_DEP_1)
	s_and_b32 vcc_lo, exec_lo, s4
	s_cbranch_vccz .LBB123_14
.LBB123_12:                             ; =>This Inner Loop Header: Depth=1
	v_cmp_ge_i64_e64 s4, s[16:17], s[10:11]
	s_delay_alu instid0(VALU_DEP_1)
	s_and_b32 vcc_lo, exec_lo, s4
	s_cbranch_vccnz .LBB123_11
; %bb.13:                               ;   in Loop: Header=BB123_12 Depth=1
	s_load_b32 s4, s[0:1], 0x0
	s_waitcnt lgkmcnt(0)
	s_sub_i32 s4, s4, s14
	s_delay_alu instid0(SALU_CYCLE_1) | instskip(NEXT) | instid1(VALU_DEP_1)
	v_mad_u64_u32 v[18:19], null, s4, 28, v[13:14]
	v_ashrrev_i32_e32 v19, 31, v18
	s_delay_alu instid0(VALU_DEP_1) | instskip(NEXT) | instid1(VALU_DEP_1)
	v_lshlrev_b64 v[18:19], 4, v[18:19]
	v_add_co_u32 v22, vcc_lo, s2, v18
	s_delay_alu instid0(VALU_DEP_2)
	v_add_co_ci_u32_e32 v23, vcc_lo, s3, v19, vcc_lo
	global_load_b128 v[18:21], v[14:15], off
	global_load_b128 v[22:25], v[22:23], off
	v_add_co_u32 v14, vcc_lo, 0x3100, v14
	v_add_co_ci_u32_e32 v15, vcc_lo, 0, v15, vcc_lo
	s_waitcnt vmcnt(0)
	v_fma_f64 v[0:1], v[18:19], v[22:23], v[0:1]
	v_fma_f64 v[2:3], v[20:21], v[22:23], v[2:3]
	s_delay_alu instid0(VALU_DEP_2) | instskip(NEXT) | instid1(VALU_DEP_2)
	v_fma_f64 v[0:1], -v[20:21], v[24:25], v[0:1]
	v_fma_f64 v[2:3], v[18:19], v[24:25], v[2:3]
	s_branch .LBB123_11
.LBB123_14:
	s_set_inst_prefetch_distance 0x2
	s_and_b32 vcc_lo, exec_lo, s20
	ds_store_b128 v17, v[0:3]
	s_waitcnt vmcnt(0) lgkmcnt(0)
	s_barrier
	buffer_gl0_inv
	s_cbranch_vccz .LBB123_26
; %bb.15:
	s_mov_b32 s0, exec_lo
	v_cmpx_gt_u16_e32 12, v16
	s_cbranch_execz .LBB123_17
; %bb.16:
	ds_load_b128 v[18:21], v17 offset:256
	ds_load_b128 v[22:25], v17
	s_waitcnt lgkmcnt(0)
	v_add_f64 v[18:19], v[18:19], v[22:23]
	v_add_f64 v[20:21], v[20:21], v[24:25]
	ds_store_b128 v17, v[18:21]
.LBB123_17:
	s_or_b32 exec_lo, exec_lo, s0
	s_delay_alu instid0(SALU_CYCLE_1)
	s_mov_b32 s0, exec_lo
	s_waitcnt lgkmcnt(0)
	s_barrier
	buffer_gl0_inv
	v_cmpx_gt_u16_e32 8, v16
	s_cbranch_execz .LBB123_19
; %bb.18:
	ds_load_b128 v[18:21], v17 offset:128
	ds_load_b128 v[22:25], v17
	s_waitcnt lgkmcnt(0)
	v_add_f64 v[18:19], v[18:19], v[22:23]
	v_add_f64 v[20:21], v[20:21], v[24:25]
	ds_store_b128 v17, v[18:21]
.LBB123_19:
	s_or_b32 exec_lo, exec_lo, s0
	s_delay_alu instid0(SALU_CYCLE_1)
	s_mov_b32 s0, exec_lo
	s_waitcnt lgkmcnt(0)
	s_barrier
	buffer_gl0_inv
	;; [unrolled: 16-line block ×3, first 2 shown]
	v_cmpx_gt_u16_e32 2, v16
	s_cbranch_execz .LBB123_23
; %bb.22:
	ds_load_b128 v[13:16], v17
	ds_load_b128 v[18:21], v17 offset:32
	s_waitcnt lgkmcnt(0)
	v_add_f64 v[13:14], v[18:19], v[13:14]
	v_add_f64 v[15:16], v[20:21], v[15:16]
	ds_store_b128 v17, v[13:16]
.LBB123_23:
	s_or_b32 exec_lo, exec_lo, s0
	v_dual_mov_b32 v16, v3 :: v_dual_mov_b32 v15, v2
	v_dual_mov_b32 v14, v1 :: v_dual_mov_b32 v13, v0
	s_mov_b32 s0, exec_lo
	s_waitcnt lgkmcnt(0)
	s_barrier
	buffer_gl0_inv
	v_cmpx_gt_u32_e32 28, v4
	s_cbranch_execz .LBB123_25
; %bb.24:
	v_mul_u32_u24_e32 v13, 28, v4
	s_delay_alu instid0(VALU_DEP_1)
	v_lshlrev_b32_e32 v18, 4, v13
	ds_load_b128 v[13:16], v18
	ds_load_b128 v[18:21], v18 offset:16
	s_waitcnt lgkmcnt(0)
	v_add_f64 v[13:14], v[18:19], v[13:14]
	v_add_f64 v[15:16], v[20:21], v[15:16]
.LBB123_25:
	s_or_b32 exec_lo, exec_lo, s0
	s_branch .LBB123_38
.LBB123_26:
                                        ; implicit-def: $vgpr15_vgpr16
                                        ; implicit-def: $vgpr13_vgpr14
	s_cbranch_execz .LBB123_38
; %bb.27:
	s_mov_b32 s0, exec_lo
	v_cmpx_gt_u32_e32 0x150, v4
	s_cbranch_execz .LBB123_29
; %bb.28:
	ds_load_b128 v[13:16], v17 offset:7168
	ds_load_b128 v[18:21], v17
	s_waitcnt lgkmcnt(0)
	v_add_f64 v[13:14], v[13:14], v[18:19]
	v_add_f64 v[15:16], v[15:16], v[20:21]
	ds_store_b128 v17, v[13:16]
.LBB123_29:
	s_or_b32 exec_lo, exec_lo, s0
	s_delay_alu instid0(SALU_CYCLE_1)
	s_mov_b32 s0, exec_lo
	s_waitcnt lgkmcnt(0)
	s_barrier
	buffer_gl0_inv
	v_cmpx_gt_u32_e32 0xe0, v4
	s_cbranch_execz .LBB123_31
; %bb.30:
	ds_load_b128 v[13:16], v17 offset:3584
	ds_load_b128 v[18:21], v17
	s_waitcnt lgkmcnt(0)
	v_add_f64 v[13:14], v[13:14], v[18:19]
	v_add_f64 v[15:16], v[15:16], v[20:21]
	ds_store_b128 v17, v[13:16]
.LBB123_31:
	s_or_b32 exec_lo, exec_lo, s0
	s_delay_alu instid0(SALU_CYCLE_1)
	s_mov_b32 s0, exec_lo
	s_waitcnt lgkmcnt(0)
	s_barrier
	buffer_gl0_inv
	;; [unrolled: 16-line block ×3, first 2 shown]
	v_cmpx_gt_u32_e32 56, v4
	s_cbranch_execz .LBB123_35
; %bb.34:
	ds_load_b128 v[13:16], v17 offset:896
	ds_load_b128 v[18:21], v17
	s_waitcnt lgkmcnt(0)
	v_add_f64 v[13:14], v[13:14], v[18:19]
	v_add_f64 v[15:16], v[15:16], v[20:21]
	ds_store_b128 v17, v[13:16]
.LBB123_35:
	s_or_b32 exec_lo, exec_lo, s0
	s_delay_alu instid0(SALU_CYCLE_1)
	s_mov_b32 s0, exec_lo
	s_waitcnt lgkmcnt(0)
	buffer_gl0_inv
	v_cmpx_gt_u32_e32 28, v4
	s_cbranch_execz .LBB123_37
; %bb.36:
	ds_load_b128 v[0:3], v17 offset:448
	ds_load_b128 v[13:16], v17
	s_waitcnt lgkmcnt(0)
	v_add_f64 v[0:1], v[0:1], v[13:14]
	v_add_f64 v[2:3], v[2:3], v[15:16]
.LBB123_37:
	s_or_b32 exec_lo, exec_lo, s0
	s_delay_alu instid0(VALU_DEP_1) | instskip(NEXT) | instid1(VALU_DEP_3)
	v_dual_mov_b32 v16, v3 :: v_dual_mov_b32 v15, v2
	v_dual_mov_b32 v14, v1 :: v_dual_mov_b32 v13, v0
.LBB123_38:
	v_cmp_gt_u32_e32 vcc_lo, 28, v4
	s_and_b32 exec_lo, exec_lo, vcc_lo
	s_cbranch_execz .LBB123_43
; %bb.39:
	s_delay_alu instid0(VALU_DEP_2) | instskip(SKIP_3) | instid1(VALU_DEP_4)
	v_mul_f64 v[0:1], v[15:16], -v[11:12]
	v_mul_f64 v[2:3], v[9:10], v[15:16]
	v_cmp_eq_f64_e32 vcc_lo, 0, v[5:6]
	v_cmp_eq_f64_e64 s0, 0, v[7:8]
	v_fma_f64 v[0:1], v[9:10], v[13:14], v[0:1]
	s_delay_alu instid0(VALU_DEP_4) | instskip(NEXT) | instid1(VALU_DEP_3)
	v_fma_f64 v[2:3], v[11:12], v[13:14], v[2:3]
	s_and_b32 s0, vcc_lo, s0
	s_delay_alu instid0(SALU_CYCLE_1) | instskip(NEXT) | instid1(SALU_CYCLE_1)
	s_and_saveexec_b32 s1, s0
	s_xor_b32 s0, exec_lo, s1
	s_cbranch_execz .LBB123_41
; %bb.40:
	v_mad_u64_u32 v[5:6], null, s12, 28, v[4:5]
	v_mov_b32_e32 v6, 0
                                        ; implicit-def: $vgpr7_vgpr8
	s_delay_alu instid0(VALU_DEP_1) | instskip(NEXT) | instid1(VALU_DEP_1)
	v_lshlrev_b64 v[4:5], 4, v[5:6]
	v_add_co_u32 v4, vcc_lo, s8, v4
	s_delay_alu instid0(VALU_DEP_2)
	v_add_co_ci_u32_e32 v5, vcc_lo, s9, v5, vcc_lo
	global_store_b128 v[4:5], v[0:3], off
                                        ; implicit-def: $vgpr4
                                        ; implicit-def: $vgpr5_vgpr6
                                        ; implicit-def: $vgpr0_vgpr1
.LBB123_41:
	s_and_not1_saveexec_b32 s0, s0
	s_cbranch_execz .LBB123_43
; %bb.42:
	v_mad_u64_u32 v[9:10], null, s12, 28, v[4:5]
	v_mov_b32_e32 v10, 0
	s_delay_alu instid0(VALU_DEP_1) | instskip(NEXT) | instid1(VALU_DEP_1)
	v_lshlrev_b64 v[9:10], 4, v[9:10]
	v_add_co_u32 v13, vcc_lo, s8, v9
	s_delay_alu instid0(VALU_DEP_2) | instskip(SKIP_4) | instid1(VALU_DEP_2)
	v_add_co_ci_u32_e32 v14, vcc_lo, s9, v10, vcc_lo
	global_load_b128 v[9:12], v[13:14], off
	s_waitcnt vmcnt(0)
	v_fma_f64 v[0:1], v[5:6], v[9:10], v[0:1]
	v_fma_f64 v[2:3], v[7:8], v[9:10], v[2:3]
	v_fma_f64 v[0:1], -v[7:8], v[11:12], v[0:1]
	s_delay_alu instid0(VALU_DEP_2)
	v_fma_f64 v[2:3], v[5:6], v[11:12], v[2:3]
	global_store_b128 v[13:14], v[0:3], off
.LBB123_43:
	s_nop 0
	s_sendmsg sendmsg(MSG_DEALLOC_VGPRS)
	s_endpgm
	.section	.rodata,"a",@progbits
	.p2align	6, 0x0
	.amdhsa_kernel _ZN9rocsparseL20bsrxmvn_17_32_kernelILj28E21rocsparse_complex_numIdEliS2_S2_S2_EEvT2_20rocsparse_direction_NS_24const_host_device_scalarIT0_EES3_PKS3_PKT1_SC_S9_PKT3_PKT4_S7_PT5_21rocsparse_index_base_b
		.amdhsa_group_segment_fixed_size 25088
		.amdhsa_private_segment_fixed_size 0
		.amdhsa_kernarg_size 112
		.amdhsa_user_sgpr_count 15
		.amdhsa_user_sgpr_dispatch_ptr 1
		.amdhsa_user_sgpr_queue_ptr 0
		.amdhsa_user_sgpr_kernarg_segment_ptr 1
		.amdhsa_user_sgpr_dispatch_id 0
		.amdhsa_user_sgpr_private_segment_size 0
		.amdhsa_wavefront_size32 1
		.amdhsa_uses_dynamic_stack 0
		.amdhsa_enable_private_segment 0
		.amdhsa_system_sgpr_workgroup_id_x 1
		.amdhsa_system_sgpr_workgroup_id_y 0
		.amdhsa_system_sgpr_workgroup_id_z 0
		.amdhsa_system_sgpr_workgroup_info 0
		.amdhsa_system_vgpr_workitem_id 2
		.amdhsa_next_free_vgpr 26
		.amdhsa_next_free_sgpr 22
		.amdhsa_reserve_vcc 1
		.amdhsa_float_round_mode_32 0
		.amdhsa_float_round_mode_16_64 0
		.amdhsa_float_denorm_mode_32 3
		.amdhsa_float_denorm_mode_16_64 3
		.amdhsa_dx10_clamp 1
		.amdhsa_ieee_mode 1
		.amdhsa_fp16_overflow 0
		.amdhsa_workgroup_processor_mode 1
		.amdhsa_memory_ordered 1
		.amdhsa_forward_progress 0
		.amdhsa_shared_vgpr_count 0
		.amdhsa_exception_fp_ieee_invalid_op 0
		.amdhsa_exception_fp_denorm_src 0
		.amdhsa_exception_fp_ieee_div_zero 0
		.amdhsa_exception_fp_ieee_overflow 0
		.amdhsa_exception_fp_ieee_underflow 0
		.amdhsa_exception_fp_ieee_inexact 0
		.amdhsa_exception_int_div_zero 0
	.end_amdhsa_kernel
	.section	.text._ZN9rocsparseL20bsrxmvn_17_32_kernelILj28E21rocsparse_complex_numIdEliS2_S2_S2_EEvT2_20rocsparse_direction_NS_24const_host_device_scalarIT0_EES3_PKS3_PKT1_SC_S9_PKT3_PKT4_S7_PT5_21rocsparse_index_base_b,"axG",@progbits,_ZN9rocsparseL20bsrxmvn_17_32_kernelILj28E21rocsparse_complex_numIdEliS2_S2_S2_EEvT2_20rocsparse_direction_NS_24const_host_device_scalarIT0_EES3_PKS3_PKT1_SC_S9_PKT3_PKT4_S7_PT5_21rocsparse_index_base_b,comdat
.Lfunc_end123:
	.size	_ZN9rocsparseL20bsrxmvn_17_32_kernelILj28E21rocsparse_complex_numIdEliS2_S2_S2_EEvT2_20rocsparse_direction_NS_24const_host_device_scalarIT0_EES3_PKS3_PKT1_SC_S9_PKT3_PKT4_S7_PT5_21rocsparse_index_base_b, .Lfunc_end123-_ZN9rocsparseL20bsrxmvn_17_32_kernelILj28E21rocsparse_complex_numIdEliS2_S2_S2_EEvT2_20rocsparse_direction_NS_24const_host_device_scalarIT0_EES3_PKS3_PKT1_SC_S9_PKT3_PKT4_S7_PT5_21rocsparse_index_base_b
                                        ; -- End function
	.section	.AMDGPU.csdata,"",@progbits
; Kernel info:
; codeLenInByte = 2068
; NumSgprs: 24
; NumVgprs: 26
; ScratchSize: 0
; MemoryBound: 0
; FloatMode: 240
; IeeeMode: 1
; LDSByteSize: 25088 bytes/workgroup (compile time only)
; SGPRBlocks: 2
; VGPRBlocks: 3
; NumSGPRsForWavesPerEU: 24
; NumVGPRsForWavesPerEU: 26
; Occupancy: 13
; WaveLimiterHint : 1
; COMPUTE_PGM_RSRC2:SCRATCH_EN: 0
; COMPUTE_PGM_RSRC2:USER_SGPR: 15
; COMPUTE_PGM_RSRC2:TRAP_HANDLER: 0
; COMPUTE_PGM_RSRC2:TGID_X_EN: 1
; COMPUTE_PGM_RSRC2:TGID_Y_EN: 0
; COMPUTE_PGM_RSRC2:TGID_Z_EN: 0
; COMPUTE_PGM_RSRC2:TIDIG_COMP_CNT: 2
	.section	.text._ZN9rocsparseL20bsrxmvn_17_32_kernelILj29E21rocsparse_complex_numIdEliS2_S2_S2_EEvT2_20rocsparse_direction_NS_24const_host_device_scalarIT0_EES3_PKS3_PKT1_SC_S9_PKT3_PKT4_S7_PT5_21rocsparse_index_base_b,"axG",@progbits,_ZN9rocsparseL20bsrxmvn_17_32_kernelILj29E21rocsparse_complex_numIdEliS2_S2_S2_EEvT2_20rocsparse_direction_NS_24const_host_device_scalarIT0_EES3_PKS3_PKT1_SC_S9_PKT3_PKT4_S7_PT5_21rocsparse_index_base_b,comdat
	.globl	_ZN9rocsparseL20bsrxmvn_17_32_kernelILj29E21rocsparse_complex_numIdEliS2_S2_S2_EEvT2_20rocsparse_direction_NS_24const_host_device_scalarIT0_EES3_PKS3_PKT1_SC_S9_PKT3_PKT4_S7_PT5_21rocsparse_index_base_b ; -- Begin function _ZN9rocsparseL20bsrxmvn_17_32_kernelILj29E21rocsparse_complex_numIdEliS2_S2_S2_EEvT2_20rocsparse_direction_NS_24const_host_device_scalarIT0_EES3_PKS3_PKT1_SC_S9_PKT3_PKT4_S7_PT5_21rocsparse_index_base_b
	.p2align	8
	.type	_ZN9rocsparseL20bsrxmvn_17_32_kernelILj29E21rocsparse_complex_numIdEliS2_S2_S2_EEvT2_20rocsparse_direction_NS_24const_host_device_scalarIT0_EES3_PKS3_PKT1_SC_S9_PKT3_PKT4_S7_PT5_21rocsparse_index_base_b,@function
_ZN9rocsparseL20bsrxmvn_17_32_kernelILj29E21rocsparse_complex_numIdEliS2_S2_S2_EEvT2_20rocsparse_direction_NS_24const_host_device_scalarIT0_EES3_PKS3_PKT1_SC_S9_PKT3_PKT4_S7_PT5_21rocsparse_index_base_b: ; @_ZN9rocsparseL20bsrxmvn_17_32_kernelILj29E21rocsparse_complex_numIdEliS2_S2_S2_EEvT2_20rocsparse_direction_NS_24const_host_device_scalarIT0_EES3_PKS3_PKT1_SC_S9_PKT3_PKT4_S7_PT5_21rocsparse_index_base_b
; %bb.0:
	s_mov_b32 s12, s15
	s_clause 0x1
	s_load_b64 s[14:15], s[2:3], 0x68
	s_load_b128 s[4:7], s[2:3], 0x8
	s_load_b64 s[16:17], s[0:1], 0x4
	s_mov_b64 s[0:1], src_shared_base
	v_and_b32_e32 v4, 0x3ff, v0
	s_load_b128 s[8:11], s[2:3], 0x50
	v_bfe_u32 v2, v0, 10, 10
	v_bfe_u32 v0, v0, 20, 10
	s_waitcnt lgkmcnt(0)
	s_bitcmp1_b32 s15, 0
	v_mov_b32_e32 v12, s7
	s_cselect_b32 s0, -1, 0
	v_mov_b32_e32 v11, s6
	s_and_b32 vcc_lo, s0, exec_lo
	s_cselect_b32 s13, s1, s5
	s_lshr_b32 s15, s16, 16
	v_mov_b32_e32 v6, s13
	s_mul_i32 s15, s15, s17
	s_xor_b32 s6, s0, -1
	v_mul_lo_u32 v1, s15, v4
	s_delay_alu instid0(VALU_DEP_1) | instskip(SKIP_1) | instid1(VALU_DEP_2)
	v_mad_u32_u24 v1, v2, s17, v1
	v_dual_mov_b32 v2, s8 :: v_dual_mov_b32 v3, s9
	v_add_lshl_u32 v7, v1, v0, 3
	v_dual_mov_b32 v0, s4 :: v_dual_mov_b32 v1, s5
	ds_store_b64 v7, v[0:1] offset:20184
	ds_store_b64 v7, v[2:3] offset:13456
	v_add_nc_u32_e32 v5, 0x4ed8, v7
	v_add_nc_u32_e32 v0, 0x3490, v7
	s_delay_alu instid0(VALU_DEP_2)
	v_cndmask_b32_e64 v5, s4, v5, s0
	flat_load_b64 v[9:10], v[5:6]
	s_cbranch_vccnz .LBB124_2
; %bb.1:
	v_dual_mov_b32 v1, s4 :: v_dual_mov_b32 v2, s5
	flat_load_b64 v[11:12], v[1:2] offset:8
.LBB124_2:
	s_and_b32 s4, s0, exec_lo
	s_cselect_b32 s1, s1, s9
	v_cndmask_b32_e64 v0, s8, v0, s0
	v_mov_b32_e32 v1, s1
	v_dual_mov_b32 v7, s10 :: v_dual_mov_b32 v8, s11
	s_and_not1_b32 vcc_lo, exec_lo, s6
	flat_load_b64 v[5:6], v[0:1]
	s_cbranch_vccnz .LBB124_4
; %bb.3:
	v_dual_mov_b32 v0, s8 :: v_dual_mov_b32 v1, s9
	flat_load_b64 v[7:8], v[0:1] offset:8
.LBB124_4:
	s_waitcnt vmcnt(1) lgkmcnt(1)
	v_cmp_eq_f64_e32 vcc_lo, 0, v[9:10]
	v_cmp_eq_f64_e64 s0, 0, v[11:12]
	s_delay_alu instid0(VALU_DEP_1)
	s_and_b32 s4, vcc_lo, s0
	s_mov_b32 s0, -1
	s_and_saveexec_b32 s1, s4
	s_cbranch_execz .LBB124_6
; %bb.5:
	s_waitcnt vmcnt(0) lgkmcnt(0)
	v_cmp_neq_f64_e32 vcc_lo, 1.0, v[5:6]
	v_cmp_neq_f64_e64 s0, 0, v[7:8]
	s_delay_alu instid0(VALU_DEP_1) | instskip(NEXT) | instid1(SALU_CYCLE_1)
	s_or_b32 s0, vcc_lo, s0
	s_or_not1_b32 s0, s0, exec_lo
.LBB124_6:
	s_or_b32 exec_lo, exec_lo, s1
	s_and_saveexec_b32 s1, s0
	s_cbranch_execz .LBB124_43
; %bb.7:
	s_clause 0x1
	s_load_b128 s[4:7], s[2:3], 0x20
	s_load_b64 s[8:9], s[2:3], 0x30
	s_waitcnt lgkmcnt(0)
	s_cmp_eq_u64 s[4:5], 0
	s_cbranch_scc1 .LBB124_9
; %bb.8:
	s_ashr_i32 s13, s12, 31
	s_delay_alu instid0(SALU_CYCLE_1) | instskip(NEXT) | instid1(SALU_CYCLE_1)
	s_lshl_b64 s[0:1], s[12:13], 2
	s_add_u32 s0, s4, s0
	s_addc_u32 s1, s5, s1
	s_load_b32 s0, s[0:1], 0x0
	s_waitcnt lgkmcnt(0)
	s_sub_i32 s12, s0, s14
.LBB124_9:
	s_load_b32 s1, s[2:3], 0x4
	v_mul_u32_u24_e32 v0, 0x8d4, v4
	v_dual_mov_b32 v2, 0 :: v_dual_lshlrev_b32 v17, 4, v4
	v_mov_b32_e32 v3, 0
	s_delay_alu instid0(VALU_DEP_3) | instskip(NEXT) | instid1(VALU_DEP_1)
	v_lshrrev_b32_e32 v13, 16, v0
	v_mul_lo_u16 v0, v13, 29
	s_delay_alu instid0(VALU_DEP_1) | instskip(NEXT) | instid1(VALU_DEP_4)
	v_sub_nc_u16 v16, v4, v0
	v_dual_mov_b32 v0, v2 :: v_dual_mov_b32 v1, v3
	s_waitcnt lgkmcnt(0)
	s_cmp_eq_u32 s1, 1
	s_cselect_b32 s0, -1, 0
	s_cmp_lg_u32 s1, 1
	s_cselect_b32 s20, -1, 0
	s_ashr_i32 s13, s12, 31
	s_delay_alu instid0(SALU_CYCLE_1) | instskip(NEXT) | instid1(SALU_CYCLE_1)
	s_lshl_b64 s[4:5], s[12:13], 3
	s_add_u32 s6, s6, s4
	s_addc_u32 s7, s7, s5
	s_add_u32 s1, s6, 8
	s_addc_u32 s10, s7, 0
	;; [unrolled: 2-line block ×3, first 2 shown]
	s_cmp_eq_u64 s[8:9], 0
	s_load_b64 s[8:9], s[2:3], 0x60
	s_cselect_b32 s5, s10, s5
	s_cselect_b32 s4, s1, s4
	s_load_b64 s[18:19], s[6:7], 0x0
	s_load_b64 s[10:11], s[4:5], 0x0
	s_waitcnt lgkmcnt(0)
	v_cmp_ge_i64_e64 s1, s[18:19], s[10:11]
	s_delay_alu instid0(VALU_DEP_1)
	s_and_b32 vcc_lo, exec_lo, s1
	s_cbranch_vccnz .LBB124_14
; %bb.10:
	s_clause 0x1
	s_load_b128 s[4:7], s[2:3], 0x38
	s_load_b64 s[2:3], s[2:3], 0x48
	s_sub_u32 s10, s10, s14
	s_subb_u32 s11, s11, 0
	s_sub_u32 s16, s18, s14
	s_subb_u32 s17, s19, 0
	v_and_b32_e32 v0, 0xffff, v16
	v_dual_mov_b32 v2, 0 :: v_dual_and_b32 v1, 0xffff, v13
	s_mul_hi_u32 s1, s16, 0x3490
	s_mul_i32 s21, s17, 0x3490
	s_mul_i32 s13, s16, 0x3490
	v_mov_b32_e32 v3, 0
	s_add_i32 s1, s1, s21
	s_mov_b32 s15, 0
	v_cndmask_b32_e64 v13, v0, v1, s0
	s_delay_alu instid0(VALU_DEP_2)
	v_dual_mov_b32 v0, v2 :: v_dual_mov_b32 v1, v3
	s_waitcnt lgkmcnt(0)
	s_add_u32 s13, s6, s13
	s_addc_u32 s21, s7, s1
	s_lshl_b64 s[0:1], s[18:19], 2
	s_lshl_b64 s[6:7], s[14:15], 2
	v_add_co_u32 v14, s13, s13, v17
	s_delay_alu instid0(VALU_DEP_1)
	v_add_co_ci_u32_e64 v15, null, s21, 0, s13
	s_sub_u32 s0, s0, s6
	s_subb_u32 s1, s1, s7
	s_add_u32 s0, s4, s0
	s_addc_u32 s1, s5, s1
	s_set_inst_prefetch_distance 0x1
	s_branch .LBB124_12
	.p2align	6
.LBB124_11:                             ;   in Loop: Header=BB124_12 Depth=1
	s_add_u32 s16, s16, 1
	s_addc_u32 s17, s17, 0
	s_add_u32 s0, s0, 4
	v_cmp_lt_i64_e64 s4, s[16:17], s[10:11]
	s_addc_u32 s1, s1, 0
	s_delay_alu instid0(VALU_DEP_1)
	s_and_b32 vcc_lo, exec_lo, s4
	s_cbranch_vccz .LBB124_14
.LBB124_12:                             ; =>This Inner Loop Header: Depth=1
	v_cmp_ge_i64_e64 s4, s[16:17], s[10:11]
	s_delay_alu instid0(VALU_DEP_1)
	s_and_b32 vcc_lo, exec_lo, s4
	s_cbranch_vccnz .LBB124_11
; %bb.13:                               ;   in Loop: Header=BB124_12 Depth=1
	s_load_b32 s4, s[0:1], 0x0
	s_waitcnt lgkmcnt(0)
	s_sub_i32 s4, s4, s14
	s_delay_alu instid0(SALU_CYCLE_1) | instskip(NEXT) | instid1(VALU_DEP_1)
	v_mad_u64_u32 v[18:19], null, s4, 29, v[13:14]
	v_ashrrev_i32_e32 v19, 31, v18
	s_delay_alu instid0(VALU_DEP_1) | instskip(NEXT) | instid1(VALU_DEP_1)
	v_lshlrev_b64 v[18:19], 4, v[18:19]
	v_add_co_u32 v22, vcc_lo, s2, v18
	s_delay_alu instid0(VALU_DEP_2)
	v_add_co_ci_u32_e32 v23, vcc_lo, s3, v19, vcc_lo
	global_load_b128 v[18:21], v[14:15], off
	global_load_b128 v[22:25], v[22:23], off
	v_add_co_u32 v14, vcc_lo, 0x3490, v14
	v_add_co_ci_u32_e32 v15, vcc_lo, 0, v15, vcc_lo
	s_waitcnt vmcnt(0)
	v_fma_f64 v[0:1], v[18:19], v[22:23], v[0:1]
	v_fma_f64 v[2:3], v[20:21], v[22:23], v[2:3]
	s_delay_alu instid0(VALU_DEP_2) | instskip(NEXT) | instid1(VALU_DEP_2)
	v_fma_f64 v[0:1], -v[20:21], v[24:25], v[0:1]
	v_fma_f64 v[2:3], v[18:19], v[24:25], v[2:3]
	s_branch .LBB124_11
.LBB124_14:
	s_set_inst_prefetch_distance 0x2
	s_and_b32 vcc_lo, exec_lo, s20
	ds_store_b128 v17, v[0:3]
	s_waitcnt vmcnt(0) lgkmcnt(0)
	s_barrier
	buffer_gl0_inv
	s_cbranch_vccz .LBB124_26
; %bb.15:
	s_mov_b32 s0, exec_lo
	v_cmpx_gt_u16_e32 13, v16
	s_cbranch_execz .LBB124_17
; %bb.16:
	ds_load_b128 v[18:21], v17 offset:256
	ds_load_b128 v[22:25], v17
	s_waitcnt lgkmcnt(0)
	v_add_f64 v[18:19], v[18:19], v[22:23]
	v_add_f64 v[20:21], v[20:21], v[24:25]
	ds_store_b128 v17, v[18:21]
.LBB124_17:
	s_or_b32 exec_lo, exec_lo, s0
	s_delay_alu instid0(SALU_CYCLE_1)
	s_mov_b32 s0, exec_lo
	s_waitcnt lgkmcnt(0)
	s_barrier
	buffer_gl0_inv
	v_cmpx_gt_u16_e32 8, v16
	s_cbranch_execz .LBB124_19
; %bb.18:
	ds_load_b128 v[18:21], v17 offset:128
	ds_load_b128 v[22:25], v17
	s_waitcnt lgkmcnt(0)
	v_add_f64 v[18:19], v[18:19], v[22:23]
	v_add_f64 v[20:21], v[20:21], v[24:25]
	ds_store_b128 v17, v[18:21]
.LBB124_19:
	s_or_b32 exec_lo, exec_lo, s0
	s_delay_alu instid0(SALU_CYCLE_1)
	s_mov_b32 s0, exec_lo
	s_waitcnt lgkmcnt(0)
	s_barrier
	buffer_gl0_inv
	;; [unrolled: 16-line block ×3, first 2 shown]
	v_cmpx_gt_u16_e32 2, v16
	s_cbranch_execz .LBB124_23
; %bb.22:
	ds_load_b128 v[13:16], v17
	ds_load_b128 v[18:21], v17 offset:32
	s_waitcnt lgkmcnt(0)
	v_add_f64 v[13:14], v[18:19], v[13:14]
	v_add_f64 v[15:16], v[20:21], v[15:16]
	ds_store_b128 v17, v[13:16]
.LBB124_23:
	s_or_b32 exec_lo, exec_lo, s0
	v_dual_mov_b32 v16, v3 :: v_dual_mov_b32 v15, v2
	v_dual_mov_b32 v14, v1 :: v_dual_mov_b32 v13, v0
	s_mov_b32 s0, exec_lo
	s_waitcnt lgkmcnt(0)
	s_barrier
	buffer_gl0_inv
	v_cmpx_gt_u32_e32 29, v4
	s_cbranch_execz .LBB124_25
; %bb.24:
	v_mul_u32_u24_e32 v13, 29, v4
	s_delay_alu instid0(VALU_DEP_1)
	v_lshlrev_b32_e32 v18, 4, v13
	ds_load_b128 v[13:16], v18
	ds_load_b128 v[18:21], v18 offset:16
	s_waitcnt lgkmcnt(0)
	v_add_f64 v[13:14], v[18:19], v[13:14]
	v_add_f64 v[15:16], v[20:21], v[15:16]
.LBB124_25:
	s_or_b32 exec_lo, exec_lo, s0
	s_branch .LBB124_38
.LBB124_26:
                                        ; implicit-def: $vgpr15_vgpr16
                                        ; implicit-def: $vgpr13_vgpr14
	s_cbranch_execz .LBB124_38
; %bb.27:
	s_mov_b32 s0, exec_lo
	v_cmpx_gt_u32_e32 0x179, v4
	s_cbranch_execz .LBB124_29
; %bb.28:
	ds_load_b128 v[13:16], v17 offset:7424
	ds_load_b128 v[18:21], v17
	s_waitcnt lgkmcnt(0)
	v_add_f64 v[13:14], v[13:14], v[18:19]
	v_add_f64 v[15:16], v[15:16], v[20:21]
	ds_store_b128 v17, v[13:16]
.LBB124_29:
	s_or_b32 exec_lo, exec_lo, s0
	s_delay_alu instid0(SALU_CYCLE_1)
	s_mov_b32 s0, exec_lo
	s_waitcnt lgkmcnt(0)
	s_barrier
	buffer_gl0_inv
	v_cmpx_gt_u32_e32 0xe8, v4
	s_cbranch_execz .LBB124_31
; %bb.30:
	ds_load_b128 v[13:16], v17 offset:3712
	ds_load_b128 v[18:21], v17
	s_waitcnt lgkmcnt(0)
	v_add_f64 v[13:14], v[13:14], v[18:19]
	v_add_f64 v[15:16], v[15:16], v[20:21]
	ds_store_b128 v17, v[13:16]
.LBB124_31:
	s_or_b32 exec_lo, exec_lo, s0
	s_delay_alu instid0(SALU_CYCLE_1)
	s_mov_b32 s0, exec_lo
	s_waitcnt lgkmcnt(0)
	s_barrier
	buffer_gl0_inv
	;; [unrolled: 16-line block ×3, first 2 shown]
	v_cmpx_gt_u32_e32 58, v4
	s_cbranch_execz .LBB124_35
; %bb.34:
	ds_load_b128 v[13:16], v17 offset:928
	ds_load_b128 v[18:21], v17
	s_waitcnt lgkmcnt(0)
	v_add_f64 v[13:14], v[13:14], v[18:19]
	v_add_f64 v[15:16], v[15:16], v[20:21]
	ds_store_b128 v17, v[13:16]
.LBB124_35:
	s_or_b32 exec_lo, exec_lo, s0
	s_delay_alu instid0(SALU_CYCLE_1)
	s_mov_b32 s0, exec_lo
	s_waitcnt lgkmcnt(0)
	buffer_gl0_inv
	v_cmpx_gt_u32_e32 29, v4
	s_cbranch_execz .LBB124_37
; %bb.36:
	ds_load_b128 v[0:3], v17 offset:464
	ds_load_b128 v[13:16], v17
	s_waitcnt lgkmcnt(0)
	v_add_f64 v[0:1], v[0:1], v[13:14]
	v_add_f64 v[2:3], v[2:3], v[15:16]
.LBB124_37:
	s_or_b32 exec_lo, exec_lo, s0
	s_delay_alu instid0(VALU_DEP_1) | instskip(NEXT) | instid1(VALU_DEP_3)
	v_dual_mov_b32 v16, v3 :: v_dual_mov_b32 v15, v2
	v_dual_mov_b32 v14, v1 :: v_dual_mov_b32 v13, v0
.LBB124_38:
	v_cmp_gt_u32_e32 vcc_lo, 29, v4
	s_and_b32 exec_lo, exec_lo, vcc_lo
	s_cbranch_execz .LBB124_43
; %bb.39:
	s_delay_alu instid0(VALU_DEP_2) | instskip(SKIP_3) | instid1(VALU_DEP_4)
	v_mul_f64 v[0:1], v[15:16], -v[11:12]
	v_mul_f64 v[2:3], v[9:10], v[15:16]
	v_cmp_eq_f64_e32 vcc_lo, 0, v[5:6]
	v_cmp_eq_f64_e64 s0, 0, v[7:8]
	v_fma_f64 v[0:1], v[9:10], v[13:14], v[0:1]
	s_delay_alu instid0(VALU_DEP_4) | instskip(NEXT) | instid1(VALU_DEP_3)
	v_fma_f64 v[2:3], v[11:12], v[13:14], v[2:3]
	s_and_b32 s0, vcc_lo, s0
	s_delay_alu instid0(SALU_CYCLE_1) | instskip(NEXT) | instid1(SALU_CYCLE_1)
	s_and_saveexec_b32 s1, s0
	s_xor_b32 s0, exec_lo, s1
	s_cbranch_execz .LBB124_41
; %bb.40:
	v_mad_u64_u32 v[5:6], null, s12, 29, v[4:5]
	v_mov_b32_e32 v6, 0
                                        ; implicit-def: $vgpr7_vgpr8
	s_delay_alu instid0(VALU_DEP_1) | instskip(NEXT) | instid1(VALU_DEP_1)
	v_lshlrev_b64 v[4:5], 4, v[5:6]
	v_add_co_u32 v4, vcc_lo, s8, v4
	s_delay_alu instid0(VALU_DEP_2)
	v_add_co_ci_u32_e32 v5, vcc_lo, s9, v5, vcc_lo
	global_store_b128 v[4:5], v[0:3], off
                                        ; implicit-def: $vgpr4
                                        ; implicit-def: $vgpr5_vgpr6
                                        ; implicit-def: $vgpr0_vgpr1
.LBB124_41:
	s_and_not1_saveexec_b32 s0, s0
	s_cbranch_execz .LBB124_43
; %bb.42:
	v_mad_u64_u32 v[9:10], null, s12, 29, v[4:5]
	v_mov_b32_e32 v10, 0
	s_delay_alu instid0(VALU_DEP_1) | instskip(NEXT) | instid1(VALU_DEP_1)
	v_lshlrev_b64 v[9:10], 4, v[9:10]
	v_add_co_u32 v13, vcc_lo, s8, v9
	s_delay_alu instid0(VALU_DEP_2) | instskip(SKIP_4) | instid1(VALU_DEP_2)
	v_add_co_ci_u32_e32 v14, vcc_lo, s9, v10, vcc_lo
	global_load_b128 v[9:12], v[13:14], off
	s_waitcnt vmcnt(0)
	v_fma_f64 v[0:1], v[5:6], v[9:10], v[0:1]
	v_fma_f64 v[2:3], v[7:8], v[9:10], v[2:3]
	v_fma_f64 v[0:1], -v[7:8], v[11:12], v[0:1]
	s_delay_alu instid0(VALU_DEP_2)
	v_fma_f64 v[2:3], v[5:6], v[11:12], v[2:3]
	global_store_b128 v[13:14], v[0:3], off
.LBB124_43:
	s_nop 0
	s_sendmsg sendmsg(MSG_DEALLOC_VGPRS)
	s_endpgm
	.section	.rodata,"a",@progbits
	.p2align	6, 0x0
	.amdhsa_kernel _ZN9rocsparseL20bsrxmvn_17_32_kernelILj29E21rocsparse_complex_numIdEliS2_S2_S2_EEvT2_20rocsparse_direction_NS_24const_host_device_scalarIT0_EES3_PKS3_PKT1_SC_S9_PKT3_PKT4_S7_PT5_21rocsparse_index_base_b
		.amdhsa_group_segment_fixed_size 26912
		.amdhsa_private_segment_fixed_size 0
		.amdhsa_kernarg_size 112
		.amdhsa_user_sgpr_count 15
		.amdhsa_user_sgpr_dispatch_ptr 1
		.amdhsa_user_sgpr_queue_ptr 0
		.amdhsa_user_sgpr_kernarg_segment_ptr 1
		.amdhsa_user_sgpr_dispatch_id 0
		.amdhsa_user_sgpr_private_segment_size 0
		.amdhsa_wavefront_size32 1
		.amdhsa_uses_dynamic_stack 0
		.amdhsa_enable_private_segment 0
		.amdhsa_system_sgpr_workgroup_id_x 1
		.amdhsa_system_sgpr_workgroup_id_y 0
		.amdhsa_system_sgpr_workgroup_id_z 0
		.amdhsa_system_sgpr_workgroup_info 0
		.amdhsa_system_vgpr_workitem_id 2
		.amdhsa_next_free_vgpr 26
		.amdhsa_next_free_sgpr 22
		.amdhsa_reserve_vcc 1
		.amdhsa_float_round_mode_32 0
		.amdhsa_float_round_mode_16_64 0
		.amdhsa_float_denorm_mode_32 3
		.amdhsa_float_denorm_mode_16_64 3
		.amdhsa_dx10_clamp 1
		.amdhsa_ieee_mode 1
		.amdhsa_fp16_overflow 0
		.amdhsa_workgroup_processor_mode 1
		.amdhsa_memory_ordered 1
		.amdhsa_forward_progress 0
		.amdhsa_shared_vgpr_count 0
		.amdhsa_exception_fp_ieee_invalid_op 0
		.amdhsa_exception_fp_denorm_src 0
		.amdhsa_exception_fp_ieee_div_zero 0
		.amdhsa_exception_fp_ieee_overflow 0
		.amdhsa_exception_fp_ieee_underflow 0
		.amdhsa_exception_fp_ieee_inexact 0
		.amdhsa_exception_int_div_zero 0
	.end_amdhsa_kernel
	.section	.text._ZN9rocsparseL20bsrxmvn_17_32_kernelILj29E21rocsparse_complex_numIdEliS2_S2_S2_EEvT2_20rocsparse_direction_NS_24const_host_device_scalarIT0_EES3_PKS3_PKT1_SC_S9_PKT3_PKT4_S7_PT5_21rocsparse_index_base_b,"axG",@progbits,_ZN9rocsparseL20bsrxmvn_17_32_kernelILj29E21rocsparse_complex_numIdEliS2_S2_S2_EEvT2_20rocsparse_direction_NS_24const_host_device_scalarIT0_EES3_PKS3_PKT1_SC_S9_PKT3_PKT4_S7_PT5_21rocsparse_index_base_b,comdat
.Lfunc_end124:
	.size	_ZN9rocsparseL20bsrxmvn_17_32_kernelILj29E21rocsparse_complex_numIdEliS2_S2_S2_EEvT2_20rocsparse_direction_NS_24const_host_device_scalarIT0_EES3_PKS3_PKT1_SC_S9_PKT3_PKT4_S7_PT5_21rocsparse_index_base_b, .Lfunc_end124-_ZN9rocsparseL20bsrxmvn_17_32_kernelILj29E21rocsparse_complex_numIdEliS2_S2_S2_EEvT2_20rocsparse_direction_NS_24const_host_device_scalarIT0_EES3_PKS3_PKT1_SC_S9_PKT3_PKT4_S7_PT5_21rocsparse_index_base_b
                                        ; -- End function
	.section	.AMDGPU.csdata,"",@progbits
; Kernel info:
; codeLenInByte = 2068
; NumSgprs: 24
; NumVgprs: 26
; ScratchSize: 0
; MemoryBound: 0
; FloatMode: 240
; IeeeMode: 1
; LDSByteSize: 26912 bytes/workgroup (compile time only)
; SGPRBlocks: 2
; VGPRBlocks: 3
; NumSGPRsForWavesPerEU: 24
; NumVGPRsForWavesPerEU: 26
; Occupancy: 14
; WaveLimiterHint : 1
; COMPUTE_PGM_RSRC2:SCRATCH_EN: 0
; COMPUTE_PGM_RSRC2:USER_SGPR: 15
; COMPUTE_PGM_RSRC2:TRAP_HANDLER: 0
; COMPUTE_PGM_RSRC2:TGID_X_EN: 1
; COMPUTE_PGM_RSRC2:TGID_Y_EN: 0
; COMPUTE_PGM_RSRC2:TGID_Z_EN: 0
; COMPUTE_PGM_RSRC2:TIDIG_COMP_CNT: 2
	.section	.text._ZN9rocsparseL20bsrxmvn_17_32_kernelILj30E21rocsparse_complex_numIdEliS2_S2_S2_EEvT2_20rocsparse_direction_NS_24const_host_device_scalarIT0_EES3_PKS3_PKT1_SC_S9_PKT3_PKT4_S7_PT5_21rocsparse_index_base_b,"axG",@progbits,_ZN9rocsparseL20bsrxmvn_17_32_kernelILj30E21rocsparse_complex_numIdEliS2_S2_S2_EEvT2_20rocsparse_direction_NS_24const_host_device_scalarIT0_EES3_PKS3_PKT1_SC_S9_PKT3_PKT4_S7_PT5_21rocsparse_index_base_b,comdat
	.globl	_ZN9rocsparseL20bsrxmvn_17_32_kernelILj30E21rocsparse_complex_numIdEliS2_S2_S2_EEvT2_20rocsparse_direction_NS_24const_host_device_scalarIT0_EES3_PKS3_PKT1_SC_S9_PKT3_PKT4_S7_PT5_21rocsparse_index_base_b ; -- Begin function _ZN9rocsparseL20bsrxmvn_17_32_kernelILj30E21rocsparse_complex_numIdEliS2_S2_S2_EEvT2_20rocsparse_direction_NS_24const_host_device_scalarIT0_EES3_PKS3_PKT1_SC_S9_PKT3_PKT4_S7_PT5_21rocsparse_index_base_b
	.p2align	8
	.type	_ZN9rocsparseL20bsrxmvn_17_32_kernelILj30E21rocsparse_complex_numIdEliS2_S2_S2_EEvT2_20rocsparse_direction_NS_24const_host_device_scalarIT0_EES3_PKS3_PKT1_SC_S9_PKT3_PKT4_S7_PT5_21rocsparse_index_base_b,@function
_ZN9rocsparseL20bsrxmvn_17_32_kernelILj30E21rocsparse_complex_numIdEliS2_S2_S2_EEvT2_20rocsparse_direction_NS_24const_host_device_scalarIT0_EES3_PKS3_PKT1_SC_S9_PKT3_PKT4_S7_PT5_21rocsparse_index_base_b: ; @_ZN9rocsparseL20bsrxmvn_17_32_kernelILj30E21rocsparse_complex_numIdEliS2_S2_S2_EEvT2_20rocsparse_direction_NS_24const_host_device_scalarIT0_EES3_PKS3_PKT1_SC_S9_PKT3_PKT4_S7_PT5_21rocsparse_index_base_b
; %bb.0:
	s_mov_b32 s12, s15
	s_clause 0x1
	s_load_b64 s[14:15], s[2:3], 0x68
	s_load_b128 s[4:7], s[2:3], 0x8
	s_load_b64 s[16:17], s[0:1], 0x4
	s_mov_b64 s[0:1], src_shared_base
	v_and_b32_e32 v4, 0x3ff, v0
	s_load_b128 s[8:11], s[2:3], 0x50
	v_bfe_u32 v2, v0, 10, 10
	v_bfe_u32 v0, v0, 20, 10
	s_waitcnt lgkmcnt(0)
	s_bitcmp1_b32 s15, 0
	v_mov_b32_e32 v12, s7
	s_cselect_b32 s0, -1, 0
	v_mov_b32_e32 v11, s6
	s_and_b32 vcc_lo, s0, exec_lo
	s_cselect_b32 s13, s1, s5
	s_lshr_b32 s15, s16, 16
	v_mov_b32_e32 v6, s13
	s_mul_i32 s15, s15, s17
	s_xor_b32 s6, s0, -1
	v_mul_lo_u32 v1, s15, v4
	s_delay_alu instid0(VALU_DEP_1) | instskip(SKIP_1) | instid1(VALU_DEP_2)
	v_mad_u32_u24 v1, v2, s17, v1
	v_dual_mov_b32 v2, s8 :: v_dual_mov_b32 v3, s9
	v_add_lshl_u32 v7, v1, v0, 3
	v_dual_mov_b32 v0, s4 :: v_dual_mov_b32 v1, s5
	ds_store_b64 v7, v[0:1] offset:21600
	ds_store_b64 v7, v[2:3] offset:14400
	v_add_nc_u32_e32 v5, 0x5460, v7
	v_add_nc_u32_e32 v0, 0x3840, v7
	s_delay_alu instid0(VALU_DEP_2)
	v_cndmask_b32_e64 v5, s4, v5, s0
	flat_load_b64 v[9:10], v[5:6]
	s_cbranch_vccnz .LBB125_2
; %bb.1:
	v_dual_mov_b32 v1, s4 :: v_dual_mov_b32 v2, s5
	flat_load_b64 v[11:12], v[1:2] offset:8
.LBB125_2:
	s_and_b32 s4, s0, exec_lo
	s_cselect_b32 s1, s1, s9
	v_cndmask_b32_e64 v0, s8, v0, s0
	v_mov_b32_e32 v1, s1
	v_dual_mov_b32 v7, s10 :: v_dual_mov_b32 v8, s11
	s_and_not1_b32 vcc_lo, exec_lo, s6
	flat_load_b64 v[5:6], v[0:1]
	s_cbranch_vccnz .LBB125_4
; %bb.3:
	v_dual_mov_b32 v0, s8 :: v_dual_mov_b32 v1, s9
	flat_load_b64 v[7:8], v[0:1] offset:8
.LBB125_4:
	s_waitcnt vmcnt(1) lgkmcnt(1)
	v_cmp_eq_f64_e32 vcc_lo, 0, v[9:10]
	v_cmp_eq_f64_e64 s0, 0, v[11:12]
	s_delay_alu instid0(VALU_DEP_1)
	s_and_b32 s4, vcc_lo, s0
	s_mov_b32 s0, -1
	s_and_saveexec_b32 s1, s4
	s_cbranch_execz .LBB125_6
; %bb.5:
	s_waitcnt vmcnt(0) lgkmcnt(0)
	v_cmp_neq_f64_e32 vcc_lo, 1.0, v[5:6]
	v_cmp_neq_f64_e64 s0, 0, v[7:8]
	s_delay_alu instid0(VALU_DEP_1) | instskip(NEXT) | instid1(SALU_CYCLE_1)
	s_or_b32 s0, vcc_lo, s0
	s_or_not1_b32 s0, s0, exec_lo
.LBB125_6:
	s_or_b32 exec_lo, exec_lo, s1
	s_and_saveexec_b32 s1, s0
	s_cbranch_execz .LBB125_43
; %bb.7:
	s_clause 0x1
	s_load_b128 s[4:7], s[2:3], 0x20
	s_load_b64 s[8:9], s[2:3], 0x30
	s_waitcnt lgkmcnt(0)
	s_cmp_eq_u64 s[4:5], 0
	s_cbranch_scc1 .LBB125_9
; %bb.8:
	s_ashr_i32 s13, s12, 31
	s_delay_alu instid0(SALU_CYCLE_1) | instskip(NEXT) | instid1(SALU_CYCLE_1)
	s_lshl_b64 s[0:1], s[12:13], 2
	s_add_u32 s0, s4, s0
	s_addc_u32 s1, s5, s1
	s_load_b32 s0, s[0:1], 0x0
	s_waitcnt lgkmcnt(0)
	s_sub_i32 s12, s0, s14
.LBB125_9:
	s_load_b32 s1, s[2:3], 0x4
	v_mul_u32_u24_e32 v0, 0x889, v4
	v_dual_mov_b32 v2, 0 :: v_dual_lshlrev_b32 v17, 4, v4
	v_mov_b32_e32 v3, 0
	s_delay_alu instid0(VALU_DEP_3) | instskip(NEXT) | instid1(VALU_DEP_1)
	v_lshrrev_b32_e32 v13, 16, v0
	v_mul_lo_u16 v0, v13, 30
	s_delay_alu instid0(VALU_DEP_1) | instskip(NEXT) | instid1(VALU_DEP_4)
	v_sub_nc_u16 v16, v4, v0
	v_dual_mov_b32 v0, v2 :: v_dual_mov_b32 v1, v3
	s_waitcnt lgkmcnt(0)
	s_cmp_eq_u32 s1, 1
	s_cselect_b32 s0, -1, 0
	s_cmp_lg_u32 s1, 1
	s_cselect_b32 s20, -1, 0
	s_ashr_i32 s13, s12, 31
	s_delay_alu instid0(SALU_CYCLE_1) | instskip(NEXT) | instid1(SALU_CYCLE_1)
	s_lshl_b64 s[4:5], s[12:13], 3
	s_add_u32 s6, s6, s4
	s_addc_u32 s7, s7, s5
	s_add_u32 s1, s6, 8
	s_addc_u32 s10, s7, 0
	;; [unrolled: 2-line block ×3, first 2 shown]
	s_cmp_eq_u64 s[8:9], 0
	s_load_b64 s[8:9], s[2:3], 0x60
	s_cselect_b32 s5, s10, s5
	s_cselect_b32 s4, s1, s4
	s_load_b64 s[18:19], s[6:7], 0x0
	s_load_b64 s[10:11], s[4:5], 0x0
	s_waitcnt lgkmcnt(0)
	v_cmp_ge_i64_e64 s1, s[18:19], s[10:11]
	s_delay_alu instid0(VALU_DEP_1)
	s_and_b32 vcc_lo, exec_lo, s1
	s_cbranch_vccnz .LBB125_14
; %bb.10:
	s_clause 0x1
	s_load_b128 s[4:7], s[2:3], 0x38
	s_load_b64 s[2:3], s[2:3], 0x48
	s_sub_u32 s10, s10, s14
	s_subb_u32 s11, s11, 0
	s_sub_u32 s16, s18, s14
	s_subb_u32 s17, s19, 0
	v_and_b32_e32 v0, 0xffff, v16
	v_dual_mov_b32 v2, 0 :: v_dual_and_b32 v1, 0xffff, v13
	s_mul_hi_u32 s1, s16, 0x3840
	s_mul_i32 s21, s17, 0x3840
	s_mul_i32 s13, s16, 0x3840
	v_mov_b32_e32 v3, 0
	s_add_i32 s1, s1, s21
	s_mov_b32 s15, 0
	v_cndmask_b32_e64 v13, v0, v1, s0
	s_delay_alu instid0(VALU_DEP_2)
	v_dual_mov_b32 v0, v2 :: v_dual_mov_b32 v1, v3
	s_waitcnt lgkmcnt(0)
	s_add_u32 s13, s6, s13
	s_addc_u32 s21, s7, s1
	s_lshl_b64 s[0:1], s[18:19], 2
	s_lshl_b64 s[6:7], s[14:15], 2
	v_add_co_u32 v14, s13, s13, v17
	s_delay_alu instid0(VALU_DEP_1)
	v_add_co_ci_u32_e64 v15, null, s21, 0, s13
	s_sub_u32 s0, s0, s6
	s_subb_u32 s1, s1, s7
	s_add_u32 s0, s4, s0
	s_addc_u32 s1, s5, s1
	s_set_inst_prefetch_distance 0x1
	s_branch .LBB125_12
	.p2align	6
.LBB125_11:                             ;   in Loop: Header=BB125_12 Depth=1
	s_add_u32 s16, s16, 1
	s_addc_u32 s17, s17, 0
	s_add_u32 s0, s0, 4
	v_cmp_lt_i64_e64 s4, s[16:17], s[10:11]
	s_addc_u32 s1, s1, 0
	s_delay_alu instid0(VALU_DEP_1)
	s_and_b32 vcc_lo, exec_lo, s4
	s_cbranch_vccz .LBB125_14
.LBB125_12:                             ; =>This Inner Loop Header: Depth=1
	v_cmp_ge_i64_e64 s4, s[16:17], s[10:11]
	s_delay_alu instid0(VALU_DEP_1)
	s_and_b32 vcc_lo, exec_lo, s4
	s_cbranch_vccnz .LBB125_11
; %bb.13:                               ;   in Loop: Header=BB125_12 Depth=1
	s_load_b32 s4, s[0:1], 0x0
	s_waitcnt lgkmcnt(0)
	s_sub_i32 s4, s4, s14
	s_delay_alu instid0(SALU_CYCLE_1) | instskip(NEXT) | instid1(VALU_DEP_1)
	v_mad_u64_u32 v[18:19], null, s4, 30, v[13:14]
	v_ashrrev_i32_e32 v19, 31, v18
	s_delay_alu instid0(VALU_DEP_1) | instskip(NEXT) | instid1(VALU_DEP_1)
	v_lshlrev_b64 v[18:19], 4, v[18:19]
	v_add_co_u32 v22, vcc_lo, s2, v18
	s_delay_alu instid0(VALU_DEP_2)
	v_add_co_ci_u32_e32 v23, vcc_lo, s3, v19, vcc_lo
	global_load_b128 v[18:21], v[14:15], off
	global_load_b128 v[22:25], v[22:23], off
	v_add_co_u32 v14, vcc_lo, 0x3840, v14
	v_add_co_ci_u32_e32 v15, vcc_lo, 0, v15, vcc_lo
	s_waitcnt vmcnt(0)
	v_fma_f64 v[0:1], v[18:19], v[22:23], v[0:1]
	v_fma_f64 v[2:3], v[20:21], v[22:23], v[2:3]
	s_delay_alu instid0(VALU_DEP_2) | instskip(NEXT) | instid1(VALU_DEP_2)
	v_fma_f64 v[0:1], -v[20:21], v[24:25], v[0:1]
	v_fma_f64 v[2:3], v[18:19], v[24:25], v[2:3]
	s_branch .LBB125_11
.LBB125_14:
	s_set_inst_prefetch_distance 0x2
	s_and_b32 vcc_lo, exec_lo, s20
	ds_store_b128 v17, v[0:3]
	s_waitcnt vmcnt(0) lgkmcnt(0)
	s_barrier
	buffer_gl0_inv
	s_cbranch_vccz .LBB125_26
; %bb.15:
	s_mov_b32 s0, exec_lo
	v_cmpx_gt_u16_e32 14, v16
	s_cbranch_execz .LBB125_17
; %bb.16:
	ds_load_b128 v[18:21], v17 offset:256
	ds_load_b128 v[22:25], v17
	s_waitcnt lgkmcnt(0)
	v_add_f64 v[18:19], v[18:19], v[22:23]
	v_add_f64 v[20:21], v[20:21], v[24:25]
	ds_store_b128 v17, v[18:21]
.LBB125_17:
	s_or_b32 exec_lo, exec_lo, s0
	s_delay_alu instid0(SALU_CYCLE_1)
	s_mov_b32 s0, exec_lo
	s_waitcnt lgkmcnt(0)
	s_barrier
	buffer_gl0_inv
	v_cmpx_gt_u16_e32 8, v16
	s_cbranch_execz .LBB125_19
; %bb.18:
	ds_load_b128 v[18:21], v17 offset:128
	ds_load_b128 v[22:25], v17
	s_waitcnt lgkmcnt(0)
	v_add_f64 v[18:19], v[18:19], v[22:23]
	v_add_f64 v[20:21], v[20:21], v[24:25]
	ds_store_b128 v17, v[18:21]
.LBB125_19:
	s_or_b32 exec_lo, exec_lo, s0
	s_delay_alu instid0(SALU_CYCLE_1)
	s_mov_b32 s0, exec_lo
	s_waitcnt lgkmcnt(0)
	s_barrier
	buffer_gl0_inv
	;; [unrolled: 16-line block ×3, first 2 shown]
	v_cmpx_gt_u16_e32 2, v16
	s_cbranch_execz .LBB125_23
; %bb.22:
	ds_load_b128 v[13:16], v17
	ds_load_b128 v[18:21], v17 offset:32
	s_waitcnt lgkmcnt(0)
	v_add_f64 v[13:14], v[18:19], v[13:14]
	v_add_f64 v[15:16], v[20:21], v[15:16]
	ds_store_b128 v17, v[13:16]
.LBB125_23:
	s_or_b32 exec_lo, exec_lo, s0
	v_dual_mov_b32 v16, v3 :: v_dual_mov_b32 v15, v2
	v_dual_mov_b32 v14, v1 :: v_dual_mov_b32 v13, v0
	s_mov_b32 s0, exec_lo
	s_waitcnt lgkmcnt(0)
	s_barrier
	buffer_gl0_inv
	v_cmpx_gt_u32_e32 30, v4
	s_cbranch_execz .LBB125_25
; %bb.24:
	v_mul_u32_u24_e32 v13, 30, v4
	s_delay_alu instid0(VALU_DEP_1)
	v_lshlrev_b32_e32 v18, 4, v13
	ds_load_b128 v[13:16], v18
	ds_load_b128 v[18:21], v18 offset:16
	s_waitcnt lgkmcnt(0)
	v_add_f64 v[13:14], v[18:19], v[13:14]
	v_add_f64 v[15:16], v[20:21], v[15:16]
.LBB125_25:
	s_or_b32 exec_lo, exec_lo, s0
	s_branch .LBB125_38
.LBB125_26:
                                        ; implicit-def: $vgpr15_vgpr16
                                        ; implicit-def: $vgpr13_vgpr14
	s_cbranch_execz .LBB125_38
; %bb.27:
	s_mov_b32 s0, exec_lo
	v_cmpx_gt_u32_e32 0x1a4, v4
	s_cbranch_execz .LBB125_29
; %bb.28:
	ds_load_b128 v[13:16], v17 offset:7680
	ds_load_b128 v[18:21], v17
	s_waitcnt lgkmcnt(0)
	v_add_f64 v[13:14], v[13:14], v[18:19]
	v_add_f64 v[15:16], v[15:16], v[20:21]
	ds_store_b128 v17, v[13:16]
.LBB125_29:
	s_or_b32 exec_lo, exec_lo, s0
	s_delay_alu instid0(SALU_CYCLE_1)
	s_mov_b32 s0, exec_lo
	s_waitcnt lgkmcnt(0)
	s_barrier
	buffer_gl0_inv
	v_cmpx_gt_u32_e32 0xf0, v4
	s_cbranch_execz .LBB125_31
; %bb.30:
	ds_load_b128 v[13:16], v17 offset:3840
	ds_load_b128 v[18:21], v17
	s_waitcnt lgkmcnt(0)
	v_add_f64 v[13:14], v[13:14], v[18:19]
	v_add_f64 v[15:16], v[15:16], v[20:21]
	ds_store_b128 v17, v[13:16]
.LBB125_31:
	s_or_b32 exec_lo, exec_lo, s0
	s_delay_alu instid0(SALU_CYCLE_1)
	s_mov_b32 s0, exec_lo
	s_waitcnt lgkmcnt(0)
	s_barrier
	buffer_gl0_inv
	;; [unrolled: 16-line block ×3, first 2 shown]
	v_cmpx_gt_u32_e32 60, v4
	s_cbranch_execz .LBB125_35
; %bb.34:
	ds_load_b128 v[13:16], v17 offset:960
	ds_load_b128 v[18:21], v17
	s_waitcnt lgkmcnt(0)
	v_add_f64 v[13:14], v[13:14], v[18:19]
	v_add_f64 v[15:16], v[15:16], v[20:21]
	ds_store_b128 v17, v[13:16]
.LBB125_35:
	s_or_b32 exec_lo, exec_lo, s0
	s_delay_alu instid0(SALU_CYCLE_1)
	s_mov_b32 s0, exec_lo
	s_waitcnt lgkmcnt(0)
	buffer_gl0_inv
	v_cmpx_gt_u32_e32 30, v4
	s_cbranch_execz .LBB125_37
; %bb.36:
	ds_load_b128 v[0:3], v17 offset:480
	ds_load_b128 v[13:16], v17
	s_waitcnt lgkmcnt(0)
	v_add_f64 v[0:1], v[0:1], v[13:14]
	v_add_f64 v[2:3], v[2:3], v[15:16]
.LBB125_37:
	s_or_b32 exec_lo, exec_lo, s0
	s_delay_alu instid0(VALU_DEP_1) | instskip(NEXT) | instid1(VALU_DEP_3)
	v_dual_mov_b32 v16, v3 :: v_dual_mov_b32 v15, v2
	v_dual_mov_b32 v14, v1 :: v_dual_mov_b32 v13, v0
.LBB125_38:
	v_cmp_gt_u32_e32 vcc_lo, 30, v4
	s_and_b32 exec_lo, exec_lo, vcc_lo
	s_cbranch_execz .LBB125_43
; %bb.39:
	s_delay_alu instid0(VALU_DEP_2) | instskip(SKIP_3) | instid1(VALU_DEP_4)
	v_mul_f64 v[0:1], v[15:16], -v[11:12]
	v_mul_f64 v[2:3], v[9:10], v[15:16]
	v_cmp_eq_f64_e32 vcc_lo, 0, v[5:6]
	v_cmp_eq_f64_e64 s0, 0, v[7:8]
	v_fma_f64 v[0:1], v[9:10], v[13:14], v[0:1]
	s_delay_alu instid0(VALU_DEP_4) | instskip(NEXT) | instid1(VALU_DEP_3)
	v_fma_f64 v[2:3], v[11:12], v[13:14], v[2:3]
	s_and_b32 s0, vcc_lo, s0
	s_delay_alu instid0(SALU_CYCLE_1) | instskip(NEXT) | instid1(SALU_CYCLE_1)
	s_and_saveexec_b32 s1, s0
	s_xor_b32 s0, exec_lo, s1
	s_cbranch_execz .LBB125_41
; %bb.40:
	v_mad_u64_u32 v[5:6], null, s12, 30, v[4:5]
	v_mov_b32_e32 v6, 0
                                        ; implicit-def: $vgpr7_vgpr8
	s_delay_alu instid0(VALU_DEP_1) | instskip(NEXT) | instid1(VALU_DEP_1)
	v_lshlrev_b64 v[4:5], 4, v[5:6]
	v_add_co_u32 v4, vcc_lo, s8, v4
	s_delay_alu instid0(VALU_DEP_2)
	v_add_co_ci_u32_e32 v5, vcc_lo, s9, v5, vcc_lo
	global_store_b128 v[4:5], v[0:3], off
                                        ; implicit-def: $vgpr4
                                        ; implicit-def: $vgpr5_vgpr6
                                        ; implicit-def: $vgpr0_vgpr1
.LBB125_41:
	s_and_not1_saveexec_b32 s0, s0
	s_cbranch_execz .LBB125_43
; %bb.42:
	v_mad_u64_u32 v[9:10], null, s12, 30, v[4:5]
	v_mov_b32_e32 v10, 0
	s_delay_alu instid0(VALU_DEP_1) | instskip(NEXT) | instid1(VALU_DEP_1)
	v_lshlrev_b64 v[9:10], 4, v[9:10]
	v_add_co_u32 v13, vcc_lo, s8, v9
	s_delay_alu instid0(VALU_DEP_2) | instskip(SKIP_4) | instid1(VALU_DEP_2)
	v_add_co_ci_u32_e32 v14, vcc_lo, s9, v10, vcc_lo
	global_load_b128 v[9:12], v[13:14], off
	s_waitcnt vmcnt(0)
	v_fma_f64 v[0:1], v[5:6], v[9:10], v[0:1]
	v_fma_f64 v[2:3], v[7:8], v[9:10], v[2:3]
	v_fma_f64 v[0:1], -v[7:8], v[11:12], v[0:1]
	s_delay_alu instid0(VALU_DEP_2)
	v_fma_f64 v[2:3], v[5:6], v[11:12], v[2:3]
	global_store_b128 v[13:14], v[0:3], off
.LBB125_43:
	s_nop 0
	s_sendmsg sendmsg(MSG_DEALLOC_VGPRS)
	s_endpgm
	.section	.rodata,"a",@progbits
	.p2align	6, 0x0
	.amdhsa_kernel _ZN9rocsparseL20bsrxmvn_17_32_kernelILj30E21rocsparse_complex_numIdEliS2_S2_S2_EEvT2_20rocsparse_direction_NS_24const_host_device_scalarIT0_EES3_PKS3_PKT1_SC_S9_PKT3_PKT4_S7_PT5_21rocsparse_index_base_b
		.amdhsa_group_segment_fixed_size 28800
		.amdhsa_private_segment_fixed_size 0
		.amdhsa_kernarg_size 112
		.amdhsa_user_sgpr_count 15
		.amdhsa_user_sgpr_dispatch_ptr 1
		.amdhsa_user_sgpr_queue_ptr 0
		.amdhsa_user_sgpr_kernarg_segment_ptr 1
		.amdhsa_user_sgpr_dispatch_id 0
		.amdhsa_user_sgpr_private_segment_size 0
		.amdhsa_wavefront_size32 1
		.amdhsa_uses_dynamic_stack 0
		.amdhsa_enable_private_segment 0
		.amdhsa_system_sgpr_workgroup_id_x 1
		.amdhsa_system_sgpr_workgroup_id_y 0
		.amdhsa_system_sgpr_workgroup_id_z 0
		.amdhsa_system_sgpr_workgroup_info 0
		.amdhsa_system_vgpr_workitem_id 2
		.amdhsa_next_free_vgpr 26
		.amdhsa_next_free_sgpr 22
		.amdhsa_reserve_vcc 1
		.amdhsa_float_round_mode_32 0
		.amdhsa_float_round_mode_16_64 0
		.amdhsa_float_denorm_mode_32 3
		.amdhsa_float_denorm_mode_16_64 3
		.amdhsa_dx10_clamp 1
		.amdhsa_ieee_mode 1
		.amdhsa_fp16_overflow 0
		.amdhsa_workgroup_processor_mode 1
		.amdhsa_memory_ordered 1
		.amdhsa_forward_progress 0
		.amdhsa_shared_vgpr_count 0
		.amdhsa_exception_fp_ieee_invalid_op 0
		.amdhsa_exception_fp_denorm_src 0
		.amdhsa_exception_fp_ieee_div_zero 0
		.amdhsa_exception_fp_ieee_overflow 0
		.amdhsa_exception_fp_ieee_underflow 0
		.amdhsa_exception_fp_ieee_inexact 0
		.amdhsa_exception_int_div_zero 0
	.end_amdhsa_kernel
	.section	.text._ZN9rocsparseL20bsrxmvn_17_32_kernelILj30E21rocsparse_complex_numIdEliS2_S2_S2_EEvT2_20rocsparse_direction_NS_24const_host_device_scalarIT0_EES3_PKS3_PKT1_SC_S9_PKT3_PKT4_S7_PT5_21rocsparse_index_base_b,"axG",@progbits,_ZN9rocsparseL20bsrxmvn_17_32_kernelILj30E21rocsparse_complex_numIdEliS2_S2_S2_EEvT2_20rocsparse_direction_NS_24const_host_device_scalarIT0_EES3_PKS3_PKT1_SC_S9_PKT3_PKT4_S7_PT5_21rocsparse_index_base_b,comdat
.Lfunc_end125:
	.size	_ZN9rocsparseL20bsrxmvn_17_32_kernelILj30E21rocsparse_complex_numIdEliS2_S2_S2_EEvT2_20rocsparse_direction_NS_24const_host_device_scalarIT0_EES3_PKS3_PKT1_SC_S9_PKT3_PKT4_S7_PT5_21rocsparse_index_base_b, .Lfunc_end125-_ZN9rocsparseL20bsrxmvn_17_32_kernelILj30E21rocsparse_complex_numIdEliS2_S2_S2_EEvT2_20rocsparse_direction_NS_24const_host_device_scalarIT0_EES3_PKS3_PKT1_SC_S9_PKT3_PKT4_S7_PT5_21rocsparse_index_base_b
                                        ; -- End function
	.section	.AMDGPU.csdata,"",@progbits
; Kernel info:
; codeLenInByte = 2068
; NumSgprs: 24
; NumVgprs: 26
; ScratchSize: 0
; MemoryBound: 0
; FloatMode: 240
; IeeeMode: 1
; LDSByteSize: 28800 bytes/workgroup (compile time only)
; SGPRBlocks: 2
; VGPRBlocks: 3
; NumSGPRsForWavesPerEU: 24
; NumVGPRsForWavesPerEU: 26
; Occupancy: 15
; WaveLimiterHint : 1
; COMPUTE_PGM_RSRC2:SCRATCH_EN: 0
; COMPUTE_PGM_RSRC2:USER_SGPR: 15
; COMPUTE_PGM_RSRC2:TRAP_HANDLER: 0
; COMPUTE_PGM_RSRC2:TGID_X_EN: 1
; COMPUTE_PGM_RSRC2:TGID_Y_EN: 0
; COMPUTE_PGM_RSRC2:TGID_Z_EN: 0
; COMPUTE_PGM_RSRC2:TIDIG_COMP_CNT: 2
	.section	.text._ZN9rocsparseL20bsrxmvn_17_32_kernelILj31E21rocsparse_complex_numIdEliS2_S2_S2_EEvT2_20rocsparse_direction_NS_24const_host_device_scalarIT0_EES3_PKS3_PKT1_SC_S9_PKT3_PKT4_S7_PT5_21rocsparse_index_base_b,"axG",@progbits,_ZN9rocsparseL20bsrxmvn_17_32_kernelILj31E21rocsparse_complex_numIdEliS2_S2_S2_EEvT2_20rocsparse_direction_NS_24const_host_device_scalarIT0_EES3_PKS3_PKT1_SC_S9_PKT3_PKT4_S7_PT5_21rocsparse_index_base_b,comdat
	.globl	_ZN9rocsparseL20bsrxmvn_17_32_kernelILj31E21rocsparse_complex_numIdEliS2_S2_S2_EEvT2_20rocsparse_direction_NS_24const_host_device_scalarIT0_EES3_PKS3_PKT1_SC_S9_PKT3_PKT4_S7_PT5_21rocsparse_index_base_b ; -- Begin function _ZN9rocsparseL20bsrxmvn_17_32_kernelILj31E21rocsparse_complex_numIdEliS2_S2_S2_EEvT2_20rocsparse_direction_NS_24const_host_device_scalarIT0_EES3_PKS3_PKT1_SC_S9_PKT3_PKT4_S7_PT5_21rocsparse_index_base_b
	.p2align	8
	.type	_ZN9rocsparseL20bsrxmvn_17_32_kernelILj31E21rocsparse_complex_numIdEliS2_S2_S2_EEvT2_20rocsparse_direction_NS_24const_host_device_scalarIT0_EES3_PKS3_PKT1_SC_S9_PKT3_PKT4_S7_PT5_21rocsparse_index_base_b,@function
_ZN9rocsparseL20bsrxmvn_17_32_kernelILj31E21rocsparse_complex_numIdEliS2_S2_S2_EEvT2_20rocsparse_direction_NS_24const_host_device_scalarIT0_EES3_PKS3_PKT1_SC_S9_PKT3_PKT4_S7_PT5_21rocsparse_index_base_b: ; @_ZN9rocsparseL20bsrxmvn_17_32_kernelILj31E21rocsparse_complex_numIdEliS2_S2_S2_EEvT2_20rocsparse_direction_NS_24const_host_device_scalarIT0_EES3_PKS3_PKT1_SC_S9_PKT3_PKT4_S7_PT5_21rocsparse_index_base_b
; %bb.0:
	s_mov_b32 s12, s15
	s_clause 0x1
	s_load_b64 s[14:15], s[2:3], 0x68
	s_load_b128 s[4:7], s[2:3], 0x8
	s_load_b64 s[16:17], s[0:1], 0x4
	s_mov_b64 s[0:1], src_shared_base
	v_and_b32_e32 v4, 0x3ff, v0
	s_load_b128 s[8:11], s[2:3], 0x50
	v_bfe_u32 v2, v0, 10, 10
	v_bfe_u32 v0, v0, 20, 10
	s_waitcnt lgkmcnt(0)
	s_bitcmp1_b32 s15, 0
	v_mov_b32_e32 v12, s7
	s_cselect_b32 s0, -1, 0
	v_mov_b32_e32 v11, s6
	s_and_b32 vcc_lo, s0, exec_lo
	s_cselect_b32 s13, s1, s5
	s_lshr_b32 s15, s16, 16
	v_mov_b32_e32 v6, s13
	s_mul_i32 s15, s15, s17
	s_xor_b32 s6, s0, -1
	v_mul_lo_u32 v1, s15, v4
	s_delay_alu instid0(VALU_DEP_1) | instskip(SKIP_1) | instid1(VALU_DEP_2)
	v_mad_u32_u24 v1, v2, s17, v1
	v_dual_mov_b32 v2, s8 :: v_dual_mov_b32 v3, s9
	v_add_lshl_u32 v7, v1, v0, 3
	v_dual_mov_b32 v0, s4 :: v_dual_mov_b32 v1, s5
	ds_store_b64 v7, v[0:1] offset:23064
	ds_store_b64 v7, v[2:3] offset:15376
	v_add_nc_u32_e32 v5, 0x5a18, v7
	v_add_nc_u32_e32 v0, 0x3c10, v7
	s_delay_alu instid0(VALU_DEP_2)
	v_cndmask_b32_e64 v5, s4, v5, s0
	flat_load_b64 v[9:10], v[5:6]
	s_cbranch_vccnz .LBB126_2
; %bb.1:
	v_dual_mov_b32 v1, s4 :: v_dual_mov_b32 v2, s5
	flat_load_b64 v[11:12], v[1:2] offset:8
.LBB126_2:
	s_and_b32 s4, s0, exec_lo
	s_cselect_b32 s1, s1, s9
	v_cndmask_b32_e64 v0, s8, v0, s0
	v_mov_b32_e32 v1, s1
	v_dual_mov_b32 v7, s10 :: v_dual_mov_b32 v8, s11
	s_and_not1_b32 vcc_lo, exec_lo, s6
	flat_load_b64 v[5:6], v[0:1]
	s_cbranch_vccnz .LBB126_4
; %bb.3:
	v_dual_mov_b32 v0, s8 :: v_dual_mov_b32 v1, s9
	flat_load_b64 v[7:8], v[0:1] offset:8
.LBB126_4:
	s_waitcnt vmcnt(1) lgkmcnt(1)
	v_cmp_eq_f64_e32 vcc_lo, 0, v[9:10]
	v_cmp_eq_f64_e64 s0, 0, v[11:12]
	s_delay_alu instid0(VALU_DEP_1)
	s_and_b32 s4, vcc_lo, s0
	s_mov_b32 s0, -1
	s_and_saveexec_b32 s1, s4
	s_cbranch_execz .LBB126_6
; %bb.5:
	s_waitcnt vmcnt(0) lgkmcnt(0)
	v_cmp_neq_f64_e32 vcc_lo, 1.0, v[5:6]
	v_cmp_neq_f64_e64 s0, 0, v[7:8]
	s_delay_alu instid0(VALU_DEP_1) | instskip(NEXT) | instid1(SALU_CYCLE_1)
	s_or_b32 s0, vcc_lo, s0
	s_or_not1_b32 s0, s0, exec_lo
.LBB126_6:
	s_or_b32 exec_lo, exec_lo, s1
	s_and_saveexec_b32 s1, s0
	s_cbranch_execz .LBB126_43
; %bb.7:
	s_clause 0x1
	s_load_b128 s[4:7], s[2:3], 0x20
	s_load_b64 s[8:9], s[2:3], 0x30
	s_waitcnt lgkmcnt(0)
	s_cmp_eq_u64 s[4:5], 0
	s_cbranch_scc1 .LBB126_9
; %bb.8:
	s_ashr_i32 s13, s12, 31
	s_delay_alu instid0(SALU_CYCLE_1) | instskip(NEXT) | instid1(SALU_CYCLE_1)
	s_lshl_b64 s[0:1], s[12:13], 2
	s_add_u32 s0, s4, s0
	s_addc_u32 s1, s5, s1
	s_load_b32 s0, s[0:1], 0x0
	s_waitcnt lgkmcnt(0)
	s_sub_i32 s12, s0, s14
.LBB126_9:
	s_load_b32 s1, s[2:3], 0x4
	v_mul_u32_u24_e32 v0, 0x843, v4
	v_dual_mov_b32 v2, 0 :: v_dual_lshlrev_b32 v17, 4, v4
	v_mov_b32_e32 v3, 0
	s_delay_alu instid0(VALU_DEP_3) | instskip(NEXT) | instid1(VALU_DEP_1)
	v_lshrrev_b32_e32 v13, 16, v0
	v_mul_lo_u16 v0, v13, 31
	s_delay_alu instid0(VALU_DEP_1) | instskip(NEXT) | instid1(VALU_DEP_4)
	v_sub_nc_u16 v16, v4, v0
	v_dual_mov_b32 v0, v2 :: v_dual_mov_b32 v1, v3
	s_waitcnt lgkmcnt(0)
	s_cmp_eq_u32 s1, 1
	s_cselect_b32 s0, -1, 0
	s_cmp_lg_u32 s1, 1
	s_cselect_b32 s20, -1, 0
	s_ashr_i32 s13, s12, 31
	s_delay_alu instid0(SALU_CYCLE_1) | instskip(NEXT) | instid1(SALU_CYCLE_1)
	s_lshl_b64 s[4:5], s[12:13], 3
	s_add_u32 s6, s6, s4
	s_addc_u32 s7, s7, s5
	s_add_u32 s1, s6, 8
	s_addc_u32 s10, s7, 0
	s_add_u32 s4, s8, s4
	s_addc_u32 s5, s9, s5
	s_cmp_eq_u64 s[8:9], 0
	s_load_b64 s[8:9], s[2:3], 0x60
	s_cselect_b32 s5, s10, s5
	s_cselect_b32 s4, s1, s4
	s_load_b64 s[18:19], s[6:7], 0x0
	s_load_b64 s[10:11], s[4:5], 0x0
	s_waitcnt lgkmcnt(0)
	v_cmp_ge_i64_e64 s1, s[18:19], s[10:11]
	s_delay_alu instid0(VALU_DEP_1)
	s_and_b32 vcc_lo, exec_lo, s1
	s_cbranch_vccnz .LBB126_14
; %bb.10:
	s_clause 0x1
	s_load_b128 s[4:7], s[2:3], 0x38
	s_load_b64 s[2:3], s[2:3], 0x48
	s_sub_u32 s10, s10, s14
	s_subb_u32 s11, s11, 0
	s_sub_u32 s16, s18, s14
	s_subb_u32 s17, s19, 0
	v_and_b32_e32 v0, 0xffff, v16
	v_dual_mov_b32 v2, 0 :: v_dual_and_b32 v1, 0xffff, v13
	s_mul_hi_u32 s1, s16, 0x3c10
	s_mul_i32 s21, s17, 0x3c10
	s_mul_i32 s13, s16, 0x3c10
	v_mov_b32_e32 v3, 0
	s_add_i32 s1, s1, s21
	s_mov_b32 s15, 0
	v_cndmask_b32_e64 v13, v0, v1, s0
	s_delay_alu instid0(VALU_DEP_2)
	v_dual_mov_b32 v0, v2 :: v_dual_mov_b32 v1, v3
	s_waitcnt lgkmcnt(0)
	s_add_u32 s13, s6, s13
	s_addc_u32 s21, s7, s1
	s_lshl_b64 s[0:1], s[18:19], 2
	s_lshl_b64 s[6:7], s[14:15], 2
	v_add_co_u32 v14, s13, s13, v17
	s_delay_alu instid0(VALU_DEP_1)
	v_add_co_ci_u32_e64 v15, null, s21, 0, s13
	s_sub_u32 s0, s0, s6
	s_subb_u32 s1, s1, s7
	s_add_u32 s0, s4, s0
	s_addc_u32 s1, s5, s1
	s_set_inst_prefetch_distance 0x1
	s_branch .LBB126_12
	.p2align	6
.LBB126_11:                             ;   in Loop: Header=BB126_12 Depth=1
	s_add_u32 s16, s16, 1
	s_addc_u32 s17, s17, 0
	s_add_u32 s0, s0, 4
	v_cmp_lt_i64_e64 s4, s[16:17], s[10:11]
	s_addc_u32 s1, s1, 0
	s_delay_alu instid0(VALU_DEP_1)
	s_and_b32 vcc_lo, exec_lo, s4
	s_cbranch_vccz .LBB126_14
.LBB126_12:                             ; =>This Inner Loop Header: Depth=1
	v_cmp_ge_i64_e64 s4, s[16:17], s[10:11]
	s_delay_alu instid0(VALU_DEP_1)
	s_and_b32 vcc_lo, exec_lo, s4
	s_cbranch_vccnz .LBB126_11
; %bb.13:                               ;   in Loop: Header=BB126_12 Depth=1
	s_load_b32 s4, s[0:1], 0x0
	s_waitcnt lgkmcnt(0)
	s_sub_i32 s4, s4, s14
	s_delay_alu instid0(SALU_CYCLE_1) | instskip(NEXT) | instid1(VALU_DEP_1)
	v_mad_u64_u32 v[18:19], null, s4, 31, v[13:14]
	v_ashrrev_i32_e32 v19, 31, v18
	s_delay_alu instid0(VALU_DEP_1) | instskip(NEXT) | instid1(VALU_DEP_1)
	v_lshlrev_b64 v[18:19], 4, v[18:19]
	v_add_co_u32 v22, vcc_lo, s2, v18
	s_delay_alu instid0(VALU_DEP_2)
	v_add_co_ci_u32_e32 v23, vcc_lo, s3, v19, vcc_lo
	global_load_b128 v[18:21], v[14:15], off
	global_load_b128 v[22:25], v[22:23], off
	v_add_co_u32 v14, vcc_lo, 0x3c10, v14
	v_add_co_ci_u32_e32 v15, vcc_lo, 0, v15, vcc_lo
	s_waitcnt vmcnt(0)
	v_fma_f64 v[0:1], v[18:19], v[22:23], v[0:1]
	v_fma_f64 v[2:3], v[20:21], v[22:23], v[2:3]
	s_delay_alu instid0(VALU_DEP_2) | instskip(NEXT) | instid1(VALU_DEP_2)
	v_fma_f64 v[0:1], -v[20:21], v[24:25], v[0:1]
	v_fma_f64 v[2:3], v[18:19], v[24:25], v[2:3]
	s_branch .LBB126_11
.LBB126_14:
	s_set_inst_prefetch_distance 0x2
	s_and_b32 vcc_lo, exec_lo, s20
	ds_store_b128 v17, v[0:3]
	s_waitcnt vmcnt(0) lgkmcnt(0)
	s_barrier
	buffer_gl0_inv
	s_cbranch_vccz .LBB126_26
; %bb.15:
	s_mov_b32 s0, exec_lo
	v_cmpx_gt_u16_e32 15, v16
	s_cbranch_execz .LBB126_17
; %bb.16:
	ds_load_b128 v[18:21], v17 offset:256
	ds_load_b128 v[22:25], v17
	s_waitcnt lgkmcnt(0)
	v_add_f64 v[18:19], v[18:19], v[22:23]
	v_add_f64 v[20:21], v[20:21], v[24:25]
	ds_store_b128 v17, v[18:21]
.LBB126_17:
	s_or_b32 exec_lo, exec_lo, s0
	s_delay_alu instid0(SALU_CYCLE_1)
	s_mov_b32 s0, exec_lo
	s_waitcnt lgkmcnt(0)
	s_barrier
	buffer_gl0_inv
	v_cmpx_gt_u16_e32 8, v16
	s_cbranch_execz .LBB126_19
; %bb.18:
	ds_load_b128 v[18:21], v17 offset:128
	ds_load_b128 v[22:25], v17
	s_waitcnt lgkmcnt(0)
	v_add_f64 v[18:19], v[18:19], v[22:23]
	v_add_f64 v[20:21], v[20:21], v[24:25]
	ds_store_b128 v17, v[18:21]
.LBB126_19:
	s_or_b32 exec_lo, exec_lo, s0
	s_delay_alu instid0(SALU_CYCLE_1)
	s_mov_b32 s0, exec_lo
	s_waitcnt lgkmcnt(0)
	s_barrier
	buffer_gl0_inv
	;; [unrolled: 16-line block ×3, first 2 shown]
	v_cmpx_gt_u16_e32 2, v16
	s_cbranch_execz .LBB126_23
; %bb.22:
	ds_load_b128 v[13:16], v17
	ds_load_b128 v[18:21], v17 offset:32
	s_waitcnt lgkmcnt(0)
	v_add_f64 v[13:14], v[18:19], v[13:14]
	v_add_f64 v[15:16], v[20:21], v[15:16]
	ds_store_b128 v17, v[13:16]
.LBB126_23:
	s_or_b32 exec_lo, exec_lo, s0
	v_dual_mov_b32 v16, v3 :: v_dual_mov_b32 v15, v2
	v_dual_mov_b32 v14, v1 :: v_dual_mov_b32 v13, v0
	s_mov_b32 s0, exec_lo
	s_waitcnt lgkmcnt(0)
	s_barrier
	buffer_gl0_inv
	v_cmpx_gt_u32_e32 31, v4
	s_cbranch_execz .LBB126_25
; %bb.24:
	v_mul_u32_u24_e32 v13, 31, v4
	s_delay_alu instid0(VALU_DEP_1)
	v_lshlrev_b32_e32 v18, 4, v13
	ds_load_b128 v[13:16], v18
	ds_load_b128 v[18:21], v18 offset:16
	s_waitcnt lgkmcnt(0)
	v_add_f64 v[13:14], v[18:19], v[13:14]
	v_add_f64 v[15:16], v[20:21], v[15:16]
.LBB126_25:
	s_or_b32 exec_lo, exec_lo, s0
	s_branch .LBB126_38
.LBB126_26:
                                        ; implicit-def: $vgpr15_vgpr16
                                        ; implicit-def: $vgpr13_vgpr14
	s_cbranch_execz .LBB126_38
; %bb.27:
	s_mov_b32 s0, exec_lo
	v_cmpx_gt_u32_e32 0x1d1, v4
	s_cbranch_execz .LBB126_29
; %bb.28:
	ds_load_b128 v[13:16], v17 offset:7936
	ds_load_b128 v[18:21], v17
	s_waitcnt lgkmcnt(0)
	v_add_f64 v[13:14], v[13:14], v[18:19]
	v_add_f64 v[15:16], v[15:16], v[20:21]
	ds_store_b128 v17, v[13:16]
.LBB126_29:
	s_or_b32 exec_lo, exec_lo, s0
	s_delay_alu instid0(SALU_CYCLE_1)
	s_mov_b32 s0, exec_lo
	s_waitcnt lgkmcnt(0)
	s_barrier
	buffer_gl0_inv
	v_cmpx_gt_u32_e32 0xf8, v4
	s_cbranch_execz .LBB126_31
; %bb.30:
	ds_load_b128 v[13:16], v17 offset:3968
	ds_load_b128 v[18:21], v17
	s_waitcnt lgkmcnt(0)
	v_add_f64 v[13:14], v[13:14], v[18:19]
	v_add_f64 v[15:16], v[15:16], v[20:21]
	ds_store_b128 v17, v[13:16]
.LBB126_31:
	s_or_b32 exec_lo, exec_lo, s0
	s_delay_alu instid0(SALU_CYCLE_1)
	s_mov_b32 s0, exec_lo
	s_waitcnt lgkmcnt(0)
	s_barrier
	buffer_gl0_inv
	;; [unrolled: 16-line block ×3, first 2 shown]
	v_cmpx_gt_u32_e32 62, v4
	s_cbranch_execz .LBB126_35
; %bb.34:
	ds_load_b128 v[13:16], v17 offset:992
	ds_load_b128 v[18:21], v17
	s_waitcnt lgkmcnt(0)
	v_add_f64 v[13:14], v[13:14], v[18:19]
	v_add_f64 v[15:16], v[15:16], v[20:21]
	ds_store_b128 v17, v[13:16]
.LBB126_35:
	s_or_b32 exec_lo, exec_lo, s0
	s_delay_alu instid0(SALU_CYCLE_1)
	s_mov_b32 s0, exec_lo
	s_waitcnt lgkmcnt(0)
	buffer_gl0_inv
	v_cmpx_gt_u32_e32 31, v4
	s_cbranch_execz .LBB126_37
; %bb.36:
	ds_load_b128 v[0:3], v17 offset:496
	ds_load_b128 v[13:16], v17
	s_waitcnt lgkmcnt(0)
	v_add_f64 v[0:1], v[0:1], v[13:14]
	v_add_f64 v[2:3], v[2:3], v[15:16]
.LBB126_37:
	s_or_b32 exec_lo, exec_lo, s0
	s_delay_alu instid0(VALU_DEP_1) | instskip(NEXT) | instid1(VALU_DEP_3)
	v_dual_mov_b32 v16, v3 :: v_dual_mov_b32 v15, v2
	v_dual_mov_b32 v14, v1 :: v_dual_mov_b32 v13, v0
.LBB126_38:
	v_cmp_gt_u32_e32 vcc_lo, 31, v4
	s_and_b32 exec_lo, exec_lo, vcc_lo
	s_cbranch_execz .LBB126_43
; %bb.39:
	s_delay_alu instid0(VALU_DEP_2) | instskip(SKIP_3) | instid1(VALU_DEP_4)
	v_mul_f64 v[0:1], v[15:16], -v[11:12]
	v_mul_f64 v[2:3], v[9:10], v[15:16]
	v_cmp_eq_f64_e32 vcc_lo, 0, v[5:6]
	v_cmp_eq_f64_e64 s0, 0, v[7:8]
	v_fma_f64 v[0:1], v[9:10], v[13:14], v[0:1]
	s_delay_alu instid0(VALU_DEP_4) | instskip(NEXT) | instid1(VALU_DEP_3)
	v_fma_f64 v[2:3], v[11:12], v[13:14], v[2:3]
	s_and_b32 s0, vcc_lo, s0
	s_delay_alu instid0(SALU_CYCLE_1) | instskip(NEXT) | instid1(SALU_CYCLE_1)
	s_and_saveexec_b32 s1, s0
	s_xor_b32 s0, exec_lo, s1
	s_cbranch_execz .LBB126_41
; %bb.40:
	v_mad_u64_u32 v[5:6], null, s12, 31, v[4:5]
	v_mov_b32_e32 v6, 0
                                        ; implicit-def: $vgpr7_vgpr8
	s_delay_alu instid0(VALU_DEP_1) | instskip(NEXT) | instid1(VALU_DEP_1)
	v_lshlrev_b64 v[4:5], 4, v[5:6]
	v_add_co_u32 v4, vcc_lo, s8, v4
	s_delay_alu instid0(VALU_DEP_2)
	v_add_co_ci_u32_e32 v5, vcc_lo, s9, v5, vcc_lo
	global_store_b128 v[4:5], v[0:3], off
                                        ; implicit-def: $vgpr4
                                        ; implicit-def: $vgpr5_vgpr6
                                        ; implicit-def: $vgpr0_vgpr1
.LBB126_41:
	s_and_not1_saveexec_b32 s0, s0
	s_cbranch_execz .LBB126_43
; %bb.42:
	v_mad_u64_u32 v[9:10], null, s12, 31, v[4:5]
	v_mov_b32_e32 v10, 0
	s_delay_alu instid0(VALU_DEP_1) | instskip(NEXT) | instid1(VALU_DEP_1)
	v_lshlrev_b64 v[9:10], 4, v[9:10]
	v_add_co_u32 v13, vcc_lo, s8, v9
	s_delay_alu instid0(VALU_DEP_2) | instskip(SKIP_4) | instid1(VALU_DEP_2)
	v_add_co_ci_u32_e32 v14, vcc_lo, s9, v10, vcc_lo
	global_load_b128 v[9:12], v[13:14], off
	s_waitcnt vmcnt(0)
	v_fma_f64 v[0:1], v[5:6], v[9:10], v[0:1]
	v_fma_f64 v[2:3], v[7:8], v[9:10], v[2:3]
	v_fma_f64 v[0:1], -v[7:8], v[11:12], v[0:1]
	s_delay_alu instid0(VALU_DEP_2)
	v_fma_f64 v[2:3], v[5:6], v[11:12], v[2:3]
	global_store_b128 v[13:14], v[0:3], off
.LBB126_43:
	s_nop 0
	s_sendmsg sendmsg(MSG_DEALLOC_VGPRS)
	s_endpgm
	.section	.rodata,"a",@progbits
	.p2align	6, 0x0
	.amdhsa_kernel _ZN9rocsparseL20bsrxmvn_17_32_kernelILj31E21rocsparse_complex_numIdEliS2_S2_S2_EEvT2_20rocsparse_direction_NS_24const_host_device_scalarIT0_EES3_PKS3_PKT1_SC_S9_PKT3_PKT4_S7_PT5_21rocsparse_index_base_b
		.amdhsa_group_segment_fixed_size 30752
		.amdhsa_private_segment_fixed_size 0
		.amdhsa_kernarg_size 112
		.amdhsa_user_sgpr_count 15
		.amdhsa_user_sgpr_dispatch_ptr 1
		.amdhsa_user_sgpr_queue_ptr 0
		.amdhsa_user_sgpr_kernarg_segment_ptr 1
		.amdhsa_user_sgpr_dispatch_id 0
		.amdhsa_user_sgpr_private_segment_size 0
		.amdhsa_wavefront_size32 1
		.amdhsa_uses_dynamic_stack 0
		.amdhsa_enable_private_segment 0
		.amdhsa_system_sgpr_workgroup_id_x 1
		.amdhsa_system_sgpr_workgroup_id_y 0
		.amdhsa_system_sgpr_workgroup_id_z 0
		.amdhsa_system_sgpr_workgroup_info 0
		.amdhsa_system_vgpr_workitem_id 2
		.amdhsa_next_free_vgpr 26
		.amdhsa_next_free_sgpr 22
		.amdhsa_reserve_vcc 1
		.amdhsa_float_round_mode_32 0
		.amdhsa_float_round_mode_16_64 0
		.amdhsa_float_denorm_mode_32 3
		.amdhsa_float_denorm_mode_16_64 3
		.amdhsa_dx10_clamp 1
		.amdhsa_ieee_mode 1
		.amdhsa_fp16_overflow 0
		.amdhsa_workgroup_processor_mode 1
		.amdhsa_memory_ordered 1
		.amdhsa_forward_progress 0
		.amdhsa_shared_vgpr_count 0
		.amdhsa_exception_fp_ieee_invalid_op 0
		.amdhsa_exception_fp_denorm_src 0
		.amdhsa_exception_fp_ieee_div_zero 0
		.amdhsa_exception_fp_ieee_overflow 0
		.amdhsa_exception_fp_ieee_underflow 0
		.amdhsa_exception_fp_ieee_inexact 0
		.amdhsa_exception_int_div_zero 0
	.end_amdhsa_kernel
	.section	.text._ZN9rocsparseL20bsrxmvn_17_32_kernelILj31E21rocsparse_complex_numIdEliS2_S2_S2_EEvT2_20rocsparse_direction_NS_24const_host_device_scalarIT0_EES3_PKS3_PKT1_SC_S9_PKT3_PKT4_S7_PT5_21rocsparse_index_base_b,"axG",@progbits,_ZN9rocsparseL20bsrxmvn_17_32_kernelILj31E21rocsparse_complex_numIdEliS2_S2_S2_EEvT2_20rocsparse_direction_NS_24const_host_device_scalarIT0_EES3_PKS3_PKT1_SC_S9_PKT3_PKT4_S7_PT5_21rocsparse_index_base_b,comdat
.Lfunc_end126:
	.size	_ZN9rocsparseL20bsrxmvn_17_32_kernelILj31E21rocsparse_complex_numIdEliS2_S2_S2_EEvT2_20rocsparse_direction_NS_24const_host_device_scalarIT0_EES3_PKS3_PKT1_SC_S9_PKT3_PKT4_S7_PT5_21rocsparse_index_base_b, .Lfunc_end126-_ZN9rocsparseL20bsrxmvn_17_32_kernelILj31E21rocsparse_complex_numIdEliS2_S2_S2_EEvT2_20rocsparse_direction_NS_24const_host_device_scalarIT0_EES3_PKS3_PKT1_SC_S9_PKT3_PKT4_S7_PT5_21rocsparse_index_base_b
                                        ; -- End function
	.section	.AMDGPU.csdata,"",@progbits
; Kernel info:
; codeLenInByte = 2068
; NumSgprs: 24
; NumVgprs: 26
; ScratchSize: 0
; MemoryBound: 0
; FloatMode: 240
; IeeeMode: 1
; LDSByteSize: 30752 bytes/workgroup (compile time only)
; SGPRBlocks: 2
; VGPRBlocks: 3
; NumSGPRsForWavesPerEU: 24
; NumVGPRsForWavesPerEU: 26
; Occupancy: 16
; WaveLimiterHint : 1
; COMPUTE_PGM_RSRC2:SCRATCH_EN: 0
; COMPUTE_PGM_RSRC2:USER_SGPR: 15
; COMPUTE_PGM_RSRC2:TRAP_HANDLER: 0
; COMPUTE_PGM_RSRC2:TGID_X_EN: 1
; COMPUTE_PGM_RSRC2:TGID_Y_EN: 0
; COMPUTE_PGM_RSRC2:TGID_Z_EN: 0
; COMPUTE_PGM_RSRC2:TIDIG_COMP_CNT: 2
	.section	.text._ZN9rocsparseL20bsrxmvn_17_32_kernelILj32E21rocsparse_complex_numIdEliS2_S2_S2_EEvT2_20rocsparse_direction_NS_24const_host_device_scalarIT0_EES3_PKS3_PKT1_SC_S9_PKT3_PKT4_S7_PT5_21rocsparse_index_base_b,"axG",@progbits,_ZN9rocsparseL20bsrxmvn_17_32_kernelILj32E21rocsparse_complex_numIdEliS2_S2_S2_EEvT2_20rocsparse_direction_NS_24const_host_device_scalarIT0_EES3_PKS3_PKT1_SC_S9_PKT3_PKT4_S7_PT5_21rocsparse_index_base_b,comdat
	.globl	_ZN9rocsparseL20bsrxmvn_17_32_kernelILj32E21rocsparse_complex_numIdEliS2_S2_S2_EEvT2_20rocsparse_direction_NS_24const_host_device_scalarIT0_EES3_PKS3_PKT1_SC_S9_PKT3_PKT4_S7_PT5_21rocsparse_index_base_b ; -- Begin function _ZN9rocsparseL20bsrxmvn_17_32_kernelILj32E21rocsparse_complex_numIdEliS2_S2_S2_EEvT2_20rocsparse_direction_NS_24const_host_device_scalarIT0_EES3_PKS3_PKT1_SC_S9_PKT3_PKT4_S7_PT5_21rocsparse_index_base_b
	.p2align	8
	.type	_ZN9rocsparseL20bsrxmvn_17_32_kernelILj32E21rocsparse_complex_numIdEliS2_S2_S2_EEvT2_20rocsparse_direction_NS_24const_host_device_scalarIT0_EES3_PKS3_PKT1_SC_S9_PKT3_PKT4_S7_PT5_21rocsparse_index_base_b,@function
_ZN9rocsparseL20bsrxmvn_17_32_kernelILj32E21rocsparse_complex_numIdEliS2_S2_S2_EEvT2_20rocsparse_direction_NS_24const_host_device_scalarIT0_EES3_PKS3_PKT1_SC_S9_PKT3_PKT4_S7_PT5_21rocsparse_index_base_b: ; @_ZN9rocsparseL20bsrxmvn_17_32_kernelILj32E21rocsparse_complex_numIdEliS2_S2_S2_EEvT2_20rocsparse_direction_NS_24const_host_device_scalarIT0_EES3_PKS3_PKT1_SC_S9_PKT3_PKT4_S7_PT5_21rocsparse_index_base_b
; %bb.0:
	s_mov_b32 s12, s15
	s_clause 0x1
	s_load_b64 s[14:15], s[2:3], 0x68
	s_load_b128 s[4:7], s[2:3], 0x8
	s_load_b64 s[16:17], s[0:1], 0x4
	s_mov_b64 s[0:1], src_shared_base
	v_and_b32_e32 v16, 0x3ff, v0
	s_load_b128 s[8:11], s[2:3], 0x50
	v_bfe_u32 v2, v0, 10, 10
	v_bfe_u32 v0, v0, 20, 10
	s_waitcnt lgkmcnt(0)
	s_bitcmp1_b32 s15, 0
	v_mov_b32_e32 v11, s7
	s_cselect_b32 s0, -1, 0
	v_mov_b32_e32 v10, s6
	s_and_b32 vcc_lo, s0, exec_lo
	s_cselect_b32 s13, s1, s5
	s_lshr_b32 s15, s16, 16
	s_xor_b32 s6, s0, -1
	s_mul_i32 s15, s15, s17
	v_mov_b32_e32 v5, s13
	v_mul_lo_u32 v1, s15, v16
	s_delay_alu instid0(VALU_DEP_1) | instskip(SKIP_1) | instid1(VALU_DEP_2)
	v_mad_u32_u24 v1, v2, s17, v1
	v_dual_mov_b32 v2, s8 :: v_dual_mov_b32 v3, s9
	v_add_lshl_u32 v6, v1, v0, 3
	v_dual_mov_b32 v0, s4 :: v_dual_mov_b32 v1, s5
	s_delay_alu instid0(VALU_DEP_2)
	v_add_nc_u32_e32 v4, 0x6000, v6
	ds_store_2addr_stride64_b64 v6, v[2:3], v[0:1] offset0:32 offset1:48
	v_add_nc_u32_e32 v0, 0x4000, v6
	v_cndmask_b32_e64 v4, s4, v4, s0
	flat_load_b64 v[8:9], v[4:5]
	s_cbranch_vccnz .LBB127_2
; %bb.1:
	v_dual_mov_b32 v1, s4 :: v_dual_mov_b32 v2, s5
	flat_load_b64 v[10:11], v[1:2] offset:8
.LBB127_2:
	s_and_b32 s4, s0, exec_lo
	s_cselect_b32 s1, s1, s9
	v_cndmask_b32_e64 v0, s8, v0, s0
	v_dual_mov_b32 v1, s1 :: v_dual_mov_b32 v6, s10
	v_mov_b32_e32 v7, s11
	s_and_not1_b32 vcc_lo, exec_lo, s6
	flat_load_b64 v[4:5], v[0:1]
	s_cbranch_vccnz .LBB127_4
; %bb.3:
	v_dual_mov_b32 v0, s8 :: v_dual_mov_b32 v1, s9
	flat_load_b64 v[6:7], v[0:1] offset:8
.LBB127_4:
	s_waitcnt vmcnt(1) lgkmcnt(1)
	v_cmp_eq_f64_e32 vcc_lo, 0, v[8:9]
	v_cmp_eq_f64_e64 s0, 0, v[10:11]
	s_delay_alu instid0(VALU_DEP_1)
	s_and_b32 s4, vcc_lo, s0
	s_mov_b32 s0, -1
	s_and_saveexec_b32 s1, s4
	s_cbranch_execz .LBB127_6
; %bb.5:
	s_waitcnt vmcnt(0) lgkmcnt(0)
	v_cmp_neq_f64_e32 vcc_lo, 1.0, v[4:5]
	v_cmp_neq_f64_e64 s0, 0, v[6:7]
	s_delay_alu instid0(VALU_DEP_1) | instskip(NEXT) | instid1(SALU_CYCLE_1)
	s_or_b32 s0, vcc_lo, s0
	s_or_not1_b32 s0, s0, exec_lo
.LBB127_6:
	s_or_b32 exec_lo, exec_lo, s1
	s_and_saveexec_b32 s1, s0
	s_cbranch_execz .LBB127_41
; %bb.7:
	s_clause 0x1
	s_load_b128 s[4:7], s[2:3], 0x20
	s_load_b64 s[8:9], s[2:3], 0x30
	s_waitcnt lgkmcnt(0)
	s_cmp_eq_u64 s[4:5], 0
	s_cbranch_scc1 .LBB127_9
; %bb.8:
	s_ashr_i32 s13, s12, 31
	s_delay_alu instid0(SALU_CYCLE_1) | instskip(NEXT) | instid1(SALU_CYCLE_1)
	s_lshl_b64 s[0:1], s[12:13], 2
	s_add_u32 s0, s4, s0
	s_addc_u32 s1, s5, s1
	s_load_b32 s0, s[0:1], 0x0
	s_waitcnt lgkmcnt(0)
	s_sub_i32 s12, s0, s14
.LBB127_9:
	s_load_b32 s1, s[2:3], 0x4
	v_mov_b32_e32 v2, 0
	v_dual_mov_b32 v3, 0 :: v_dual_and_b32 v14, 31, v16
	s_delay_alu instid0(VALU_DEP_1)
	v_dual_mov_b32 v0, v2 :: v_dual_mov_b32 v1, v3
	s_waitcnt lgkmcnt(0)
	s_cmp_eq_u32 s1, 1
	s_cselect_b32 s0, -1, 0
	s_cmp_lg_u32 s1, 1
	s_cselect_b32 s20, -1, 0
	s_ashr_i32 s13, s12, 31
	s_delay_alu instid0(SALU_CYCLE_1) | instskip(NEXT) | instid1(SALU_CYCLE_1)
	s_lshl_b64 s[4:5], s[12:13], 3
	s_add_u32 s6, s6, s4
	s_addc_u32 s7, s7, s5
	s_add_u32 s1, s6, 8
	s_addc_u32 s10, s7, 0
	;; [unrolled: 2-line block ×3, first 2 shown]
	s_cmp_eq_u64 s[8:9], 0
	s_cselect_b32 s5, s10, s5
	s_cselect_b32 s4, s1, s4
	s_load_b64 s[18:19], s[6:7], 0x0
	s_load_b64 s[10:11], s[4:5], 0x0
	;; [unrolled: 1-line block ×3, first 2 shown]
	s_waitcnt lgkmcnt(0)
	v_cmp_ge_i64_e64 s1, s[18:19], s[10:11]
	s_delay_alu instid0(VALU_DEP_1)
	s_and_b32 vcc_lo, exec_lo, s1
	s_cbranch_vccnz .LBB127_12
; %bb.10:
	s_clause 0x1
	s_load_b128 s[4:7], s[2:3], 0x38
	s_load_b64 s[2:3], s[2:3], 0x48
	s_sub_u32 s10, s10, s14
	s_subb_u32 s11, s11, 0
	s_sub_u32 s16, s18, s14
	s_subb_u32 s17, s19, 0
	v_lshrrev_b32_e32 v0, 5, v16
	s_lshl_b64 s[22:23], s[16:17], 14
	v_mov_b32_e32 v2, 0
	v_lshl_or_b32 v1, v16, 4, s22
	v_mov_b32_e32 v3, 0
	v_cndmask_b32_e64 v15, v14, v0, s0
	v_mov_b32_e32 v0, s23
	s_mov_b32 s15, 0
	s_lshl_b64 s[18:19], s[18:19], 2
	s_lshl_b64 s[24:25], s[14:15], 2
	s_delay_alu instid0(SALU_CYCLE_1)
	s_sub_u32 s0, s18, s24
	s_subb_u32 s1, s19, s25
	s_waitcnt lgkmcnt(0)
	v_add_co_u32 v12, vcc_lo, s6, v1
	v_add_co_ci_u32_e32 v13, vcc_lo, s7, v0, vcc_lo
	v_dual_mov_b32 v0, v2 :: v_dual_mov_b32 v1, v3
	s_add_u32 s0, s4, s0
	s_addc_u32 s1, s5, s1
	s_set_inst_prefetch_distance 0x1
	.p2align	6
.LBB127_11:                             ; =>This Inner Loop Header: Depth=1
	s_load_b32 s4, s[0:1], 0x0
	s_waitcnt lgkmcnt(0)
	s_sub_i32 s4, s4, s14
	s_add_u32 s16, s16, 1
	v_lshl_or_b32 v17, s4, 5, v15
	s_addc_u32 s17, s17, 0
	s_add_u32 s0, s0, 4
	v_cmp_lt_i64_e64 s4, s[16:17], s[10:11]
	s_addc_u32 s1, s1, 0
	v_ashrrev_i32_e32 v18, 31, v17
	s_delay_alu instid0(VALU_DEP_1) | instskip(NEXT) | instid1(VALU_DEP_1)
	v_lshlrev_b64 v[17:18], 4, v[17:18]
	v_add_co_u32 v21, vcc_lo, s2, v17
	s_delay_alu instid0(VALU_DEP_2)
	v_add_co_ci_u32_e32 v22, vcc_lo, s3, v18, vcc_lo
	global_load_b128 v[17:20], v[12:13], off
	global_load_b128 v[21:24], v[21:22], off
	v_add_co_u32 v12, vcc_lo, 0x4000, v12
	v_add_co_ci_u32_e32 v13, vcc_lo, 0, v13, vcc_lo
	s_and_b32 vcc_lo, exec_lo, s4
	s_waitcnt vmcnt(0)
	v_fma_f64 v[0:1], v[17:18], v[21:22], v[0:1]
	v_fma_f64 v[2:3], v[19:20], v[21:22], v[2:3]
	s_delay_alu instid0(VALU_DEP_2) | instskip(NEXT) | instid1(VALU_DEP_2)
	v_fma_f64 v[0:1], -v[19:20], v[23:24], v[0:1]
	v_fma_f64 v[2:3], v[17:18], v[23:24], v[2:3]
	s_cbranch_vccnz .LBB127_11
.LBB127_12:
	s_set_inst_prefetch_distance 0x2
	v_lshlrev_b32_e32 v17, 4, v16
	s_and_b32 vcc_lo, exec_lo, s20
	ds_store_b128 v17, v[0:3]
	s_waitcnt vmcnt(0) lgkmcnt(0)
	s_barrier
	buffer_gl0_inv
	s_cbranch_vccz .LBB127_24
; %bb.13:
	s_mov_b32 s0, exec_lo
	v_cmpx_gt_u32_e32 16, v14
	s_cbranch_execz .LBB127_15
; %bb.14:
	ds_load_b128 v[18:21], v17 offset:256
	ds_load_b128 v[22:25], v17
	s_waitcnt lgkmcnt(0)
	v_add_f64 v[18:19], v[18:19], v[22:23]
	v_add_f64 v[20:21], v[20:21], v[24:25]
	ds_store_b128 v17, v[18:21]
.LBB127_15:
	s_or_b32 exec_lo, exec_lo, s0
	s_delay_alu instid0(SALU_CYCLE_1)
	s_mov_b32 s0, exec_lo
	s_waitcnt lgkmcnt(0)
	s_barrier
	buffer_gl0_inv
	v_cmpx_gt_u32_e32 8, v14
	s_cbranch_execz .LBB127_17
; %bb.16:
	ds_load_b128 v[18:21], v17 offset:128
	ds_load_b128 v[22:25], v17
	s_waitcnt lgkmcnt(0)
	v_add_f64 v[18:19], v[18:19], v[22:23]
	v_add_f64 v[20:21], v[20:21], v[24:25]
	ds_store_b128 v17, v[18:21]
.LBB127_17:
	s_or_b32 exec_lo, exec_lo, s0
	s_delay_alu instid0(SALU_CYCLE_1)
	s_mov_b32 s0, exec_lo
	s_waitcnt lgkmcnt(0)
	s_barrier
	buffer_gl0_inv
	v_cmpx_gt_u32_e32 4, v14
	s_cbranch_execz .LBB127_19
; %bb.18:
	ds_load_b128 v[18:21], v17 offset:64
	ds_load_b128 v[22:25], v17
	s_waitcnt lgkmcnt(0)
	v_add_f64 v[18:19], v[18:19], v[22:23]
	v_add_f64 v[20:21], v[20:21], v[24:25]
	ds_store_b128 v17, v[18:21]
.LBB127_19:
	s_or_b32 exec_lo, exec_lo, s0
	s_delay_alu instid0(SALU_CYCLE_1)
	s_mov_b32 s0, exec_lo
	s_waitcnt lgkmcnt(0)
	s_barrier
	buffer_gl0_inv
	v_cmpx_gt_u32_e32 2, v14
	s_cbranch_execz .LBB127_21
; %bb.20:
	ds_load_b128 v[12:15], v17
	ds_load_b128 v[18:21], v17 offset:32
	s_waitcnt lgkmcnt(0)
	v_add_f64 v[12:13], v[18:19], v[12:13]
	v_add_f64 v[14:15], v[20:21], v[14:15]
	ds_store_b128 v17, v[12:15]
.LBB127_21:
	s_or_b32 exec_lo, exec_lo, s0
	v_dual_mov_b32 v15, v3 :: v_dual_mov_b32 v14, v2
	v_dual_mov_b32 v13, v1 :: v_dual_mov_b32 v12, v0
	s_mov_b32 s0, exec_lo
	s_waitcnt lgkmcnt(0)
	s_barrier
	buffer_gl0_inv
	v_cmpx_gt_u32_e32 32, v16
	s_cbranch_execz .LBB127_23
; %bb.22:
	v_mad_u32_u24 v18, 0x1f0, v16, v17
	ds_load_b128 v[12:15], v18
	ds_load_b128 v[18:21], v18 offset:16
	s_waitcnt lgkmcnt(0)
	v_add_f64 v[12:13], v[18:19], v[12:13]
	v_add_f64 v[14:15], v[20:21], v[14:15]
.LBB127_23:
	s_or_b32 exec_lo, exec_lo, s0
	s_branch .LBB127_36
.LBB127_24:
                                        ; implicit-def: $vgpr14_vgpr15
                                        ; implicit-def: $vgpr12_vgpr13
	s_cbranch_execz .LBB127_36
; %bb.25:
	s_mov_b32 s0, exec_lo
	v_cmpx_gt_u32_e32 0x200, v16
	s_cbranch_execz .LBB127_27
; %bb.26:
	ds_load_b128 v[12:15], v17 offset:8192
	ds_load_b128 v[18:21], v17
	s_waitcnt lgkmcnt(0)
	v_add_f64 v[12:13], v[12:13], v[18:19]
	v_add_f64 v[14:15], v[14:15], v[20:21]
	ds_store_b128 v17, v[12:15]
.LBB127_27:
	s_or_b32 exec_lo, exec_lo, s0
	s_delay_alu instid0(SALU_CYCLE_1)
	s_mov_b32 s0, exec_lo
	s_waitcnt lgkmcnt(0)
	s_barrier
	buffer_gl0_inv
	v_cmpx_gt_u32_e32 0x100, v16
	s_cbranch_execz .LBB127_29
; %bb.28:
	ds_load_b128 v[12:15], v17 offset:4096
	ds_load_b128 v[18:21], v17
	s_waitcnt lgkmcnt(0)
	v_add_f64 v[12:13], v[12:13], v[18:19]
	v_add_f64 v[14:15], v[14:15], v[20:21]
	ds_store_b128 v17, v[12:15]
.LBB127_29:
	s_or_b32 exec_lo, exec_lo, s0
	s_delay_alu instid0(SALU_CYCLE_1)
	s_mov_b32 s0, exec_lo
	s_waitcnt lgkmcnt(0)
	s_barrier
	buffer_gl0_inv
	;; [unrolled: 16-line block ×3, first 2 shown]
	v_cmpx_gt_u32_e32 64, v16
	s_cbranch_execz .LBB127_33
; %bb.32:
	ds_load_b128 v[12:15], v17 offset:1024
	ds_load_b128 v[18:21], v17
	s_waitcnt lgkmcnt(0)
	v_add_f64 v[12:13], v[12:13], v[18:19]
	v_add_f64 v[14:15], v[14:15], v[20:21]
	ds_store_b128 v17, v[12:15]
.LBB127_33:
	s_or_b32 exec_lo, exec_lo, s0
	s_delay_alu instid0(SALU_CYCLE_1)
	s_mov_b32 s0, exec_lo
	s_waitcnt lgkmcnt(0)
	buffer_gl0_inv
	v_cmpx_gt_u32_e32 32, v16
	s_cbranch_execz .LBB127_35
; %bb.34:
	ds_load_b128 v[0:3], v17 offset:512
	ds_load_b128 v[12:15], v17
	s_waitcnt lgkmcnt(0)
	v_add_f64 v[0:1], v[0:1], v[12:13]
	v_add_f64 v[2:3], v[2:3], v[14:15]
.LBB127_35:
	s_or_b32 exec_lo, exec_lo, s0
	s_delay_alu instid0(VALU_DEP_1) | instskip(NEXT) | instid1(VALU_DEP_3)
	v_dual_mov_b32 v15, v3 :: v_dual_mov_b32 v14, v2
	v_dual_mov_b32 v13, v1 :: v_dual_mov_b32 v12, v0
.LBB127_36:
	v_cmp_gt_u32_e32 vcc_lo, 32, v16
	s_and_b32 exec_lo, exec_lo, vcc_lo
	s_cbranch_execz .LBB127_41
; %bb.37:
	s_delay_alu instid0(VALU_DEP_2) | instskip(SKIP_3) | instid1(VALU_DEP_4)
	v_mul_f64 v[0:1], v[14:15], -v[10:11]
	v_mul_f64 v[2:3], v[8:9], v[14:15]
	v_cmp_eq_f64_e32 vcc_lo, 0, v[4:5]
	v_cmp_eq_f64_e64 s0, 0, v[6:7]
	v_fma_f64 v[0:1], v[8:9], v[12:13], v[0:1]
	s_delay_alu instid0(VALU_DEP_4) | instskip(SKIP_1) | instid1(VALU_DEP_4)
	v_fma_f64 v[2:3], v[10:11], v[12:13], v[2:3]
	v_lshl_or_b32 v8, s12, 5, v16
	s_and_b32 s0, vcc_lo, s0
	s_delay_alu instid0(SALU_CYCLE_1) | instskip(NEXT) | instid1(SALU_CYCLE_1)
	s_and_saveexec_b32 s1, s0
	s_xor_b32 s0, exec_lo, s1
	s_cbranch_execz .LBB127_39
; %bb.38:
	v_mov_b32_e32 v9, 0
                                        ; implicit-def: $vgpr6_vgpr7
	s_delay_alu instid0(VALU_DEP_1) | instskip(NEXT) | instid1(VALU_DEP_1)
	v_lshlrev_b64 v[4:5], 4, v[8:9]
                                        ; implicit-def: $vgpr8
	v_add_co_u32 v4, vcc_lo, s8, v4
	s_delay_alu instid0(VALU_DEP_2)
	v_add_co_ci_u32_e32 v5, vcc_lo, s9, v5, vcc_lo
	global_store_b128 v[4:5], v[0:3], off
                                        ; implicit-def: $vgpr4_vgpr5
                                        ; implicit-def: $vgpr0_vgpr1
.LBB127_39:
	s_and_not1_saveexec_b32 s0, s0
	s_cbranch_execz .LBB127_41
; %bb.40:
	v_mov_b32_e32 v9, 0
	s_delay_alu instid0(VALU_DEP_1) | instskip(NEXT) | instid1(VALU_DEP_1)
	v_lshlrev_b64 v[8:9], 4, v[8:9]
	v_add_co_u32 v12, vcc_lo, s8, v8
	s_delay_alu instid0(VALU_DEP_2) | instskip(SKIP_4) | instid1(VALU_DEP_2)
	v_add_co_ci_u32_e32 v13, vcc_lo, s9, v9, vcc_lo
	global_load_b128 v[8:11], v[12:13], off
	s_waitcnt vmcnt(0)
	v_fma_f64 v[0:1], v[4:5], v[8:9], v[0:1]
	v_fma_f64 v[2:3], v[6:7], v[8:9], v[2:3]
	v_fma_f64 v[0:1], -v[6:7], v[10:11], v[0:1]
	s_delay_alu instid0(VALU_DEP_2)
	v_fma_f64 v[2:3], v[4:5], v[10:11], v[2:3]
	global_store_b128 v[12:13], v[0:3], off
.LBB127_41:
	s_nop 0
	s_sendmsg sendmsg(MSG_DEALLOC_VGPRS)
	s_endpgm
	.section	.rodata,"a",@progbits
	.p2align	6, 0x0
	.amdhsa_kernel _ZN9rocsparseL20bsrxmvn_17_32_kernelILj32E21rocsparse_complex_numIdEliS2_S2_S2_EEvT2_20rocsparse_direction_NS_24const_host_device_scalarIT0_EES3_PKS3_PKT1_SC_S9_PKT3_PKT4_S7_PT5_21rocsparse_index_base_b
		.amdhsa_group_segment_fixed_size 32768
		.amdhsa_private_segment_fixed_size 0
		.amdhsa_kernarg_size 112
		.amdhsa_user_sgpr_count 15
		.amdhsa_user_sgpr_dispatch_ptr 1
		.amdhsa_user_sgpr_queue_ptr 0
		.amdhsa_user_sgpr_kernarg_segment_ptr 1
		.amdhsa_user_sgpr_dispatch_id 0
		.amdhsa_user_sgpr_private_segment_size 0
		.amdhsa_wavefront_size32 1
		.amdhsa_uses_dynamic_stack 0
		.amdhsa_enable_private_segment 0
		.amdhsa_system_sgpr_workgroup_id_x 1
		.amdhsa_system_sgpr_workgroup_id_y 0
		.amdhsa_system_sgpr_workgroup_id_z 0
		.amdhsa_system_sgpr_workgroup_info 0
		.amdhsa_system_vgpr_workitem_id 2
		.amdhsa_next_free_vgpr 26
		.amdhsa_next_free_sgpr 26
		.amdhsa_reserve_vcc 1
		.amdhsa_float_round_mode_32 0
		.amdhsa_float_round_mode_16_64 0
		.amdhsa_float_denorm_mode_32 3
		.amdhsa_float_denorm_mode_16_64 3
		.amdhsa_dx10_clamp 1
		.amdhsa_ieee_mode 1
		.amdhsa_fp16_overflow 0
		.amdhsa_workgroup_processor_mode 1
		.amdhsa_memory_ordered 1
		.amdhsa_forward_progress 0
		.amdhsa_shared_vgpr_count 0
		.amdhsa_exception_fp_ieee_invalid_op 0
		.amdhsa_exception_fp_denorm_src 0
		.amdhsa_exception_fp_ieee_div_zero 0
		.amdhsa_exception_fp_ieee_overflow 0
		.amdhsa_exception_fp_ieee_underflow 0
		.amdhsa_exception_fp_ieee_inexact 0
		.amdhsa_exception_int_div_zero 0
	.end_amdhsa_kernel
	.section	.text._ZN9rocsparseL20bsrxmvn_17_32_kernelILj32E21rocsparse_complex_numIdEliS2_S2_S2_EEvT2_20rocsparse_direction_NS_24const_host_device_scalarIT0_EES3_PKS3_PKT1_SC_S9_PKT3_PKT4_S7_PT5_21rocsparse_index_base_b,"axG",@progbits,_ZN9rocsparseL20bsrxmvn_17_32_kernelILj32E21rocsparse_complex_numIdEliS2_S2_S2_EEvT2_20rocsparse_direction_NS_24const_host_device_scalarIT0_EES3_PKS3_PKT1_SC_S9_PKT3_PKT4_S7_PT5_21rocsparse_index_base_b,comdat
.Lfunc_end127:
	.size	_ZN9rocsparseL20bsrxmvn_17_32_kernelILj32E21rocsparse_complex_numIdEliS2_S2_S2_EEvT2_20rocsparse_direction_NS_24const_host_device_scalarIT0_EES3_PKS3_PKT1_SC_S9_PKT3_PKT4_S7_PT5_21rocsparse_index_base_b, .Lfunc_end127-_ZN9rocsparseL20bsrxmvn_17_32_kernelILj32E21rocsparse_complex_numIdEliS2_S2_S2_EEvT2_20rocsparse_direction_NS_24const_host_device_scalarIT0_EES3_PKS3_PKT1_SC_S9_PKT3_PKT4_S7_PT5_21rocsparse_index_base_b
                                        ; -- End function
	.section	.AMDGPU.csdata,"",@progbits
; Kernel info:
; codeLenInByte = 1948
; NumSgprs: 28
; NumVgprs: 26
; ScratchSize: 0
; MemoryBound: 0
; FloatMode: 240
; IeeeMode: 1
; LDSByteSize: 32768 bytes/workgroup (compile time only)
; SGPRBlocks: 3
; VGPRBlocks: 3
; NumSGPRsForWavesPerEU: 28
; NumVGPRsForWavesPerEU: 26
; Occupancy: 16
; WaveLimiterHint : 1
; COMPUTE_PGM_RSRC2:SCRATCH_EN: 0
; COMPUTE_PGM_RSRC2:USER_SGPR: 15
; COMPUTE_PGM_RSRC2:TRAP_HANDLER: 0
; COMPUTE_PGM_RSRC2:TGID_X_EN: 1
; COMPUTE_PGM_RSRC2:TGID_Y_EN: 0
; COMPUTE_PGM_RSRC2:TGID_Z_EN: 0
; COMPUTE_PGM_RSRC2:TIDIG_COMP_CNT: 2
	.section	.text._ZN9rocsparseL20bsrxmvn_17_32_kernelILj17EfllfffEEvT2_20rocsparse_direction_NS_24const_host_device_scalarIT0_EES1_PKS1_PKT1_SA_S7_PKT3_PKT4_S5_PT5_21rocsparse_index_base_b,"axG",@progbits,_ZN9rocsparseL20bsrxmvn_17_32_kernelILj17EfllfffEEvT2_20rocsparse_direction_NS_24const_host_device_scalarIT0_EES1_PKS1_PKT1_SA_S7_PKT3_PKT4_S5_PT5_21rocsparse_index_base_b,comdat
	.globl	_ZN9rocsparseL20bsrxmvn_17_32_kernelILj17EfllfffEEvT2_20rocsparse_direction_NS_24const_host_device_scalarIT0_EES1_PKS1_PKT1_SA_S7_PKT3_PKT4_S5_PT5_21rocsparse_index_base_b ; -- Begin function _ZN9rocsparseL20bsrxmvn_17_32_kernelILj17EfllfffEEvT2_20rocsparse_direction_NS_24const_host_device_scalarIT0_EES1_PKS1_PKT1_SA_S7_PKT3_PKT4_S5_PT5_21rocsparse_index_base_b
	.p2align	8
	.type	_ZN9rocsparseL20bsrxmvn_17_32_kernelILj17EfllfffEEvT2_20rocsparse_direction_NS_24const_host_device_scalarIT0_EES1_PKS1_PKT1_SA_S7_PKT3_PKT4_S5_PT5_21rocsparse_index_base_b,@function
_ZN9rocsparseL20bsrxmvn_17_32_kernelILj17EfllfffEEvT2_20rocsparse_direction_NS_24const_host_device_scalarIT0_EES1_PKS1_PKT1_SA_S7_PKT3_PKT4_S5_PT5_21rocsparse_index_base_b: ; @_ZN9rocsparseL20bsrxmvn_17_32_kernelILj17EfllfffEEvT2_20rocsparse_direction_NS_24const_host_device_scalarIT0_EES1_PKS1_PKT1_SA_S7_PKT3_PKT4_S5_PT5_21rocsparse_index_base_b
; %bb.0:
	s_clause 0x2
	s_load_b64 s[16:17], s[0:1], 0x60
	s_load_b64 s[12:13], s[0:1], 0x10
	;; [unrolled: 1-line block ×3, first 2 shown]
	s_mov_b32 s10, s15
	s_waitcnt lgkmcnt(0)
	s_bitcmp1_b32 s17, 0
	s_cselect_b32 s2, -1, 0
	s_delay_alu instid0(SALU_CYCLE_1)
	s_and_b32 vcc_lo, exec_lo, s2
	s_xor_b32 s2, s2, -1
	s_cbranch_vccnz .LBB128_2
; %bb.1:
	s_load_b32 s12, s[12:13], 0x0
.LBB128_2:
	s_and_not1_b32 vcc_lo, exec_lo, s2
	s_cbranch_vccnz .LBB128_4
; %bb.3:
	s_load_b32 s8, s[8:9], 0x0
.LBB128_4:
	s_waitcnt lgkmcnt(0)
	v_cmp_neq_f32_e64 s2, s12, 0
	v_cmp_neq_f32_e64 s3, s8, 1.0
	s_mov_b32 s11, 0
	s_delay_alu instid0(VALU_DEP_1) | instskip(NEXT) | instid1(SALU_CYCLE_1)
	s_or_b32 s2, s2, s3
	s_and_not1_b32 vcc_lo, exec_lo, s2
	s_cbranch_vccnz .LBB128_42
; %bb.5:
	s_clause 0x1
	s_load_b128 s[4:7], s[0:1], 0x20
	s_load_b64 s[14:15], s[0:1], 0x30
	s_waitcnt lgkmcnt(0)
	s_cmp_eq_u64 s[4:5], 0
	s_cbranch_scc1 .LBB128_7
; %bb.6:
	s_lshl_b64 s[2:3], s[10:11], 3
	s_delay_alu instid0(SALU_CYCLE_1)
	s_add_u32 s2, s4, s2
	s_addc_u32 s3, s5, s3
	s_load_b64 s[2:3], s[2:3], 0x0
	s_waitcnt lgkmcnt(0)
	s_sub_u32 s10, s2, s16
	s_subb_u32 s11, s3, 0
.LBB128_7:
	s_load_b32 s3, s[0:1], 0x8
	v_mul_u32_u24_e32 v1, 0xf10, v0
	v_dual_mov_b32 v7, 0 :: v_dual_lshlrev_b32 v8, 2, v0
	s_delay_alu instid0(VALU_DEP_2) | instskip(NEXT) | instid1(VALU_DEP_1)
	v_lshrrev_b32_e32 v1, 16, v1
	v_mul_lo_u16 v2, v1, 17
	s_delay_alu instid0(VALU_DEP_1)
	v_sub_nc_u16 v9, v0, v2
	s_waitcnt lgkmcnt(0)
	s_cmp_eq_u32 s3, 1
	s_cselect_b32 s2, -1, 0
	s_cmp_lg_u32 s3, 1
	s_cselect_b32 s3, -1, 0
	s_lshl_b64 s[4:5], s[10:11], 3
	s_delay_alu instid0(SALU_CYCLE_1)
	s_add_u32 s6, s6, s4
	s_addc_u32 s7, s7, s5
	s_add_u32 s9, s6, 8
	s_addc_u32 s13, s7, 0
	;; [unrolled: 2-line block ×3, first 2 shown]
	s_cmp_eq_u64 s[14:15], 0
	s_load_b64 s[14:15], s[0:1], 0x58
	s_cselect_b32 s5, s13, s5
	s_cselect_b32 s4, s9, s4
	s_load_b64 s[20:21], s[6:7], 0x0
	s_load_b64 s[18:19], s[4:5], 0x0
	s_waitcnt lgkmcnt(0)
	v_cmp_ge_i64_e64 s4, s[20:21], s[18:19]
	s_delay_alu instid0(VALU_DEP_1)
	s_and_b32 vcc_lo, exec_lo, s4
	s_cbranch_vccnz .LBB128_12
; %bb.8:
	v_mul_lo_u16 v2, v1, 31
	v_dual_mov_b32 v7, 0 :: v_dual_and_b32 v4, 0xffff, v0
	v_and_b32_e32 v3, 0xffff, v9
	s_clause 0x1
	s_load_b128 s[4:7], s[0:1], 0x38
	s_load_b64 s[22:23], s[0:1], 0x48
	v_lshrrev_b16 v2, 9, v2
	s_sub_u32 s0, s18, s16
	s_subb_u32 s1, s19, 0
	s_sub_u32 s18, s20, s16
	s_subb_u32 s19, s21, 0
	v_mul_lo_u16 v2, v2, 17
	v_lshlrev_b32_e32 v11, 2, v0
	s_mul_hi_u32 s9, s18, 0x484
	s_mul_i32 s13, s19, 0x484
	s_mul_i32 s17, s18, 0x484
	v_sub_nc_u16 v1, v1, v2
	v_mul_u32_u24_e32 v2, 0xe3, v4
	s_add_i32 s9, s9, s13
	s_delay_alu instid0(VALU_DEP_2) | instskip(NEXT) | instid1(VALU_DEP_2)
	v_and_b32_e32 v1, 0xff, v1
	v_lshrrev_b32_e32 v10, 16, v2
	s_delay_alu instid0(VALU_DEP_2) | instskip(NEXT) | instid1(VALU_DEP_2)
	v_cndmask_b32_e64 v1, v3, v1, s2
	v_add_co_u32 v2, s2, s20, v10
	s_delay_alu instid0(VALU_DEP_1) | instskip(NEXT) | instid1(VALU_DEP_3)
	v_add_co_ci_u32_e64 v4, null, s21, 0, s2
	v_lshlrev_b32_e32 v1, 2, v1
	s_delay_alu instid0(VALU_DEP_3) | instskip(NEXT) | instid1(VALU_DEP_3)
	v_sub_co_u32 v3, vcc_lo, v2, s16
	v_subrev_co_ci_u32_e32 v4, vcc_lo, 0, v4, vcc_lo
	s_waitcnt lgkmcnt(0)
	s_add_u32 s2, s6, s17
	v_add_co_u32 v1, s6, s22, v1
	s_delay_alu instid0(VALU_DEP_2) | instskip(SKIP_3) | instid1(VALU_DEP_3)
	v_lshlrev_b64 v[5:6], 3, v[3:4]
	v_add_co_ci_u32_e64 v2, null, s23, 0, s6
	s_addc_u32 s6, s7, s9
	v_add_co_u32 v3, s2, s2, v11
	v_add_co_u32 v5, vcc_lo, s4, v5
	v_add_co_ci_u32_e64 v4, null, s6, 0, s2
	v_add_co_ci_u32_e32 v6, vcc_lo, s5, v6, vcc_lo
	s_set_inst_prefetch_distance 0x1
	s_branch .LBB128_10
	.p2align	6
.LBB128_9:                              ;   in Loop: Header=BB128_10 Depth=1
	s_or_b32 exec_lo, exec_lo, s2
	s_add_u32 s18, s18, 1
	s_addc_u32 s19, s19, 0
	v_add_co_u32 v5, vcc_lo, v5, 8
	v_cmp_lt_i64_e64 s2, s[18:19], s[0:1]
	v_add_co_ci_u32_e32 v6, vcc_lo, 0, v6, vcc_lo
	s_delay_alu instid0(VALU_DEP_2)
	s_and_b32 vcc_lo, exec_lo, s2
	s_cbranch_vccz .LBB128_12
.LBB128_10:                             ; =>This Inner Loop Header: Depth=1
	v_add_co_u32 v11, s2, v10, s18
	s_delay_alu instid0(VALU_DEP_1) | instskip(SKIP_1) | instid1(VALU_DEP_1)
	v_add_co_ci_u32_e64 v12, null, 0, s19, s2
	s_mov_b32 s2, exec_lo
	v_cmpx_gt_i64_e64 s[0:1], v[11:12]
	s_cbranch_execz .LBB128_9
; %bb.11:                               ;   in Loop: Header=BB128_10 Depth=1
	global_load_b64 v[11:12], v[5:6], off
	s_waitcnt vmcnt(0)
	v_sub_co_u32 v13, vcc_lo, v11, s16
	v_subrev_co_ci_u32_e32 v15, vcc_lo, 0, v12, vcc_lo
	s_delay_alu instid0(VALU_DEP_2) | instskip(NEXT) | instid1(VALU_DEP_1)
	v_mad_u64_u32 v[11:12], null, 0x44, v13, v[1:2]
	v_mad_u64_u32 v[13:14], null, 0x44, v15, v[12:13]
	s_delay_alu instid0(VALU_DEP_1)
	v_mov_b32_e32 v12, v13
	global_load_b32 v13, v[3:4], off
	global_load_b32 v11, v[11:12], off
	v_add_co_u32 v3, vcc_lo, 0x484, v3
	v_add_co_ci_u32_e32 v4, vcc_lo, 0, v4, vcc_lo
	s_waitcnt vmcnt(0)
	v_fmac_f32_e32 v7, v13, v11
	s_branch .LBB128_9
.LBB128_12:
	s_set_inst_prefetch_distance 0x2
	s_and_b32 vcc_lo, exec_lo, s3
	ds_store_b32 v8, v7
	s_waitcnt lgkmcnt(0)
	s_barrier
	buffer_gl0_inv
	s_cbranch_vccz .LBB128_24
; %bb.13:
	s_mov_b32 s0, exec_lo
	v_cmpx_eq_u16_e32 0, v9
	s_cbranch_execz .LBB128_15
; %bb.14:
	ds_load_2addr_b32 v[1:2], v8 offset1:16
	s_waitcnt lgkmcnt(0)
	v_add_f32_e32 v1, v2, v1
	ds_store_b32 v8, v1
.LBB128_15:
	s_or_b32 exec_lo, exec_lo, s0
	s_delay_alu instid0(SALU_CYCLE_1)
	s_mov_b32 s0, exec_lo
	s_waitcnt lgkmcnt(0)
	s_barrier
	buffer_gl0_inv
	v_cmpx_gt_u16_e32 8, v9
	s_cbranch_execz .LBB128_17
; %bb.16:
	ds_load_2addr_b32 v[1:2], v8 offset1:8
	s_waitcnt lgkmcnt(0)
	v_add_f32_e32 v1, v2, v1
	ds_store_b32 v8, v1
.LBB128_17:
	s_or_b32 exec_lo, exec_lo, s0
	s_delay_alu instid0(SALU_CYCLE_1)
	s_mov_b32 s0, exec_lo
	s_waitcnt lgkmcnt(0)
	s_barrier
	buffer_gl0_inv
	v_cmpx_gt_u16_e32 4, v9
	;; [unrolled: 14-line block ×3, first 2 shown]
	s_cbranch_execz .LBB128_21
; %bb.20:
	ds_load_2addr_b32 v[1:2], v8 offset1:2
	s_waitcnt lgkmcnt(0)
	v_add_f32_e32 v1, v2, v1
	ds_store_b32 v8, v1
.LBB128_21:
	s_or_b32 exec_lo, exec_lo, s0
	s_mov_b32 s0, 0
	s_mov_b32 s1, 0
	s_mov_b32 s2, exec_lo
	s_waitcnt lgkmcnt(0)
	s_barrier
	buffer_gl0_inv
                                        ; implicit-def: $vgpr1
                                        ; implicit-def: $vgpr2
	v_cmpx_gt_u32_e32 17, v0
	s_xor_b32 s2, exec_lo, s2
; %bb.22:
	v_mad_u32_u24 v1, v0, 17, 1
	v_lshl_add_u32 v2, v0, 6, v8
	s_mov_b32 s1, exec_lo
; %bb.23:
	s_or_b32 exec_lo, exec_lo, s2
	s_delay_alu instid0(SALU_CYCLE_1)
	s_and_b32 vcc_lo, exec_lo, s0
	v_cmp_gt_u32_e64 s0, 17, v0
	s_cbranch_vccnz .LBB128_25
	s_branch .LBB128_36
.LBB128_24:
	s_mov_b32 s1, 0
                                        ; implicit-def: $vgpr1
                                        ; implicit-def: $vgpr2
	v_cmp_gt_u32_e64 s0, 17, v0
	s_cbranch_execz .LBB128_36
.LBB128_25:
	s_delay_alu instid0(VALU_DEP_1)
	s_and_saveexec_b32 s2, s0
	s_cbranch_execz .LBB128_27
; %bb.26:
	ds_load_b32 v1, v8 offset:1088
	ds_load_b32 v2, v8
	s_waitcnt lgkmcnt(0)
	v_add_f32_e32 v1, v1, v2
	ds_store_b32 v8, v1
.LBB128_27:
	s_or_b32 exec_lo, exec_lo, s2
	s_delay_alu instid0(SALU_CYCLE_1)
	s_mov_b32 s2, exec_lo
	s_waitcnt lgkmcnt(0)
	s_barrier
	buffer_gl0_inv
	v_cmpx_gt_u32_e32 0x88, v0
	s_cbranch_execz .LBB128_29
; %bb.28:
	ds_load_2addr_b32 v[1:2], v8 offset1:136
	s_waitcnt lgkmcnt(0)
	v_add_f32_e32 v1, v2, v1
	ds_store_b32 v8, v1
.LBB128_29:
	s_or_b32 exec_lo, exec_lo, s2
	s_delay_alu instid0(SALU_CYCLE_1)
	s_mov_b32 s2, exec_lo
	s_waitcnt lgkmcnt(0)
	s_barrier
	buffer_gl0_inv
	v_cmpx_gt_u32_e32 0x44, v0
	s_cbranch_execz .LBB128_31
; %bb.30:
	ds_load_2addr_b32 v[1:2], v8 offset1:68
	s_waitcnt lgkmcnt(0)
	v_add_f32_e32 v1, v2, v1
	ds_store_b32 v8, v1
.LBB128_31:
	;; [unrolled: 14-line block ×3, first 2 shown]
	s_or_b32 exec_lo, exec_lo, s2
	s_waitcnt lgkmcnt(0)
	buffer_gl0_inv
                                        ; implicit-def: $vgpr1
	s_and_saveexec_b32 s2, s0
; %bb.34:
	v_add_nc_u32_e32 v1, 17, v0
	s_or_b32 s1, s1, exec_lo
                                        ; implicit-def: $vgpr7
; %bb.35:
	s_or_b32 exec_lo, exec_lo, s2
	v_mov_b32_e32 v2, v8
.LBB128_36:
	s_and_saveexec_b32 s0, s1
	s_cbranch_execz .LBB128_38
; %bb.37:
	v_lshlrev_b32_e32 v1, 2, v1
	ds_load_b32 v2, v2
	ds_load_b32 v1, v1
	s_waitcnt lgkmcnt(0)
	v_add_f32_e32 v7, v2, v1
.LBB128_38:
	s_or_b32 exec_lo, exec_lo, s0
	s_delay_alu instid0(SALU_CYCLE_1)
	s_mov_b32 s0, exec_lo
	v_cmpx_gt_u32_e32 17, v0
	s_cbranch_execz .LBB128_42
; %bb.39:
	v_cmp_eq_f32_e64 s1, s8, 0
	v_mul_f32_e32 v1, s12, v7
	s_mov_b32 s3, 0
	s_mul_i32 s0, s11, 0x44
	s_mul_i32 s2, s10, 0x44
	s_and_b32 vcc_lo, exec_lo, s1
	s_mul_hi_u32 s1, s10, 0x44
	s_cbranch_vccz .LBB128_43
; %bb.40:
	v_lshlrev_b32_e32 v2, 2, v0
	s_add_i32 s5, s1, s0
	s_add_u32 s4, s14, s2
	s_addc_u32 s5, s15, s5
	global_store_b32 v2, v1, s[4:5]
	s_and_not1_b32 vcc_lo, exec_lo, s3
	s_cbranch_vccnz .LBB128_42
.LBB128_41:
	v_lshlrev_b32_e32 v0, 2, v0
	s_add_i32 s1, s1, s0
	s_add_u32 s0, s14, s2
	s_addc_u32 s1, s15, s1
	global_load_b32 v2, v0, s[0:1]
	s_waitcnt vmcnt(0)
	v_fmac_f32_e32 v1, s8, v2
	global_store_b32 v0, v1, s[0:1]
.LBB128_42:
	s_nop 0
	s_sendmsg sendmsg(MSG_DEALLOC_VGPRS)
	s_endpgm
.LBB128_43:
	s_branch .LBB128_41
	.section	.rodata,"a",@progbits
	.p2align	6, 0x0
	.amdhsa_kernel _ZN9rocsparseL20bsrxmvn_17_32_kernelILj17EfllfffEEvT2_20rocsparse_direction_NS_24const_host_device_scalarIT0_EES1_PKS1_PKT1_SA_S7_PKT3_PKT4_S5_PT5_21rocsparse_index_base_b
		.amdhsa_group_segment_fixed_size 1156
		.amdhsa_private_segment_fixed_size 0
		.amdhsa_kernarg_size 104
		.amdhsa_user_sgpr_count 15
		.amdhsa_user_sgpr_dispatch_ptr 0
		.amdhsa_user_sgpr_queue_ptr 0
		.amdhsa_user_sgpr_kernarg_segment_ptr 1
		.amdhsa_user_sgpr_dispatch_id 0
		.amdhsa_user_sgpr_private_segment_size 0
		.amdhsa_wavefront_size32 1
		.amdhsa_uses_dynamic_stack 0
		.amdhsa_enable_private_segment 0
		.amdhsa_system_sgpr_workgroup_id_x 1
		.amdhsa_system_sgpr_workgroup_id_y 0
		.amdhsa_system_sgpr_workgroup_id_z 0
		.amdhsa_system_sgpr_workgroup_info 0
		.amdhsa_system_vgpr_workitem_id 0
		.amdhsa_next_free_vgpr 16
		.amdhsa_next_free_sgpr 24
		.amdhsa_reserve_vcc 1
		.amdhsa_float_round_mode_32 0
		.amdhsa_float_round_mode_16_64 0
		.amdhsa_float_denorm_mode_32 3
		.amdhsa_float_denorm_mode_16_64 3
		.amdhsa_dx10_clamp 1
		.amdhsa_ieee_mode 1
		.amdhsa_fp16_overflow 0
		.amdhsa_workgroup_processor_mode 1
		.amdhsa_memory_ordered 1
		.amdhsa_forward_progress 0
		.amdhsa_shared_vgpr_count 0
		.amdhsa_exception_fp_ieee_invalid_op 0
		.amdhsa_exception_fp_denorm_src 0
		.amdhsa_exception_fp_ieee_div_zero 0
		.amdhsa_exception_fp_ieee_overflow 0
		.amdhsa_exception_fp_ieee_underflow 0
		.amdhsa_exception_fp_ieee_inexact 0
		.amdhsa_exception_int_div_zero 0
	.end_amdhsa_kernel
	.section	.text._ZN9rocsparseL20bsrxmvn_17_32_kernelILj17EfllfffEEvT2_20rocsparse_direction_NS_24const_host_device_scalarIT0_EES1_PKS1_PKT1_SA_S7_PKT3_PKT4_S5_PT5_21rocsparse_index_base_b,"axG",@progbits,_ZN9rocsparseL20bsrxmvn_17_32_kernelILj17EfllfffEEvT2_20rocsparse_direction_NS_24const_host_device_scalarIT0_EES1_PKS1_PKT1_SA_S7_PKT3_PKT4_S5_PT5_21rocsparse_index_base_b,comdat
.Lfunc_end128:
	.size	_ZN9rocsparseL20bsrxmvn_17_32_kernelILj17EfllfffEEvT2_20rocsparse_direction_NS_24const_host_device_scalarIT0_EES1_PKS1_PKT1_SA_S7_PKT3_PKT4_S5_PT5_21rocsparse_index_base_b, .Lfunc_end128-_ZN9rocsparseL20bsrxmvn_17_32_kernelILj17EfllfffEEvT2_20rocsparse_direction_NS_24const_host_device_scalarIT0_EES1_PKS1_PKT1_SA_S7_PKT3_PKT4_S5_PT5_21rocsparse_index_base_b
                                        ; -- End function
	.section	.AMDGPU.csdata,"",@progbits
; Kernel info:
; codeLenInByte = 1628
; NumSgprs: 26
; NumVgprs: 16
; ScratchSize: 0
; MemoryBound: 0
; FloatMode: 240
; IeeeMode: 1
; LDSByteSize: 1156 bytes/workgroup (compile time only)
; SGPRBlocks: 3
; VGPRBlocks: 1
; NumSGPRsForWavesPerEU: 26
; NumVGPRsForWavesPerEU: 16
; Occupancy: 15
; WaveLimiterHint : 1
; COMPUTE_PGM_RSRC2:SCRATCH_EN: 0
; COMPUTE_PGM_RSRC2:USER_SGPR: 15
; COMPUTE_PGM_RSRC2:TRAP_HANDLER: 0
; COMPUTE_PGM_RSRC2:TGID_X_EN: 1
; COMPUTE_PGM_RSRC2:TGID_Y_EN: 0
; COMPUTE_PGM_RSRC2:TGID_Z_EN: 0
; COMPUTE_PGM_RSRC2:TIDIG_COMP_CNT: 0
	.section	.text._ZN9rocsparseL20bsrxmvn_17_32_kernelILj18EfllfffEEvT2_20rocsparse_direction_NS_24const_host_device_scalarIT0_EES1_PKS1_PKT1_SA_S7_PKT3_PKT4_S5_PT5_21rocsparse_index_base_b,"axG",@progbits,_ZN9rocsparseL20bsrxmvn_17_32_kernelILj18EfllfffEEvT2_20rocsparse_direction_NS_24const_host_device_scalarIT0_EES1_PKS1_PKT1_SA_S7_PKT3_PKT4_S5_PT5_21rocsparse_index_base_b,comdat
	.globl	_ZN9rocsparseL20bsrxmvn_17_32_kernelILj18EfllfffEEvT2_20rocsparse_direction_NS_24const_host_device_scalarIT0_EES1_PKS1_PKT1_SA_S7_PKT3_PKT4_S5_PT5_21rocsparse_index_base_b ; -- Begin function _ZN9rocsparseL20bsrxmvn_17_32_kernelILj18EfllfffEEvT2_20rocsparse_direction_NS_24const_host_device_scalarIT0_EES1_PKS1_PKT1_SA_S7_PKT3_PKT4_S5_PT5_21rocsparse_index_base_b
	.p2align	8
	.type	_ZN9rocsparseL20bsrxmvn_17_32_kernelILj18EfllfffEEvT2_20rocsparse_direction_NS_24const_host_device_scalarIT0_EES1_PKS1_PKT1_SA_S7_PKT3_PKT4_S5_PT5_21rocsparse_index_base_b,@function
_ZN9rocsparseL20bsrxmvn_17_32_kernelILj18EfllfffEEvT2_20rocsparse_direction_NS_24const_host_device_scalarIT0_EES1_PKS1_PKT1_SA_S7_PKT3_PKT4_S5_PT5_21rocsparse_index_base_b: ; @_ZN9rocsparseL20bsrxmvn_17_32_kernelILj18EfllfffEEvT2_20rocsparse_direction_NS_24const_host_device_scalarIT0_EES1_PKS1_PKT1_SA_S7_PKT3_PKT4_S5_PT5_21rocsparse_index_base_b
; %bb.0:
	s_clause 0x2
	s_load_b64 s[16:17], s[0:1], 0x60
	s_load_b64 s[12:13], s[0:1], 0x10
	;; [unrolled: 1-line block ×3, first 2 shown]
	s_mov_b32 s10, s15
	s_waitcnt lgkmcnt(0)
	s_bitcmp1_b32 s17, 0
	s_cselect_b32 s2, -1, 0
	s_delay_alu instid0(SALU_CYCLE_1)
	s_and_b32 vcc_lo, exec_lo, s2
	s_xor_b32 s2, s2, -1
	s_cbranch_vccnz .LBB129_2
; %bb.1:
	s_load_b32 s12, s[12:13], 0x0
.LBB129_2:
	s_and_not1_b32 vcc_lo, exec_lo, s2
	s_cbranch_vccnz .LBB129_4
; %bb.3:
	s_load_b32 s8, s[8:9], 0x0
.LBB129_4:
	s_waitcnt lgkmcnt(0)
	v_cmp_neq_f32_e64 s2, s12, 0
	v_cmp_neq_f32_e64 s3, s8, 1.0
	s_mov_b32 s11, 0
	s_delay_alu instid0(VALU_DEP_1) | instskip(NEXT) | instid1(SALU_CYCLE_1)
	s_or_b32 s2, s2, s3
	s_and_not1_b32 vcc_lo, exec_lo, s2
	s_cbranch_vccnz .LBB129_42
; %bb.5:
	s_clause 0x1
	s_load_b128 s[4:7], s[0:1], 0x20
	s_load_b64 s[14:15], s[0:1], 0x30
	s_waitcnt lgkmcnt(0)
	s_cmp_eq_u64 s[4:5], 0
	s_cbranch_scc1 .LBB129_7
; %bb.6:
	s_lshl_b64 s[2:3], s[10:11], 3
	s_delay_alu instid0(SALU_CYCLE_1)
	s_add_u32 s2, s4, s2
	s_addc_u32 s3, s5, s3
	s_load_b64 s[2:3], s[2:3], 0x0
	s_waitcnt lgkmcnt(0)
	s_sub_u32 s10, s2, s16
	s_subb_u32 s11, s3, 0
.LBB129_7:
	s_load_b32 s3, s[0:1], 0x8
	v_mul_u32_u24_e32 v1, 0xe39, v0
	v_dual_mov_b32 v7, 0 :: v_dual_lshlrev_b32 v8, 2, v0
	s_delay_alu instid0(VALU_DEP_2) | instskip(NEXT) | instid1(VALU_DEP_1)
	v_lshrrev_b32_e32 v1, 16, v1
	v_mul_lo_u16 v2, v1, 18
	s_delay_alu instid0(VALU_DEP_1)
	v_sub_nc_u16 v9, v0, v2
	s_waitcnt lgkmcnt(0)
	s_cmp_eq_u32 s3, 1
	s_cselect_b32 s2, -1, 0
	s_cmp_lg_u32 s3, 1
	s_cselect_b32 s3, -1, 0
	s_lshl_b64 s[4:5], s[10:11], 3
	s_delay_alu instid0(SALU_CYCLE_1)
	s_add_u32 s6, s6, s4
	s_addc_u32 s7, s7, s5
	s_add_u32 s9, s6, 8
	s_addc_u32 s13, s7, 0
	;; [unrolled: 2-line block ×3, first 2 shown]
	s_cmp_eq_u64 s[14:15], 0
	s_load_b64 s[14:15], s[0:1], 0x58
	s_cselect_b32 s5, s13, s5
	s_cselect_b32 s4, s9, s4
	s_load_b64 s[20:21], s[6:7], 0x0
	s_load_b64 s[18:19], s[4:5], 0x0
	s_waitcnt lgkmcnt(0)
	v_cmp_ge_i64_e64 s4, s[20:21], s[18:19]
	s_delay_alu instid0(VALU_DEP_1)
	s_and_b32 vcc_lo, exec_lo, s4
	s_cbranch_vccnz .LBB129_12
; %bb.8:
	v_mul_lo_u16 v2, v1, 15
	v_dual_mov_b32 v7, 0 :: v_dual_and_b32 v4, 0xffff, v0
	v_and_b32_e32 v3, 0xffff, v9
	s_clause 0x1
	s_load_b128 s[4:7], s[0:1], 0x38
	s_load_b64 s[22:23], s[0:1], 0x48
	v_lshrrev_b16 v2, 8, v2
	s_sub_u32 s0, s18, s16
	s_subb_u32 s1, s19, 0
	s_sub_u32 s18, s20, s16
	s_subb_u32 s19, s21, 0
	v_mul_lo_u16 v2, v2, 18
	v_lshlrev_b32_e32 v11, 2, v0
	s_mul_hi_u32 s9, s18, 0x510
	s_mul_i32 s13, s19, 0x510
	s_mul_i32 s17, s18, 0x510
	v_sub_nc_u16 v1, v1, v2
	v_mul_u32_u24_e32 v2, 0x195, v4
	s_add_i32 s9, s9, s13
	s_delay_alu instid0(VALU_DEP_2) | instskip(NEXT) | instid1(VALU_DEP_2)
	v_and_b32_e32 v1, 0xff, v1
	v_lshrrev_b32_e32 v10, 17, v2
	s_delay_alu instid0(VALU_DEP_2) | instskip(NEXT) | instid1(VALU_DEP_2)
	v_cndmask_b32_e64 v1, v3, v1, s2
	v_add_co_u32 v2, s2, s20, v10
	s_delay_alu instid0(VALU_DEP_1) | instskip(NEXT) | instid1(VALU_DEP_3)
	v_add_co_ci_u32_e64 v4, null, s21, 0, s2
	v_lshlrev_b32_e32 v1, 2, v1
	s_delay_alu instid0(VALU_DEP_3) | instskip(NEXT) | instid1(VALU_DEP_3)
	v_sub_co_u32 v3, vcc_lo, v2, s16
	v_subrev_co_ci_u32_e32 v4, vcc_lo, 0, v4, vcc_lo
	s_waitcnt lgkmcnt(0)
	s_add_u32 s2, s6, s17
	v_add_co_u32 v1, s6, s22, v1
	s_delay_alu instid0(VALU_DEP_2) | instskip(SKIP_3) | instid1(VALU_DEP_3)
	v_lshlrev_b64 v[5:6], 3, v[3:4]
	v_add_co_ci_u32_e64 v2, null, s23, 0, s6
	s_addc_u32 s6, s7, s9
	v_add_co_u32 v3, s2, s2, v11
	v_add_co_u32 v5, vcc_lo, s4, v5
	v_add_co_ci_u32_e64 v4, null, s6, 0, s2
	v_add_co_ci_u32_e32 v6, vcc_lo, s5, v6, vcc_lo
	s_set_inst_prefetch_distance 0x1
	s_branch .LBB129_10
	.p2align	6
.LBB129_9:                              ;   in Loop: Header=BB129_10 Depth=1
	s_or_b32 exec_lo, exec_lo, s2
	s_add_u32 s18, s18, 1
	s_addc_u32 s19, s19, 0
	v_add_co_u32 v5, vcc_lo, v5, 8
	v_cmp_lt_i64_e64 s2, s[18:19], s[0:1]
	v_add_co_ci_u32_e32 v6, vcc_lo, 0, v6, vcc_lo
	s_delay_alu instid0(VALU_DEP_2)
	s_and_b32 vcc_lo, exec_lo, s2
	s_cbranch_vccz .LBB129_12
.LBB129_10:                             ; =>This Inner Loop Header: Depth=1
	v_add_co_u32 v11, s2, v10, s18
	s_delay_alu instid0(VALU_DEP_1) | instskip(SKIP_1) | instid1(VALU_DEP_1)
	v_add_co_ci_u32_e64 v12, null, 0, s19, s2
	s_mov_b32 s2, exec_lo
	v_cmpx_gt_i64_e64 s[0:1], v[11:12]
	s_cbranch_execz .LBB129_9
; %bb.11:                               ;   in Loop: Header=BB129_10 Depth=1
	global_load_b64 v[11:12], v[5:6], off
	s_waitcnt vmcnt(0)
	v_sub_co_u32 v13, vcc_lo, v11, s16
	v_subrev_co_ci_u32_e32 v15, vcc_lo, 0, v12, vcc_lo
	s_delay_alu instid0(VALU_DEP_2) | instskip(NEXT) | instid1(VALU_DEP_1)
	v_mad_u64_u32 v[11:12], null, 0x48, v13, v[1:2]
	v_mad_u64_u32 v[13:14], null, 0x48, v15, v[12:13]
	s_delay_alu instid0(VALU_DEP_1)
	v_mov_b32_e32 v12, v13
	global_load_b32 v13, v[3:4], off
	global_load_b32 v11, v[11:12], off
	v_add_co_u32 v3, vcc_lo, 0x510, v3
	v_add_co_ci_u32_e32 v4, vcc_lo, 0, v4, vcc_lo
	s_waitcnt vmcnt(0)
	v_fmac_f32_e32 v7, v13, v11
	s_branch .LBB129_9
.LBB129_12:
	s_set_inst_prefetch_distance 0x2
	s_and_b32 vcc_lo, exec_lo, s3
	ds_store_b32 v8, v7
	s_waitcnt lgkmcnt(0)
	s_barrier
	buffer_gl0_inv
	s_cbranch_vccz .LBB129_24
; %bb.13:
	v_cmp_gt_u16_e32 vcc_lo, 2, v9
	s_and_saveexec_b32 s0, vcc_lo
	s_cbranch_execz .LBB129_15
; %bb.14:
	ds_load_2addr_b32 v[1:2], v8 offset1:16
	s_waitcnt lgkmcnt(0)
	v_add_f32_e32 v1, v2, v1
	ds_store_b32 v8, v1
.LBB129_15:
	s_or_b32 exec_lo, exec_lo, s0
	s_delay_alu instid0(SALU_CYCLE_1)
	s_mov_b32 s1, exec_lo
	s_waitcnt lgkmcnt(0)
	s_barrier
	buffer_gl0_inv
	v_cmpx_gt_u16_e32 8, v9
	s_cbranch_execz .LBB129_17
; %bb.16:
	ds_load_2addr_b32 v[1:2], v8 offset1:8
	s_waitcnt lgkmcnt(0)
	v_add_f32_e32 v1, v2, v1
	ds_store_b32 v8, v1
.LBB129_17:
	s_or_b32 exec_lo, exec_lo, s1
	s_delay_alu instid0(SALU_CYCLE_1)
	s_mov_b32 s1, exec_lo
	s_waitcnt lgkmcnt(0)
	s_barrier
	buffer_gl0_inv
	v_cmpx_gt_u16_e32 4, v9
	s_cbranch_execz .LBB129_19
; %bb.18:
	ds_load_2addr_b32 v[1:2], v8 offset1:4
	s_waitcnt lgkmcnt(0)
	v_add_f32_e32 v1, v2, v1
	ds_store_b32 v8, v1
.LBB129_19:
	s_or_b32 exec_lo, exec_lo, s1
	s_waitcnt lgkmcnt(0)
	s_barrier
	buffer_gl0_inv
	s_and_saveexec_b32 s0, vcc_lo
	s_cbranch_execz .LBB129_21
; %bb.20:
	ds_load_2addr_b32 v[1:2], v8 offset1:2
	s_waitcnt lgkmcnt(0)
	v_add_f32_e32 v1, v2, v1
	ds_store_b32 v8, v1
.LBB129_21:
	s_or_b32 exec_lo, exec_lo, s0
	s_mov_b32 s0, 0
	s_mov_b32 s1, 0
	s_mov_b32 s2, exec_lo
	s_waitcnt lgkmcnt(0)
	s_barrier
	buffer_gl0_inv
                                        ; implicit-def: $vgpr1
                                        ; implicit-def: $vgpr2
	v_cmpx_gt_u32_e32 18, v0
	s_xor_b32 s2, exec_lo, s2
; %bb.22:
	v_mul_u32_u24_e32 v1, 18, v0
	v_mad_u32_u24 v2, 0x44, v0, v8
	s_mov_b32 s1, exec_lo
	s_delay_alu instid0(VALU_DEP_2)
	v_or_b32_e32 v1, 1, v1
; %bb.23:
	s_or_b32 exec_lo, exec_lo, s2
	s_delay_alu instid0(SALU_CYCLE_1)
	s_and_b32 vcc_lo, exec_lo, s0
	s_cbranch_vccnz .LBB129_25
	s_branch .LBB129_36
.LBB129_24:
	s_mov_b32 s1, 0
                                        ; implicit-def: $vgpr1
                                        ; implicit-def: $vgpr2
	s_cbranch_execz .LBB129_36
.LBB129_25:
	v_cmp_gt_u32_e32 vcc_lo, 36, v0
	s_and_saveexec_b32 s0, vcc_lo
	s_cbranch_execz .LBB129_27
; %bb.26:
	ds_load_b32 v1, v8 offset:1152
	ds_load_b32 v2, v8
	s_waitcnt lgkmcnt(0)
	v_add_f32_e32 v1, v1, v2
	ds_store_b32 v8, v1
.LBB129_27:
	s_or_b32 exec_lo, exec_lo, s0
	s_delay_alu instid0(SALU_CYCLE_1)
	s_mov_b32 s2, exec_lo
	s_waitcnt lgkmcnt(0)
	s_barrier
	buffer_gl0_inv
	v_cmpx_gt_u32_e32 0x90, v0
	s_cbranch_execz .LBB129_29
; %bb.28:
	ds_load_2addr_b32 v[1:2], v8 offset1:144
	s_waitcnt lgkmcnt(0)
	v_add_f32_e32 v1, v2, v1
	ds_store_b32 v8, v1
.LBB129_29:
	s_or_b32 exec_lo, exec_lo, s2
	s_delay_alu instid0(SALU_CYCLE_1)
	s_mov_b32 s2, exec_lo
	s_waitcnt lgkmcnt(0)
	s_barrier
	buffer_gl0_inv
	v_cmpx_gt_u32_e32 0x48, v0
	s_cbranch_execz .LBB129_31
; %bb.30:
	ds_load_2addr_b32 v[1:2], v8 offset1:72
	s_waitcnt lgkmcnt(0)
	v_add_f32_e32 v1, v2, v1
	ds_store_b32 v8, v1
.LBB129_31:
	s_or_b32 exec_lo, exec_lo, s2
	s_waitcnt lgkmcnt(0)
	s_barrier
	buffer_gl0_inv
	s_and_saveexec_b32 s0, vcc_lo
	s_cbranch_execz .LBB129_33
; %bb.32:
	ds_load_2addr_b32 v[1:2], v8 offset1:36
	s_waitcnt lgkmcnt(0)
	v_add_f32_e32 v1, v2, v1
	ds_store_b32 v8, v1
.LBB129_33:
	s_or_b32 exec_lo, exec_lo, s0
	s_delay_alu instid0(SALU_CYCLE_1)
	s_mov_b32 s0, exec_lo
	s_waitcnt lgkmcnt(0)
	buffer_gl0_inv
                                        ; implicit-def: $vgpr1
	v_cmpx_gt_u32_e32 18, v0
; %bb.34:
	v_add_nc_u32_e32 v1, 18, v0
	s_or_b32 s1, s1, exec_lo
                                        ; implicit-def: $vgpr7
; %bb.35:
	s_or_b32 exec_lo, exec_lo, s0
	v_mov_b32_e32 v2, v8
.LBB129_36:
	s_and_saveexec_b32 s0, s1
	s_cbranch_execz .LBB129_38
; %bb.37:
	v_lshlrev_b32_e32 v1, 2, v1
	ds_load_b32 v2, v2
	ds_load_b32 v1, v1
	s_waitcnt lgkmcnt(0)
	v_add_f32_e32 v7, v2, v1
.LBB129_38:
	s_or_b32 exec_lo, exec_lo, s0
	s_delay_alu instid0(SALU_CYCLE_1)
	s_mov_b32 s0, exec_lo
	v_cmpx_gt_u32_e32 18, v0
	s_cbranch_execz .LBB129_42
; %bb.39:
	v_cmp_eq_f32_e64 s1, s8, 0
	v_mul_f32_e32 v1, s12, v7
	s_mov_b32 s3, 0
	s_mul_i32 s0, s11, 0x48
	s_mul_i32 s2, s10, 0x48
	s_and_b32 vcc_lo, exec_lo, s1
	s_mul_hi_u32 s1, s10, 0x48
	s_cbranch_vccz .LBB129_43
; %bb.40:
	v_lshlrev_b32_e32 v2, 2, v0
	s_add_i32 s5, s1, s0
	s_add_u32 s4, s14, s2
	s_addc_u32 s5, s15, s5
	global_store_b32 v2, v1, s[4:5]
	s_and_not1_b32 vcc_lo, exec_lo, s3
	s_cbranch_vccnz .LBB129_42
.LBB129_41:
	v_lshlrev_b32_e32 v0, 2, v0
	s_add_i32 s1, s1, s0
	s_add_u32 s0, s14, s2
	s_addc_u32 s1, s15, s1
	global_load_b32 v2, v0, s[0:1]
	s_waitcnt vmcnt(0)
	v_fmac_f32_e32 v1, s8, v2
	global_store_b32 v0, v1, s[0:1]
.LBB129_42:
	s_nop 0
	s_sendmsg sendmsg(MSG_DEALLOC_VGPRS)
	s_endpgm
.LBB129_43:
	s_branch .LBB129_41
	.section	.rodata,"a",@progbits
	.p2align	6, 0x0
	.amdhsa_kernel _ZN9rocsparseL20bsrxmvn_17_32_kernelILj18EfllfffEEvT2_20rocsparse_direction_NS_24const_host_device_scalarIT0_EES1_PKS1_PKT1_SA_S7_PKT3_PKT4_S5_PT5_21rocsparse_index_base_b
		.amdhsa_group_segment_fixed_size 1296
		.amdhsa_private_segment_fixed_size 0
		.amdhsa_kernarg_size 104
		.amdhsa_user_sgpr_count 15
		.amdhsa_user_sgpr_dispatch_ptr 0
		.amdhsa_user_sgpr_queue_ptr 0
		.amdhsa_user_sgpr_kernarg_segment_ptr 1
		.amdhsa_user_sgpr_dispatch_id 0
		.amdhsa_user_sgpr_private_segment_size 0
		.amdhsa_wavefront_size32 1
		.amdhsa_uses_dynamic_stack 0
		.amdhsa_enable_private_segment 0
		.amdhsa_system_sgpr_workgroup_id_x 1
		.amdhsa_system_sgpr_workgroup_id_y 0
		.amdhsa_system_sgpr_workgroup_id_z 0
		.amdhsa_system_sgpr_workgroup_info 0
		.amdhsa_system_vgpr_workitem_id 0
		.amdhsa_next_free_vgpr 16
		.amdhsa_next_free_sgpr 24
		.amdhsa_reserve_vcc 1
		.amdhsa_float_round_mode_32 0
		.amdhsa_float_round_mode_16_64 0
		.amdhsa_float_denorm_mode_32 3
		.amdhsa_float_denorm_mode_16_64 3
		.amdhsa_dx10_clamp 1
		.amdhsa_ieee_mode 1
		.amdhsa_fp16_overflow 0
		.amdhsa_workgroup_processor_mode 1
		.amdhsa_memory_ordered 1
		.amdhsa_forward_progress 0
		.amdhsa_shared_vgpr_count 0
		.amdhsa_exception_fp_ieee_invalid_op 0
		.amdhsa_exception_fp_denorm_src 0
		.amdhsa_exception_fp_ieee_div_zero 0
		.amdhsa_exception_fp_ieee_overflow 0
		.amdhsa_exception_fp_ieee_underflow 0
		.amdhsa_exception_fp_ieee_inexact 0
		.amdhsa_exception_int_div_zero 0
	.end_amdhsa_kernel
	.section	.text._ZN9rocsparseL20bsrxmvn_17_32_kernelILj18EfllfffEEvT2_20rocsparse_direction_NS_24const_host_device_scalarIT0_EES1_PKS1_PKT1_SA_S7_PKT3_PKT4_S5_PT5_21rocsparse_index_base_b,"axG",@progbits,_ZN9rocsparseL20bsrxmvn_17_32_kernelILj18EfllfffEEvT2_20rocsparse_direction_NS_24const_host_device_scalarIT0_EES1_PKS1_PKT1_SA_S7_PKT3_PKT4_S5_PT5_21rocsparse_index_base_b,comdat
.Lfunc_end129:
	.size	_ZN9rocsparseL20bsrxmvn_17_32_kernelILj18EfllfffEEvT2_20rocsparse_direction_NS_24const_host_device_scalarIT0_EES1_PKS1_PKT1_SA_S7_PKT3_PKT4_S5_PT5_21rocsparse_index_base_b, .Lfunc_end129-_ZN9rocsparseL20bsrxmvn_17_32_kernelILj18EfllfffEEvT2_20rocsparse_direction_NS_24const_host_device_scalarIT0_EES1_PKS1_PKT1_SA_S7_PKT3_PKT4_S5_PT5_21rocsparse_index_base_b
                                        ; -- End function
	.section	.AMDGPU.csdata,"",@progbits
; Kernel info:
; codeLenInByte = 1612
; NumSgprs: 26
; NumVgprs: 16
; ScratchSize: 0
; MemoryBound: 0
; FloatMode: 240
; IeeeMode: 1
; LDSByteSize: 1296 bytes/workgroup (compile time only)
; SGPRBlocks: 3
; VGPRBlocks: 1
; NumSGPRsForWavesPerEU: 26
; NumVGPRsForWavesPerEU: 16
; Occupancy: 14
; WaveLimiterHint : 1
; COMPUTE_PGM_RSRC2:SCRATCH_EN: 0
; COMPUTE_PGM_RSRC2:USER_SGPR: 15
; COMPUTE_PGM_RSRC2:TRAP_HANDLER: 0
; COMPUTE_PGM_RSRC2:TGID_X_EN: 1
; COMPUTE_PGM_RSRC2:TGID_Y_EN: 0
; COMPUTE_PGM_RSRC2:TGID_Z_EN: 0
; COMPUTE_PGM_RSRC2:TIDIG_COMP_CNT: 0
	.section	.text._ZN9rocsparseL20bsrxmvn_17_32_kernelILj19EfllfffEEvT2_20rocsparse_direction_NS_24const_host_device_scalarIT0_EES1_PKS1_PKT1_SA_S7_PKT3_PKT4_S5_PT5_21rocsparse_index_base_b,"axG",@progbits,_ZN9rocsparseL20bsrxmvn_17_32_kernelILj19EfllfffEEvT2_20rocsparse_direction_NS_24const_host_device_scalarIT0_EES1_PKS1_PKT1_SA_S7_PKT3_PKT4_S5_PT5_21rocsparse_index_base_b,comdat
	.globl	_ZN9rocsparseL20bsrxmvn_17_32_kernelILj19EfllfffEEvT2_20rocsparse_direction_NS_24const_host_device_scalarIT0_EES1_PKS1_PKT1_SA_S7_PKT3_PKT4_S5_PT5_21rocsparse_index_base_b ; -- Begin function _ZN9rocsparseL20bsrxmvn_17_32_kernelILj19EfllfffEEvT2_20rocsparse_direction_NS_24const_host_device_scalarIT0_EES1_PKS1_PKT1_SA_S7_PKT3_PKT4_S5_PT5_21rocsparse_index_base_b
	.p2align	8
	.type	_ZN9rocsparseL20bsrxmvn_17_32_kernelILj19EfllfffEEvT2_20rocsparse_direction_NS_24const_host_device_scalarIT0_EES1_PKS1_PKT1_SA_S7_PKT3_PKT4_S5_PT5_21rocsparse_index_base_b,@function
_ZN9rocsparseL20bsrxmvn_17_32_kernelILj19EfllfffEEvT2_20rocsparse_direction_NS_24const_host_device_scalarIT0_EES1_PKS1_PKT1_SA_S7_PKT3_PKT4_S5_PT5_21rocsparse_index_base_b: ; @_ZN9rocsparseL20bsrxmvn_17_32_kernelILj19EfllfffEEvT2_20rocsparse_direction_NS_24const_host_device_scalarIT0_EES1_PKS1_PKT1_SA_S7_PKT3_PKT4_S5_PT5_21rocsparse_index_base_b
; %bb.0:
	s_clause 0x2
	s_load_b64 s[16:17], s[0:1], 0x60
	s_load_b64 s[12:13], s[0:1], 0x10
	;; [unrolled: 1-line block ×3, first 2 shown]
	s_mov_b32 s10, s15
	s_waitcnt lgkmcnt(0)
	s_bitcmp1_b32 s17, 0
	s_cselect_b32 s2, -1, 0
	s_delay_alu instid0(SALU_CYCLE_1)
	s_and_b32 vcc_lo, exec_lo, s2
	s_xor_b32 s2, s2, -1
	s_cbranch_vccnz .LBB130_2
; %bb.1:
	s_load_b32 s12, s[12:13], 0x0
.LBB130_2:
	s_and_not1_b32 vcc_lo, exec_lo, s2
	s_cbranch_vccnz .LBB130_4
; %bb.3:
	s_load_b32 s8, s[8:9], 0x0
.LBB130_4:
	s_waitcnt lgkmcnt(0)
	v_cmp_neq_f32_e64 s2, s12, 0
	v_cmp_neq_f32_e64 s3, s8, 1.0
	s_mov_b32 s11, 0
	s_delay_alu instid0(VALU_DEP_1) | instskip(NEXT) | instid1(SALU_CYCLE_1)
	s_or_b32 s2, s2, s3
	s_and_not1_b32 vcc_lo, exec_lo, s2
	s_cbranch_vccnz .LBB130_42
; %bb.5:
	s_clause 0x1
	s_load_b128 s[4:7], s[0:1], 0x20
	s_load_b64 s[14:15], s[0:1], 0x30
	s_waitcnt lgkmcnt(0)
	s_cmp_eq_u64 s[4:5], 0
	s_cbranch_scc1 .LBB130_7
; %bb.6:
	s_lshl_b64 s[2:3], s[10:11], 3
	s_delay_alu instid0(SALU_CYCLE_1)
	s_add_u32 s2, s4, s2
	s_addc_u32 s3, s5, s3
	s_load_b64 s[2:3], s[2:3], 0x0
	s_waitcnt lgkmcnt(0)
	s_sub_u32 s10, s2, s16
	s_subb_u32 s11, s3, 0
.LBB130_7:
	s_load_b32 s3, s[0:1], 0x8
	v_mul_u32_u24_e32 v1, 0xd7a, v0
	v_dual_mov_b32 v7, 0 :: v_dual_lshlrev_b32 v8, 2, v0
	s_delay_alu instid0(VALU_DEP_2) | instskip(NEXT) | instid1(VALU_DEP_1)
	v_lshrrev_b32_e32 v1, 16, v1
	v_mul_lo_u16 v2, v1, 19
	s_delay_alu instid0(VALU_DEP_1)
	v_sub_nc_u16 v9, v0, v2
	s_waitcnt lgkmcnt(0)
	s_cmp_eq_u32 s3, 1
	s_cselect_b32 s2, -1, 0
	s_cmp_lg_u32 s3, 1
	s_cselect_b32 s3, -1, 0
	s_lshl_b64 s[4:5], s[10:11], 3
	s_delay_alu instid0(SALU_CYCLE_1)
	s_add_u32 s6, s6, s4
	s_addc_u32 s7, s7, s5
	s_add_u32 s9, s6, 8
	s_addc_u32 s13, s7, 0
	;; [unrolled: 2-line block ×3, first 2 shown]
	s_cmp_eq_u64 s[14:15], 0
	s_load_b64 s[14:15], s[0:1], 0x58
	s_cselect_b32 s5, s13, s5
	s_cselect_b32 s4, s9, s4
	s_load_b64 s[20:21], s[6:7], 0x0
	s_load_b64 s[18:19], s[4:5], 0x0
	s_waitcnt lgkmcnt(0)
	v_cmp_ge_i64_e64 s4, s[20:21], s[18:19]
	s_delay_alu instid0(VALU_DEP_1)
	s_and_b32 vcc_lo, exec_lo, s4
	s_cbranch_vccnz .LBB130_12
; %bb.8:
	v_mul_lo_u16 v2, v1, 14
	v_dual_mov_b32 v7, 0 :: v_dual_and_b32 v4, 0xffff, v0
	v_and_b32_e32 v3, 0xffff, v9
	s_clause 0x1
	s_load_b128 s[4:7], s[0:1], 0x38
	s_load_b64 s[22:23], s[0:1], 0x48
	v_lshrrev_b16 v2, 8, v2
	s_sub_u32 s0, s18, s16
	s_subb_u32 s1, s19, 0
	s_sub_u32 s18, s20, s16
	s_subb_u32 s19, s21, 0
	v_mul_lo_u16 v2, v2, 19
	v_lshlrev_b32_e32 v11, 2, v0
	s_mul_hi_u32 s9, s18, 0x5a4
	s_mul_i32 s13, s19, 0x5a4
	s_mul_i32 s17, s18, 0x5a4
	v_sub_nc_u16 v1, v1, v2
	v_mul_u32_u24_e32 v2, 0xb6, v4
	s_add_i32 s9, s9, s13
	s_delay_alu instid0(VALU_DEP_2) | instskip(NEXT) | instid1(VALU_DEP_2)
	v_and_b32_e32 v1, 0xff, v1
	v_lshrrev_b32_e32 v10, 16, v2
	s_delay_alu instid0(VALU_DEP_2) | instskip(NEXT) | instid1(VALU_DEP_2)
	v_cndmask_b32_e64 v1, v3, v1, s2
	v_add_co_u32 v2, s2, s20, v10
	s_delay_alu instid0(VALU_DEP_1) | instskip(NEXT) | instid1(VALU_DEP_3)
	v_add_co_ci_u32_e64 v4, null, s21, 0, s2
	v_lshlrev_b32_e32 v1, 2, v1
	s_delay_alu instid0(VALU_DEP_3) | instskip(NEXT) | instid1(VALU_DEP_3)
	v_sub_co_u32 v3, vcc_lo, v2, s16
	v_subrev_co_ci_u32_e32 v4, vcc_lo, 0, v4, vcc_lo
	s_waitcnt lgkmcnt(0)
	s_add_u32 s2, s6, s17
	v_add_co_u32 v1, s6, s22, v1
	s_delay_alu instid0(VALU_DEP_2) | instskip(SKIP_3) | instid1(VALU_DEP_3)
	v_lshlrev_b64 v[5:6], 3, v[3:4]
	v_add_co_ci_u32_e64 v2, null, s23, 0, s6
	s_addc_u32 s6, s7, s9
	v_add_co_u32 v3, s2, s2, v11
	v_add_co_u32 v5, vcc_lo, s4, v5
	v_add_co_ci_u32_e64 v4, null, s6, 0, s2
	v_add_co_ci_u32_e32 v6, vcc_lo, s5, v6, vcc_lo
	s_set_inst_prefetch_distance 0x1
	s_branch .LBB130_10
	.p2align	6
.LBB130_9:                              ;   in Loop: Header=BB130_10 Depth=1
	s_or_b32 exec_lo, exec_lo, s2
	s_add_u32 s18, s18, 1
	s_addc_u32 s19, s19, 0
	v_add_co_u32 v5, vcc_lo, v5, 8
	v_cmp_lt_i64_e64 s2, s[18:19], s[0:1]
	v_add_co_ci_u32_e32 v6, vcc_lo, 0, v6, vcc_lo
	s_delay_alu instid0(VALU_DEP_2)
	s_and_b32 vcc_lo, exec_lo, s2
	s_cbranch_vccz .LBB130_12
.LBB130_10:                             ; =>This Inner Loop Header: Depth=1
	v_add_co_u32 v11, s2, v10, s18
	s_delay_alu instid0(VALU_DEP_1) | instskip(SKIP_1) | instid1(VALU_DEP_1)
	v_add_co_ci_u32_e64 v12, null, 0, s19, s2
	s_mov_b32 s2, exec_lo
	v_cmpx_gt_i64_e64 s[0:1], v[11:12]
	s_cbranch_execz .LBB130_9
; %bb.11:                               ;   in Loop: Header=BB130_10 Depth=1
	global_load_b64 v[11:12], v[5:6], off
	s_waitcnt vmcnt(0)
	v_sub_co_u32 v13, vcc_lo, v11, s16
	v_subrev_co_ci_u32_e32 v15, vcc_lo, 0, v12, vcc_lo
	s_delay_alu instid0(VALU_DEP_2) | instskip(NEXT) | instid1(VALU_DEP_1)
	v_mad_u64_u32 v[11:12], null, 0x4c, v13, v[1:2]
	v_mad_u64_u32 v[13:14], null, 0x4c, v15, v[12:13]
	s_delay_alu instid0(VALU_DEP_1)
	v_mov_b32_e32 v12, v13
	global_load_b32 v13, v[3:4], off
	global_load_b32 v11, v[11:12], off
	v_add_co_u32 v3, vcc_lo, 0x5a4, v3
	v_add_co_ci_u32_e32 v4, vcc_lo, 0, v4, vcc_lo
	s_waitcnt vmcnt(0)
	v_fmac_f32_e32 v7, v13, v11
	s_branch .LBB130_9
.LBB130_12:
	s_set_inst_prefetch_distance 0x2
	s_and_b32 vcc_lo, exec_lo, s3
	ds_store_b32 v8, v7
	s_waitcnt lgkmcnt(0)
	s_barrier
	buffer_gl0_inv
	s_cbranch_vccz .LBB130_24
; %bb.13:
	s_mov_b32 s0, exec_lo
	v_cmpx_gt_u16_e32 3, v9
	s_cbranch_execz .LBB130_15
; %bb.14:
	ds_load_2addr_b32 v[1:2], v8 offset1:16
	s_waitcnt lgkmcnt(0)
	v_add_f32_e32 v1, v2, v1
	ds_store_b32 v8, v1
.LBB130_15:
	s_or_b32 exec_lo, exec_lo, s0
	s_delay_alu instid0(SALU_CYCLE_1)
	s_mov_b32 s0, exec_lo
	s_waitcnt lgkmcnt(0)
	s_barrier
	buffer_gl0_inv
	v_cmpx_gt_u16_e32 8, v9
	s_cbranch_execz .LBB130_17
; %bb.16:
	ds_load_2addr_b32 v[1:2], v8 offset1:8
	s_waitcnt lgkmcnt(0)
	v_add_f32_e32 v1, v2, v1
	ds_store_b32 v8, v1
.LBB130_17:
	s_or_b32 exec_lo, exec_lo, s0
	s_delay_alu instid0(SALU_CYCLE_1)
	s_mov_b32 s0, exec_lo
	s_waitcnt lgkmcnt(0)
	s_barrier
	buffer_gl0_inv
	;; [unrolled: 14-line block ×3, first 2 shown]
	v_cmpx_gt_u16_e32 2, v9
	s_cbranch_execz .LBB130_21
; %bb.20:
	ds_load_2addr_b32 v[1:2], v8 offset1:2
	s_waitcnt lgkmcnt(0)
	v_add_f32_e32 v1, v2, v1
	ds_store_b32 v8, v1
.LBB130_21:
	s_or_b32 exec_lo, exec_lo, s0
	s_mov_b32 s1, 0
	s_mov_b32 s0, 0
	s_mov_b32 s2, exec_lo
	s_waitcnt lgkmcnt(0)
	s_barrier
	buffer_gl0_inv
                                        ; implicit-def: $vgpr1
                                        ; implicit-def: $vgpr2
	v_cmpx_gt_u32_e32 19, v0
	s_xor_b32 s2, exec_lo, s2
; %bb.22:
	v_mad_u32_u24 v1, v0, 19, 1
	v_mad_u32_u24 v2, 0x48, v0, v8
	s_mov_b32 s0, exec_lo
; %bb.23:
	s_or_b32 exec_lo, exec_lo, s2
	s_delay_alu instid0(SALU_CYCLE_1)
	s_and_b32 vcc_lo, exec_lo, s1
	s_cbranch_vccnz .LBB130_25
	s_branch .LBB130_36
.LBB130_24:
	s_mov_b32 s0, 0
                                        ; implicit-def: $vgpr1
                                        ; implicit-def: $vgpr2
	s_cbranch_execz .LBB130_36
.LBB130_25:
	s_mov_b32 s1, exec_lo
	v_cmpx_gt_u32_e32 57, v0
	s_cbranch_execz .LBB130_27
; %bb.26:
	ds_load_b32 v1, v8 offset:1216
	ds_load_b32 v2, v8
	s_waitcnt lgkmcnt(0)
	v_add_f32_e32 v1, v1, v2
	ds_store_b32 v8, v1
.LBB130_27:
	s_or_b32 exec_lo, exec_lo, s1
	s_delay_alu instid0(SALU_CYCLE_1)
	s_mov_b32 s1, exec_lo
	s_waitcnt lgkmcnt(0)
	s_barrier
	buffer_gl0_inv
	v_cmpx_gt_u32_e32 0x98, v0
	s_cbranch_execz .LBB130_29
; %bb.28:
	ds_load_2addr_b32 v[1:2], v8 offset1:152
	s_waitcnt lgkmcnt(0)
	v_add_f32_e32 v1, v2, v1
	ds_store_b32 v8, v1
.LBB130_29:
	s_or_b32 exec_lo, exec_lo, s1
	s_delay_alu instid0(SALU_CYCLE_1)
	s_mov_b32 s1, exec_lo
	s_waitcnt lgkmcnt(0)
	s_barrier
	buffer_gl0_inv
	v_cmpx_gt_u32_e32 0x4c, v0
	s_cbranch_execz .LBB130_31
; %bb.30:
	ds_load_2addr_b32 v[1:2], v8 offset1:76
	s_waitcnt lgkmcnt(0)
	v_add_f32_e32 v1, v2, v1
	ds_store_b32 v8, v1
.LBB130_31:
	;; [unrolled: 14-line block ×3, first 2 shown]
	s_or_b32 exec_lo, exec_lo, s1
	s_delay_alu instid0(SALU_CYCLE_1)
	s_mov_b32 s1, exec_lo
	s_waitcnt lgkmcnt(0)
	buffer_gl0_inv
                                        ; implicit-def: $vgpr1
	v_cmpx_gt_u32_e32 19, v0
; %bb.34:
	v_add_nc_u32_e32 v1, 19, v0
	s_or_b32 s0, s0, exec_lo
                                        ; implicit-def: $vgpr7
; %bb.35:
	s_or_b32 exec_lo, exec_lo, s1
	v_mov_b32_e32 v2, v8
.LBB130_36:
	s_and_saveexec_b32 s1, s0
	s_cbranch_execz .LBB130_38
; %bb.37:
	v_lshlrev_b32_e32 v1, 2, v1
	ds_load_b32 v2, v2
	ds_load_b32 v1, v1
	s_waitcnt lgkmcnt(0)
	v_add_f32_e32 v7, v2, v1
.LBB130_38:
	s_or_b32 exec_lo, exec_lo, s1
	s_delay_alu instid0(SALU_CYCLE_1)
	s_mov_b32 s0, exec_lo
	v_cmpx_gt_u32_e32 19, v0
	s_cbranch_execz .LBB130_42
; %bb.39:
	v_cmp_eq_f32_e64 s1, s8, 0
	v_mul_f32_e32 v1, s12, v7
	s_mov_b32 s3, 0
	s_mul_i32 s0, s11, 0x4c
	s_mul_i32 s2, s10, 0x4c
	s_and_b32 vcc_lo, exec_lo, s1
	s_mul_hi_u32 s1, s10, 0x4c
	s_cbranch_vccz .LBB130_43
; %bb.40:
	v_lshlrev_b32_e32 v2, 2, v0
	s_add_i32 s5, s1, s0
	s_add_u32 s4, s14, s2
	s_addc_u32 s5, s15, s5
	global_store_b32 v2, v1, s[4:5]
	s_and_not1_b32 vcc_lo, exec_lo, s3
	s_cbranch_vccnz .LBB130_42
.LBB130_41:
	v_lshlrev_b32_e32 v0, 2, v0
	s_add_i32 s1, s1, s0
	s_add_u32 s0, s14, s2
	s_addc_u32 s1, s15, s1
	global_load_b32 v2, v0, s[0:1]
	s_waitcnt vmcnt(0)
	v_fmac_f32_e32 v1, s8, v2
	global_store_b32 v0, v1, s[0:1]
.LBB130_42:
	s_nop 0
	s_sendmsg sendmsg(MSG_DEALLOC_VGPRS)
	s_endpgm
.LBB130_43:
	s_branch .LBB130_41
	.section	.rodata,"a",@progbits
	.p2align	6, 0x0
	.amdhsa_kernel _ZN9rocsparseL20bsrxmvn_17_32_kernelILj19EfllfffEEvT2_20rocsparse_direction_NS_24const_host_device_scalarIT0_EES1_PKS1_PKT1_SA_S7_PKT3_PKT4_S5_PT5_21rocsparse_index_base_b
		.amdhsa_group_segment_fixed_size 1444
		.amdhsa_private_segment_fixed_size 0
		.amdhsa_kernarg_size 104
		.amdhsa_user_sgpr_count 15
		.amdhsa_user_sgpr_dispatch_ptr 0
		.amdhsa_user_sgpr_queue_ptr 0
		.amdhsa_user_sgpr_kernarg_segment_ptr 1
		.amdhsa_user_sgpr_dispatch_id 0
		.amdhsa_user_sgpr_private_segment_size 0
		.amdhsa_wavefront_size32 1
		.amdhsa_uses_dynamic_stack 0
		.amdhsa_enable_private_segment 0
		.amdhsa_system_sgpr_workgroup_id_x 1
		.amdhsa_system_sgpr_workgroup_id_y 0
		.amdhsa_system_sgpr_workgroup_id_z 0
		.amdhsa_system_sgpr_workgroup_info 0
		.amdhsa_system_vgpr_workitem_id 0
		.amdhsa_next_free_vgpr 16
		.amdhsa_next_free_sgpr 24
		.amdhsa_reserve_vcc 1
		.amdhsa_float_round_mode_32 0
		.amdhsa_float_round_mode_16_64 0
		.amdhsa_float_denorm_mode_32 3
		.amdhsa_float_denorm_mode_16_64 3
		.amdhsa_dx10_clamp 1
		.amdhsa_ieee_mode 1
		.amdhsa_fp16_overflow 0
		.amdhsa_workgroup_processor_mode 1
		.amdhsa_memory_ordered 1
		.amdhsa_forward_progress 0
		.amdhsa_shared_vgpr_count 0
		.amdhsa_exception_fp_ieee_invalid_op 0
		.amdhsa_exception_fp_denorm_src 0
		.amdhsa_exception_fp_ieee_div_zero 0
		.amdhsa_exception_fp_ieee_overflow 0
		.amdhsa_exception_fp_ieee_underflow 0
		.amdhsa_exception_fp_ieee_inexact 0
		.amdhsa_exception_int_div_zero 0
	.end_amdhsa_kernel
	.section	.text._ZN9rocsparseL20bsrxmvn_17_32_kernelILj19EfllfffEEvT2_20rocsparse_direction_NS_24const_host_device_scalarIT0_EES1_PKS1_PKT1_SA_S7_PKT3_PKT4_S5_PT5_21rocsparse_index_base_b,"axG",@progbits,_ZN9rocsparseL20bsrxmvn_17_32_kernelILj19EfllfffEEvT2_20rocsparse_direction_NS_24const_host_device_scalarIT0_EES1_PKS1_PKT1_SA_S7_PKT3_PKT4_S5_PT5_21rocsparse_index_base_b,comdat
.Lfunc_end130:
	.size	_ZN9rocsparseL20bsrxmvn_17_32_kernelILj19EfllfffEEvT2_20rocsparse_direction_NS_24const_host_device_scalarIT0_EES1_PKS1_PKT1_SA_S7_PKT3_PKT4_S5_PT5_21rocsparse_index_base_b, .Lfunc_end130-_ZN9rocsparseL20bsrxmvn_17_32_kernelILj19EfllfffEEvT2_20rocsparse_direction_NS_24const_host_device_scalarIT0_EES1_PKS1_PKT1_SA_S7_PKT3_PKT4_S5_PT5_21rocsparse_index_base_b
                                        ; -- End function
	.section	.AMDGPU.csdata,"",@progbits
; Kernel info:
; codeLenInByte = 1624
; NumSgprs: 26
; NumVgprs: 16
; ScratchSize: 0
; MemoryBound: 0
; FloatMode: 240
; IeeeMode: 1
; LDSByteSize: 1444 bytes/workgroup (compile time only)
; SGPRBlocks: 3
; VGPRBlocks: 1
; NumSGPRsForWavesPerEU: 26
; NumVGPRsForWavesPerEU: 16
; Occupancy: 15
; WaveLimiterHint : 1
; COMPUTE_PGM_RSRC2:SCRATCH_EN: 0
; COMPUTE_PGM_RSRC2:USER_SGPR: 15
; COMPUTE_PGM_RSRC2:TRAP_HANDLER: 0
; COMPUTE_PGM_RSRC2:TGID_X_EN: 1
; COMPUTE_PGM_RSRC2:TGID_Y_EN: 0
; COMPUTE_PGM_RSRC2:TGID_Z_EN: 0
; COMPUTE_PGM_RSRC2:TIDIG_COMP_CNT: 0
	.section	.text._ZN9rocsparseL20bsrxmvn_17_32_kernelILj20EfllfffEEvT2_20rocsparse_direction_NS_24const_host_device_scalarIT0_EES1_PKS1_PKT1_SA_S7_PKT3_PKT4_S5_PT5_21rocsparse_index_base_b,"axG",@progbits,_ZN9rocsparseL20bsrxmvn_17_32_kernelILj20EfllfffEEvT2_20rocsparse_direction_NS_24const_host_device_scalarIT0_EES1_PKS1_PKT1_SA_S7_PKT3_PKT4_S5_PT5_21rocsparse_index_base_b,comdat
	.globl	_ZN9rocsparseL20bsrxmvn_17_32_kernelILj20EfllfffEEvT2_20rocsparse_direction_NS_24const_host_device_scalarIT0_EES1_PKS1_PKT1_SA_S7_PKT3_PKT4_S5_PT5_21rocsparse_index_base_b ; -- Begin function _ZN9rocsparseL20bsrxmvn_17_32_kernelILj20EfllfffEEvT2_20rocsparse_direction_NS_24const_host_device_scalarIT0_EES1_PKS1_PKT1_SA_S7_PKT3_PKT4_S5_PT5_21rocsparse_index_base_b
	.p2align	8
	.type	_ZN9rocsparseL20bsrxmvn_17_32_kernelILj20EfllfffEEvT2_20rocsparse_direction_NS_24const_host_device_scalarIT0_EES1_PKS1_PKT1_SA_S7_PKT3_PKT4_S5_PT5_21rocsparse_index_base_b,@function
_ZN9rocsparseL20bsrxmvn_17_32_kernelILj20EfllfffEEvT2_20rocsparse_direction_NS_24const_host_device_scalarIT0_EES1_PKS1_PKT1_SA_S7_PKT3_PKT4_S5_PT5_21rocsparse_index_base_b: ; @_ZN9rocsparseL20bsrxmvn_17_32_kernelILj20EfllfffEEvT2_20rocsparse_direction_NS_24const_host_device_scalarIT0_EES1_PKS1_PKT1_SA_S7_PKT3_PKT4_S5_PT5_21rocsparse_index_base_b
; %bb.0:
	s_clause 0x2
	s_load_b64 s[16:17], s[0:1], 0x60
	s_load_b64 s[12:13], s[0:1], 0x10
	;; [unrolled: 1-line block ×3, first 2 shown]
	s_mov_b32 s10, s15
	s_waitcnt lgkmcnt(0)
	s_bitcmp1_b32 s17, 0
	s_cselect_b32 s2, -1, 0
	s_delay_alu instid0(SALU_CYCLE_1)
	s_and_b32 vcc_lo, exec_lo, s2
	s_xor_b32 s2, s2, -1
	s_cbranch_vccnz .LBB131_2
; %bb.1:
	s_load_b32 s12, s[12:13], 0x0
.LBB131_2:
	s_and_not1_b32 vcc_lo, exec_lo, s2
	s_cbranch_vccnz .LBB131_4
; %bb.3:
	s_load_b32 s8, s[8:9], 0x0
.LBB131_4:
	s_waitcnt lgkmcnt(0)
	v_cmp_neq_f32_e64 s2, s12, 0
	v_cmp_neq_f32_e64 s3, s8, 1.0
	s_mov_b32 s11, 0
	s_delay_alu instid0(VALU_DEP_1) | instskip(NEXT) | instid1(SALU_CYCLE_1)
	s_or_b32 s2, s2, s3
	s_and_not1_b32 vcc_lo, exec_lo, s2
	s_cbranch_vccnz .LBB131_42
; %bb.5:
	s_clause 0x1
	s_load_b128 s[4:7], s[0:1], 0x20
	s_load_b64 s[14:15], s[0:1], 0x30
	s_waitcnt lgkmcnt(0)
	s_cmp_eq_u64 s[4:5], 0
	s_cbranch_scc1 .LBB131_7
; %bb.6:
	s_lshl_b64 s[2:3], s[10:11], 3
	s_delay_alu instid0(SALU_CYCLE_1)
	s_add_u32 s2, s4, s2
	s_addc_u32 s3, s5, s3
	s_load_b64 s[2:3], s[2:3], 0x0
	s_waitcnt lgkmcnt(0)
	s_sub_u32 s10, s2, s16
	s_subb_u32 s11, s3, 0
.LBB131_7:
	s_load_b32 s3, s[0:1], 0x8
	v_mul_u32_u24_e32 v1, 0xccd, v0
	v_dual_mov_b32 v7, 0 :: v_dual_lshlrev_b32 v8, 2, v0
	s_delay_alu instid0(VALU_DEP_2) | instskip(NEXT) | instid1(VALU_DEP_1)
	v_lshrrev_b32_e32 v1, 16, v1
	v_mul_lo_u16 v2, v1, 20
	s_delay_alu instid0(VALU_DEP_1)
	v_sub_nc_u16 v9, v0, v2
	s_waitcnt lgkmcnt(0)
	s_cmp_eq_u32 s3, 1
	s_cselect_b32 s2, -1, 0
	s_cmp_lg_u32 s3, 1
	s_cselect_b32 s3, -1, 0
	s_lshl_b64 s[4:5], s[10:11], 3
	s_delay_alu instid0(SALU_CYCLE_1)
	s_add_u32 s6, s6, s4
	s_addc_u32 s7, s7, s5
	s_add_u32 s9, s6, 8
	s_addc_u32 s13, s7, 0
	;; [unrolled: 2-line block ×3, first 2 shown]
	s_cmp_eq_u64 s[14:15], 0
	s_load_b64 s[14:15], s[0:1], 0x58
	s_cselect_b32 s5, s13, s5
	s_cselect_b32 s4, s9, s4
	s_load_b64 s[20:21], s[6:7], 0x0
	s_load_b64 s[18:19], s[4:5], 0x0
	s_waitcnt lgkmcnt(0)
	v_cmp_ge_i64_e64 s4, s[20:21], s[18:19]
	s_delay_alu instid0(VALU_DEP_1)
	s_and_b32 vcc_lo, exec_lo, s4
	s_cbranch_vccnz .LBB131_12
; %bb.8:
	v_mul_lo_u16 v2, v1, 13
	v_dual_mov_b32 v7, 0 :: v_dual_and_b32 v4, 0xffff, v0
	v_and_b32_e32 v3, 0xffff, v9
	s_clause 0x1
	s_load_b128 s[4:7], s[0:1], 0x38
	s_load_b64 s[22:23], s[0:1], 0x48
	v_lshrrev_b16 v2, 8, v2
	s_sub_u32 s0, s18, s16
	s_subb_u32 s1, s19, 0
	s_sub_u32 s18, s20, s16
	s_subb_u32 s19, s21, 0
	v_mul_lo_u16 v2, v2, 20
	v_lshlrev_b32_e32 v11, 2, v0
	s_mul_hi_u32 s9, s18, 0x640
	s_mul_i32 s13, s19, 0x640
	s_mul_i32 s17, s18, 0x640
	v_sub_nc_u16 v1, v1, v2
	v_mul_u32_u24_e32 v2, 0xa4, v4
	s_add_i32 s9, s9, s13
	s_delay_alu instid0(VALU_DEP_2) | instskip(NEXT) | instid1(VALU_DEP_2)
	v_and_b32_e32 v1, 0xff, v1
	v_lshrrev_b32_e32 v10, 16, v2
	s_delay_alu instid0(VALU_DEP_2) | instskip(NEXT) | instid1(VALU_DEP_2)
	v_cndmask_b32_e64 v1, v3, v1, s2
	v_add_co_u32 v2, s2, s20, v10
	s_delay_alu instid0(VALU_DEP_1) | instskip(NEXT) | instid1(VALU_DEP_3)
	v_add_co_ci_u32_e64 v4, null, s21, 0, s2
	v_lshlrev_b32_e32 v1, 2, v1
	s_delay_alu instid0(VALU_DEP_3) | instskip(NEXT) | instid1(VALU_DEP_3)
	v_sub_co_u32 v3, vcc_lo, v2, s16
	v_subrev_co_ci_u32_e32 v4, vcc_lo, 0, v4, vcc_lo
	s_waitcnt lgkmcnt(0)
	s_add_u32 s2, s6, s17
	v_add_co_u32 v1, s6, s22, v1
	s_delay_alu instid0(VALU_DEP_2) | instskip(SKIP_3) | instid1(VALU_DEP_3)
	v_lshlrev_b64 v[5:6], 3, v[3:4]
	v_add_co_ci_u32_e64 v2, null, s23, 0, s6
	s_addc_u32 s6, s7, s9
	v_add_co_u32 v3, s2, s2, v11
	v_add_co_u32 v5, vcc_lo, s4, v5
	v_add_co_ci_u32_e64 v4, null, s6, 0, s2
	v_add_co_ci_u32_e32 v6, vcc_lo, s5, v6, vcc_lo
	s_set_inst_prefetch_distance 0x1
	s_branch .LBB131_10
	.p2align	6
.LBB131_9:                              ;   in Loop: Header=BB131_10 Depth=1
	s_or_b32 exec_lo, exec_lo, s2
	s_add_u32 s18, s18, 1
	s_addc_u32 s19, s19, 0
	v_add_co_u32 v5, vcc_lo, v5, 8
	v_cmp_lt_i64_e64 s2, s[18:19], s[0:1]
	v_add_co_ci_u32_e32 v6, vcc_lo, 0, v6, vcc_lo
	s_delay_alu instid0(VALU_DEP_2)
	s_and_b32 vcc_lo, exec_lo, s2
	s_cbranch_vccz .LBB131_12
.LBB131_10:                             ; =>This Inner Loop Header: Depth=1
	v_add_co_u32 v11, s2, v10, s18
	s_delay_alu instid0(VALU_DEP_1) | instskip(SKIP_1) | instid1(VALU_DEP_1)
	v_add_co_ci_u32_e64 v12, null, 0, s19, s2
	s_mov_b32 s2, exec_lo
	v_cmpx_gt_i64_e64 s[0:1], v[11:12]
	s_cbranch_execz .LBB131_9
; %bb.11:                               ;   in Loop: Header=BB131_10 Depth=1
	global_load_b64 v[11:12], v[5:6], off
	s_waitcnt vmcnt(0)
	v_sub_co_u32 v13, vcc_lo, v11, s16
	v_subrev_co_ci_u32_e32 v15, vcc_lo, 0, v12, vcc_lo
	s_delay_alu instid0(VALU_DEP_2) | instskip(NEXT) | instid1(VALU_DEP_1)
	v_mad_u64_u32 v[11:12], null, 0x50, v13, v[1:2]
	v_mad_u64_u32 v[13:14], null, 0x50, v15, v[12:13]
	s_delay_alu instid0(VALU_DEP_1)
	v_mov_b32_e32 v12, v13
	global_load_b32 v13, v[3:4], off
	global_load_b32 v11, v[11:12], off
	v_add_co_u32 v3, vcc_lo, 0x640, v3
	v_add_co_ci_u32_e32 v4, vcc_lo, 0, v4, vcc_lo
	s_waitcnt vmcnt(0)
	v_fmac_f32_e32 v7, v13, v11
	s_branch .LBB131_9
.LBB131_12:
	s_set_inst_prefetch_distance 0x2
	s_and_b32 vcc_lo, exec_lo, s3
	ds_store_b32 v8, v7
	s_waitcnt lgkmcnt(0)
	s_barrier
	buffer_gl0_inv
	s_cbranch_vccz .LBB131_24
; %bb.13:
	v_cmp_gt_u16_e32 vcc_lo, 4, v9
	s_and_saveexec_b32 s0, vcc_lo
	s_cbranch_execz .LBB131_15
; %bb.14:
	ds_load_2addr_b32 v[1:2], v8 offset1:16
	s_waitcnt lgkmcnt(0)
	v_add_f32_e32 v1, v2, v1
	ds_store_b32 v8, v1
.LBB131_15:
	s_or_b32 exec_lo, exec_lo, s0
	s_delay_alu instid0(SALU_CYCLE_1)
	s_mov_b32 s1, exec_lo
	s_waitcnt lgkmcnt(0)
	s_barrier
	buffer_gl0_inv
	v_cmpx_gt_u16_e32 8, v9
	s_cbranch_execz .LBB131_17
; %bb.16:
	ds_load_2addr_b32 v[1:2], v8 offset1:8
	s_waitcnt lgkmcnt(0)
	v_add_f32_e32 v1, v2, v1
	ds_store_b32 v8, v1
.LBB131_17:
	s_or_b32 exec_lo, exec_lo, s1
	s_waitcnt lgkmcnt(0)
	s_barrier
	buffer_gl0_inv
	s_and_saveexec_b32 s0, vcc_lo
	s_cbranch_execz .LBB131_19
; %bb.18:
	ds_load_2addr_b32 v[1:2], v8 offset1:4
	s_waitcnt lgkmcnt(0)
	v_add_f32_e32 v1, v2, v1
	ds_store_b32 v8, v1
.LBB131_19:
	s_or_b32 exec_lo, exec_lo, s0
	s_delay_alu instid0(SALU_CYCLE_1)
	s_mov_b32 s0, exec_lo
	s_waitcnt lgkmcnt(0)
	s_barrier
	buffer_gl0_inv
	v_cmpx_gt_u16_e32 2, v9
	s_cbranch_execz .LBB131_21
; %bb.20:
	ds_load_2addr_b32 v[1:2], v8 offset1:2
	s_waitcnt lgkmcnt(0)
	v_add_f32_e32 v1, v2, v1
	ds_store_b32 v8, v1
.LBB131_21:
	s_or_b32 exec_lo, exec_lo, s0
	s_mov_b32 s0, 0
	s_mov_b32 s1, 0
	s_mov_b32 s2, exec_lo
	s_waitcnt lgkmcnt(0)
	s_barrier
	buffer_gl0_inv
                                        ; implicit-def: $vgpr1
                                        ; implicit-def: $vgpr2
	v_cmpx_gt_u32_e32 20, v0
	s_xor_b32 s2, exec_lo, s2
; %bb.22:
	v_mul_u32_u24_e32 v1, 20, v0
	v_mad_u32_u24 v2, 0x4c, v0, v8
	s_mov_b32 s1, exec_lo
	s_delay_alu instid0(VALU_DEP_2)
	v_or_b32_e32 v1, 1, v1
; %bb.23:
	s_or_b32 exec_lo, exec_lo, s2
	s_delay_alu instid0(SALU_CYCLE_1)
	s_and_b32 vcc_lo, exec_lo, s0
	s_cbranch_vccnz .LBB131_25
	s_branch .LBB131_36
.LBB131_24:
	s_mov_b32 s1, 0
                                        ; implicit-def: $vgpr1
                                        ; implicit-def: $vgpr2
	s_cbranch_execz .LBB131_36
.LBB131_25:
	v_cmp_gt_u32_e32 vcc_lo, 0x50, v0
	s_and_saveexec_b32 s0, vcc_lo
	s_cbranch_execz .LBB131_27
; %bb.26:
	ds_load_2addr_stride64_b32 v[1:2], v8 offset1:5
	s_waitcnt lgkmcnt(0)
	v_add_f32_e32 v1, v2, v1
	ds_store_b32 v8, v1
.LBB131_27:
	s_or_b32 exec_lo, exec_lo, s0
	s_delay_alu instid0(SALU_CYCLE_1)
	s_mov_b32 s2, exec_lo
	s_waitcnt lgkmcnt(0)
	s_barrier
	buffer_gl0_inv
	v_cmpx_gt_u32_e32 0xa0, v0
	s_cbranch_execz .LBB131_29
; %bb.28:
	ds_load_2addr_b32 v[1:2], v8 offset1:160
	s_waitcnt lgkmcnt(0)
	v_add_f32_e32 v1, v2, v1
	ds_store_b32 v8, v1
.LBB131_29:
	s_or_b32 exec_lo, exec_lo, s2
	s_waitcnt lgkmcnt(0)
	s_barrier
	buffer_gl0_inv
	s_and_saveexec_b32 s0, vcc_lo
	s_cbranch_execz .LBB131_31
; %bb.30:
	ds_load_2addr_b32 v[1:2], v8 offset1:80
	s_waitcnt lgkmcnt(0)
	v_add_f32_e32 v1, v2, v1
	ds_store_b32 v8, v1
.LBB131_31:
	s_or_b32 exec_lo, exec_lo, s0
	s_delay_alu instid0(SALU_CYCLE_1)
	s_mov_b32 s0, exec_lo
	s_waitcnt lgkmcnt(0)
	s_barrier
	buffer_gl0_inv
	v_cmpx_gt_u32_e32 40, v0
	s_cbranch_execz .LBB131_33
; %bb.32:
	ds_load_2addr_b32 v[1:2], v8 offset1:40
	s_waitcnt lgkmcnt(0)
	v_add_f32_e32 v1, v2, v1
	ds_store_b32 v8, v1
.LBB131_33:
	s_or_b32 exec_lo, exec_lo, s0
	s_delay_alu instid0(SALU_CYCLE_1)
	s_mov_b32 s0, exec_lo
	s_waitcnt lgkmcnt(0)
	buffer_gl0_inv
                                        ; implicit-def: $vgpr1
	v_cmpx_gt_u32_e32 20, v0
; %bb.34:
	v_add_nc_u32_e32 v1, 20, v0
	s_or_b32 s1, s1, exec_lo
                                        ; implicit-def: $vgpr7
; %bb.35:
	s_or_b32 exec_lo, exec_lo, s0
	v_mov_b32_e32 v2, v8
.LBB131_36:
	s_and_saveexec_b32 s0, s1
	s_cbranch_execz .LBB131_38
; %bb.37:
	v_lshlrev_b32_e32 v1, 2, v1
	ds_load_b32 v2, v2
	ds_load_b32 v1, v1
	s_waitcnt lgkmcnt(0)
	v_add_f32_e32 v7, v2, v1
.LBB131_38:
	s_or_b32 exec_lo, exec_lo, s0
	s_delay_alu instid0(SALU_CYCLE_1)
	s_mov_b32 s0, exec_lo
	v_cmpx_gt_u32_e32 20, v0
	s_cbranch_execz .LBB131_42
; %bb.39:
	v_cmp_eq_f32_e64 s1, s8, 0
	v_mul_f32_e32 v1, s12, v7
	s_mov_b32 s3, 0
	s_mul_i32 s0, s11, 0x50
	s_mul_i32 s2, s10, 0x50
	s_and_b32 vcc_lo, exec_lo, s1
	s_mul_hi_u32 s1, s10, 0x50
	s_cbranch_vccz .LBB131_43
; %bb.40:
	v_lshlrev_b32_e32 v2, 2, v0
	s_add_i32 s5, s1, s0
	s_add_u32 s4, s14, s2
	s_addc_u32 s5, s15, s5
	global_store_b32 v2, v1, s[4:5]
	s_and_not1_b32 vcc_lo, exec_lo, s3
	s_cbranch_vccnz .LBB131_42
.LBB131_41:
	v_lshlrev_b32_e32 v0, 2, v0
	s_add_i32 s1, s1, s0
	s_add_u32 s0, s14, s2
	s_addc_u32 s1, s15, s1
	global_load_b32 v2, v0, s[0:1]
	s_waitcnt vmcnt(0)
	v_fmac_f32_e32 v1, s8, v2
	global_store_b32 v0, v1, s[0:1]
.LBB131_42:
	s_nop 0
	s_sendmsg sendmsg(MSG_DEALLOC_VGPRS)
	s_endpgm
.LBB131_43:
	s_branch .LBB131_41
	.section	.rodata,"a",@progbits
	.p2align	6, 0x0
	.amdhsa_kernel _ZN9rocsparseL20bsrxmvn_17_32_kernelILj20EfllfffEEvT2_20rocsparse_direction_NS_24const_host_device_scalarIT0_EES1_PKS1_PKT1_SA_S7_PKT3_PKT4_S5_PT5_21rocsparse_index_base_b
		.amdhsa_group_segment_fixed_size 1600
		.amdhsa_private_segment_fixed_size 0
		.amdhsa_kernarg_size 104
		.amdhsa_user_sgpr_count 15
		.amdhsa_user_sgpr_dispatch_ptr 0
		.amdhsa_user_sgpr_queue_ptr 0
		.amdhsa_user_sgpr_kernarg_segment_ptr 1
		.amdhsa_user_sgpr_dispatch_id 0
		.amdhsa_user_sgpr_private_segment_size 0
		.amdhsa_wavefront_size32 1
		.amdhsa_uses_dynamic_stack 0
		.amdhsa_enable_private_segment 0
		.amdhsa_system_sgpr_workgroup_id_x 1
		.amdhsa_system_sgpr_workgroup_id_y 0
		.amdhsa_system_sgpr_workgroup_id_z 0
		.amdhsa_system_sgpr_workgroup_info 0
		.amdhsa_system_vgpr_workitem_id 0
		.amdhsa_next_free_vgpr 16
		.amdhsa_next_free_sgpr 24
		.amdhsa_reserve_vcc 1
		.amdhsa_float_round_mode_32 0
		.amdhsa_float_round_mode_16_64 0
		.amdhsa_float_denorm_mode_32 3
		.amdhsa_float_denorm_mode_16_64 3
		.amdhsa_dx10_clamp 1
		.amdhsa_ieee_mode 1
		.amdhsa_fp16_overflow 0
		.amdhsa_workgroup_processor_mode 1
		.amdhsa_memory_ordered 1
		.amdhsa_forward_progress 0
		.amdhsa_shared_vgpr_count 0
		.amdhsa_exception_fp_ieee_invalid_op 0
		.amdhsa_exception_fp_denorm_src 0
		.amdhsa_exception_fp_ieee_div_zero 0
		.amdhsa_exception_fp_ieee_overflow 0
		.amdhsa_exception_fp_ieee_underflow 0
		.amdhsa_exception_fp_ieee_inexact 0
		.amdhsa_exception_int_div_zero 0
	.end_amdhsa_kernel
	.section	.text._ZN9rocsparseL20bsrxmvn_17_32_kernelILj20EfllfffEEvT2_20rocsparse_direction_NS_24const_host_device_scalarIT0_EES1_PKS1_PKT1_SA_S7_PKT3_PKT4_S5_PT5_21rocsparse_index_base_b,"axG",@progbits,_ZN9rocsparseL20bsrxmvn_17_32_kernelILj20EfllfffEEvT2_20rocsparse_direction_NS_24const_host_device_scalarIT0_EES1_PKS1_PKT1_SA_S7_PKT3_PKT4_S5_PT5_21rocsparse_index_base_b,comdat
.Lfunc_end131:
	.size	_ZN9rocsparseL20bsrxmvn_17_32_kernelILj20EfllfffEEvT2_20rocsparse_direction_NS_24const_host_device_scalarIT0_EES1_PKS1_PKT1_SA_S7_PKT3_PKT4_S5_PT5_21rocsparse_index_base_b, .Lfunc_end131-_ZN9rocsparseL20bsrxmvn_17_32_kernelILj20EfllfffEEvT2_20rocsparse_direction_NS_24const_host_device_scalarIT0_EES1_PKS1_PKT1_SA_S7_PKT3_PKT4_S5_PT5_21rocsparse_index_base_b
                                        ; -- End function
	.section	.AMDGPU.csdata,"",@progbits
; Kernel info:
; codeLenInByte = 1604
; NumSgprs: 26
; NumVgprs: 16
; ScratchSize: 0
; MemoryBound: 0
; FloatMode: 240
; IeeeMode: 1
; LDSByteSize: 1600 bytes/workgroup (compile time only)
; SGPRBlocks: 3
; VGPRBlocks: 1
; NumSGPRsForWavesPerEU: 26
; NumVGPRsForWavesPerEU: 16
; Occupancy: 13
; WaveLimiterHint : 1
; COMPUTE_PGM_RSRC2:SCRATCH_EN: 0
; COMPUTE_PGM_RSRC2:USER_SGPR: 15
; COMPUTE_PGM_RSRC2:TRAP_HANDLER: 0
; COMPUTE_PGM_RSRC2:TGID_X_EN: 1
; COMPUTE_PGM_RSRC2:TGID_Y_EN: 0
; COMPUTE_PGM_RSRC2:TGID_Z_EN: 0
; COMPUTE_PGM_RSRC2:TIDIG_COMP_CNT: 0
	.section	.text._ZN9rocsparseL20bsrxmvn_17_32_kernelILj21EfllfffEEvT2_20rocsparse_direction_NS_24const_host_device_scalarIT0_EES1_PKS1_PKT1_SA_S7_PKT3_PKT4_S5_PT5_21rocsparse_index_base_b,"axG",@progbits,_ZN9rocsparseL20bsrxmvn_17_32_kernelILj21EfllfffEEvT2_20rocsparse_direction_NS_24const_host_device_scalarIT0_EES1_PKS1_PKT1_SA_S7_PKT3_PKT4_S5_PT5_21rocsparse_index_base_b,comdat
	.globl	_ZN9rocsparseL20bsrxmvn_17_32_kernelILj21EfllfffEEvT2_20rocsparse_direction_NS_24const_host_device_scalarIT0_EES1_PKS1_PKT1_SA_S7_PKT3_PKT4_S5_PT5_21rocsparse_index_base_b ; -- Begin function _ZN9rocsparseL20bsrxmvn_17_32_kernelILj21EfllfffEEvT2_20rocsparse_direction_NS_24const_host_device_scalarIT0_EES1_PKS1_PKT1_SA_S7_PKT3_PKT4_S5_PT5_21rocsparse_index_base_b
	.p2align	8
	.type	_ZN9rocsparseL20bsrxmvn_17_32_kernelILj21EfllfffEEvT2_20rocsparse_direction_NS_24const_host_device_scalarIT0_EES1_PKS1_PKT1_SA_S7_PKT3_PKT4_S5_PT5_21rocsparse_index_base_b,@function
_ZN9rocsparseL20bsrxmvn_17_32_kernelILj21EfllfffEEvT2_20rocsparse_direction_NS_24const_host_device_scalarIT0_EES1_PKS1_PKT1_SA_S7_PKT3_PKT4_S5_PT5_21rocsparse_index_base_b: ; @_ZN9rocsparseL20bsrxmvn_17_32_kernelILj21EfllfffEEvT2_20rocsparse_direction_NS_24const_host_device_scalarIT0_EES1_PKS1_PKT1_SA_S7_PKT3_PKT4_S5_PT5_21rocsparse_index_base_b
; %bb.0:
	s_clause 0x2
	s_load_b64 s[16:17], s[0:1], 0x60
	s_load_b64 s[12:13], s[0:1], 0x10
	;; [unrolled: 1-line block ×3, first 2 shown]
	s_mov_b32 s10, s15
	s_waitcnt lgkmcnt(0)
	s_bitcmp1_b32 s17, 0
	s_cselect_b32 s2, -1, 0
	s_delay_alu instid0(SALU_CYCLE_1)
	s_and_b32 vcc_lo, exec_lo, s2
	s_xor_b32 s2, s2, -1
	s_cbranch_vccnz .LBB132_2
; %bb.1:
	s_load_b32 s12, s[12:13], 0x0
.LBB132_2:
	s_and_not1_b32 vcc_lo, exec_lo, s2
	s_cbranch_vccnz .LBB132_4
; %bb.3:
	s_load_b32 s8, s[8:9], 0x0
.LBB132_4:
	s_waitcnt lgkmcnt(0)
	v_cmp_neq_f32_e64 s2, s12, 0
	v_cmp_neq_f32_e64 s3, s8, 1.0
	s_mov_b32 s11, 0
	s_delay_alu instid0(VALU_DEP_1) | instskip(NEXT) | instid1(SALU_CYCLE_1)
	s_or_b32 s2, s2, s3
	s_and_not1_b32 vcc_lo, exec_lo, s2
	s_cbranch_vccnz .LBB132_42
; %bb.5:
	s_clause 0x1
	s_load_b128 s[4:7], s[0:1], 0x20
	s_load_b64 s[14:15], s[0:1], 0x30
	s_waitcnt lgkmcnt(0)
	s_cmp_eq_u64 s[4:5], 0
	s_cbranch_scc1 .LBB132_7
; %bb.6:
	s_lshl_b64 s[2:3], s[10:11], 3
	s_delay_alu instid0(SALU_CYCLE_1)
	s_add_u32 s2, s4, s2
	s_addc_u32 s3, s5, s3
	s_load_b64 s[2:3], s[2:3], 0x0
	s_waitcnt lgkmcnt(0)
	s_sub_u32 s10, s2, s16
	s_subb_u32 s11, s3, 0
.LBB132_7:
	s_load_b32 s3, s[0:1], 0x8
	v_mul_u32_u24_e32 v1, 0xc31, v0
	v_dual_mov_b32 v7, 0 :: v_dual_lshlrev_b32 v8, 2, v0
	s_delay_alu instid0(VALU_DEP_2) | instskip(NEXT) | instid1(VALU_DEP_1)
	v_lshrrev_b32_e32 v1, 16, v1
	v_mul_lo_u16 v2, v1, 21
	s_delay_alu instid0(VALU_DEP_1)
	v_sub_nc_u16 v9, v0, v2
	s_waitcnt lgkmcnt(0)
	s_cmp_eq_u32 s3, 1
	s_cselect_b32 s2, -1, 0
	s_cmp_lg_u32 s3, 1
	s_cselect_b32 s3, -1, 0
	s_lshl_b64 s[4:5], s[10:11], 3
	s_delay_alu instid0(SALU_CYCLE_1)
	s_add_u32 s6, s6, s4
	s_addc_u32 s7, s7, s5
	s_add_u32 s9, s6, 8
	s_addc_u32 s13, s7, 0
	;; [unrolled: 2-line block ×3, first 2 shown]
	s_cmp_eq_u64 s[14:15], 0
	s_load_b64 s[14:15], s[0:1], 0x58
	s_cselect_b32 s5, s13, s5
	s_cselect_b32 s4, s9, s4
	s_load_b64 s[20:21], s[6:7], 0x0
	s_load_b64 s[18:19], s[4:5], 0x0
	s_waitcnt lgkmcnt(0)
	v_cmp_ge_i64_e64 s4, s[20:21], s[18:19]
	s_delay_alu instid0(VALU_DEP_1)
	s_and_b32 vcc_lo, exec_lo, s4
	s_cbranch_vccnz .LBB132_12
; %bb.8:
	v_mul_lo_u16 v2, v1, 25
	v_dual_mov_b32 v7, 0 :: v_dual_and_b32 v4, 0xffff, v0
	v_and_b32_e32 v3, 0xffff, v9
	s_clause 0x1
	s_load_b128 s[4:7], s[0:1], 0x38
	s_load_b64 s[22:23], s[0:1], 0x48
	v_lshrrev_b16 v2, 9, v2
	s_sub_u32 s0, s18, s16
	s_subb_u32 s1, s19, 0
	s_sub_u32 s18, s20, s16
	s_subb_u32 s19, s21, 0
	v_mul_lo_u16 v2, v2, 21
	v_lshlrev_b32_e32 v11, 2, v0
	s_mul_hi_u32 s9, s18, 0x6e4
	s_mul_i32 s13, s19, 0x6e4
	s_mul_i32 s17, s18, 0x6e4
	v_sub_nc_u16 v1, v1, v2
	v_mul_u32_u24_e32 v2, 0x253, v4
	s_add_i32 s9, s9, s13
	s_delay_alu instid0(VALU_DEP_2) | instskip(NEXT) | instid1(VALU_DEP_2)
	v_and_b32_e32 v1, 0xff, v1
	v_lshrrev_b32_e32 v10, 18, v2
	s_delay_alu instid0(VALU_DEP_2) | instskip(NEXT) | instid1(VALU_DEP_2)
	v_cndmask_b32_e64 v1, v3, v1, s2
	v_add_co_u32 v2, s2, s20, v10
	s_delay_alu instid0(VALU_DEP_1) | instskip(NEXT) | instid1(VALU_DEP_3)
	v_add_co_ci_u32_e64 v4, null, s21, 0, s2
	v_lshlrev_b32_e32 v1, 2, v1
	s_delay_alu instid0(VALU_DEP_3) | instskip(NEXT) | instid1(VALU_DEP_3)
	v_sub_co_u32 v3, vcc_lo, v2, s16
	v_subrev_co_ci_u32_e32 v4, vcc_lo, 0, v4, vcc_lo
	s_waitcnt lgkmcnt(0)
	s_add_u32 s2, s6, s17
	v_add_co_u32 v1, s6, s22, v1
	s_delay_alu instid0(VALU_DEP_2) | instskip(SKIP_3) | instid1(VALU_DEP_3)
	v_lshlrev_b64 v[5:6], 3, v[3:4]
	v_add_co_ci_u32_e64 v2, null, s23, 0, s6
	s_addc_u32 s6, s7, s9
	v_add_co_u32 v3, s2, s2, v11
	v_add_co_u32 v5, vcc_lo, s4, v5
	v_add_co_ci_u32_e64 v4, null, s6, 0, s2
	v_add_co_ci_u32_e32 v6, vcc_lo, s5, v6, vcc_lo
	s_set_inst_prefetch_distance 0x1
	s_branch .LBB132_10
	.p2align	6
.LBB132_9:                              ;   in Loop: Header=BB132_10 Depth=1
	s_or_b32 exec_lo, exec_lo, s2
	s_add_u32 s18, s18, 1
	s_addc_u32 s19, s19, 0
	v_add_co_u32 v5, vcc_lo, v5, 8
	v_cmp_lt_i64_e64 s2, s[18:19], s[0:1]
	v_add_co_ci_u32_e32 v6, vcc_lo, 0, v6, vcc_lo
	s_delay_alu instid0(VALU_DEP_2)
	s_and_b32 vcc_lo, exec_lo, s2
	s_cbranch_vccz .LBB132_12
.LBB132_10:                             ; =>This Inner Loop Header: Depth=1
	v_add_co_u32 v11, s2, v10, s18
	s_delay_alu instid0(VALU_DEP_1) | instskip(SKIP_1) | instid1(VALU_DEP_1)
	v_add_co_ci_u32_e64 v12, null, 0, s19, s2
	s_mov_b32 s2, exec_lo
	v_cmpx_gt_i64_e64 s[0:1], v[11:12]
	s_cbranch_execz .LBB132_9
; %bb.11:                               ;   in Loop: Header=BB132_10 Depth=1
	global_load_b64 v[11:12], v[5:6], off
	s_waitcnt vmcnt(0)
	v_sub_co_u32 v13, vcc_lo, v11, s16
	v_subrev_co_ci_u32_e32 v15, vcc_lo, 0, v12, vcc_lo
	s_delay_alu instid0(VALU_DEP_2) | instskip(NEXT) | instid1(VALU_DEP_1)
	v_mad_u64_u32 v[11:12], null, 0x54, v13, v[1:2]
	v_mad_u64_u32 v[13:14], null, 0x54, v15, v[12:13]
	s_delay_alu instid0(VALU_DEP_1)
	v_mov_b32_e32 v12, v13
	global_load_b32 v13, v[3:4], off
	global_load_b32 v11, v[11:12], off
	v_add_co_u32 v3, vcc_lo, 0x6e4, v3
	v_add_co_ci_u32_e32 v4, vcc_lo, 0, v4, vcc_lo
	s_waitcnt vmcnt(0)
	v_fmac_f32_e32 v7, v13, v11
	s_branch .LBB132_9
.LBB132_12:
	s_set_inst_prefetch_distance 0x2
	s_and_b32 vcc_lo, exec_lo, s3
	ds_store_b32 v8, v7
	s_waitcnt lgkmcnt(0)
	s_barrier
	buffer_gl0_inv
	s_cbranch_vccz .LBB132_24
; %bb.13:
	s_mov_b32 s0, exec_lo
	v_cmpx_gt_u16_e32 5, v9
	s_cbranch_execz .LBB132_15
; %bb.14:
	ds_load_2addr_b32 v[1:2], v8 offset1:16
	s_waitcnt lgkmcnt(0)
	v_add_f32_e32 v1, v2, v1
	ds_store_b32 v8, v1
.LBB132_15:
	s_or_b32 exec_lo, exec_lo, s0
	s_delay_alu instid0(SALU_CYCLE_1)
	s_mov_b32 s0, exec_lo
	s_waitcnt lgkmcnt(0)
	s_barrier
	buffer_gl0_inv
	v_cmpx_gt_u16_e32 8, v9
	s_cbranch_execz .LBB132_17
; %bb.16:
	ds_load_2addr_b32 v[1:2], v8 offset1:8
	s_waitcnt lgkmcnt(0)
	v_add_f32_e32 v1, v2, v1
	ds_store_b32 v8, v1
.LBB132_17:
	s_or_b32 exec_lo, exec_lo, s0
	s_delay_alu instid0(SALU_CYCLE_1)
	s_mov_b32 s0, exec_lo
	s_waitcnt lgkmcnt(0)
	s_barrier
	buffer_gl0_inv
	v_cmpx_gt_u16_e32 4, v9
	s_cbranch_execz .LBB132_19
; %bb.18:
	ds_load_2addr_b32 v[1:2], v8 offset1:4
	s_waitcnt lgkmcnt(0)
	v_add_f32_e32 v1, v2, v1
	ds_store_b32 v8, v1
.LBB132_19:
	s_or_b32 exec_lo, exec_lo, s0
	s_delay_alu instid0(SALU_CYCLE_1)
	s_mov_b32 s0, exec_lo
	s_waitcnt lgkmcnt(0)
	s_barrier
	buffer_gl0_inv
	v_cmpx_gt_u16_e32 2, v9
	s_cbranch_execz .LBB132_21
; %bb.20:
	ds_load_2addr_b32 v[1:2], v8 offset1:2
	s_waitcnt lgkmcnt(0)
	v_add_f32_e32 v1, v2, v1
	ds_store_b32 v8, v1
.LBB132_21:
	s_or_b32 exec_lo, exec_lo, s0
	s_mov_b32 s1, 0
	s_mov_b32 s0, 0
	s_mov_b32 s2, exec_lo
	s_waitcnt lgkmcnt(0)
	s_barrier
	buffer_gl0_inv
                                        ; implicit-def: $vgpr1
                                        ; implicit-def: $vgpr2
	v_cmpx_gt_u32_e32 21, v0
	s_xor_b32 s2, exec_lo, s2
; %bb.22:
	v_mad_u32_u24 v1, v0, 21, 1
	v_mad_u32_u24 v2, 0x50, v0, v8
	s_mov_b32 s0, exec_lo
; %bb.23:
	s_or_b32 exec_lo, exec_lo, s2
	s_delay_alu instid0(SALU_CYCLE_1)
	s_and_b32 vcc_lo, exec_lo, s1
	s_cbranch_vccnz .LBB132_25
	s_branch .LBB132_36
.LBB132_24:
	s_mov_b32 s0, 0
                                        ; implicit-def: $vgpr1
                                        ; implicit-def: $vgpr2
	s_cbranch_execz .LBB132_36
.LBB132_25:
	s_mov_b32 s1, exec_lo
	v_cmpx_gt_u32_e32 0x69, v0
	s_cbranch_execz .LBB132_27
; %bb.26:
	ds_load_b32 v1, v8 offset:1344
	ds_load_b32 v2, v8
	s_waitcnt lgkmcnt(0)
	v_add_f32_e32 v1, v1, v2
	ds_store_b32 v8, v1
.LBB132_27:
	s_or_b32 exec_lo, exec_lo, s1
	s_delay_alu instid0(SALU_CYCLE_1)
	s_mov_b32 s1, exec_lo
	s_waitcnt lgkmcnt(0)
	s_barrier
	buffer_gl0_inv
	v_cmpx_gt_u32_e32 0xa8, v0
	s_cbranch_execz .LBB132_29
; %bb.28:
	ds_load_2addr_b32 v[1:2], v8 offset1:168
	s_waitcnt lgkmcnt(0)
	v_add_f32_e32 v1, v2, v1
	ds_store_b32 v8, v1
.LBB132_29:
	s_or_b32 exec_lo, exec_lo, s1
	s_delay_alu instid0(SALU_CYCLE_1)
	s_mov_b32 s1, exec_lo
	s_waitcnt lgkmcnt(0)
	s_barrier
	buffer_gl0_inv
	v_cmpx_gt_u32_e32 0x54, v0
	s_cbranch_execz .LBB132_31
; %bb.30:
	ds_load_2addr_b32 v[1:2], v8 offset1:84
	s_waitcnt lgkmcnt(0)
	v_add_f32_e32 v1, v2, v1
	ds_store_b32 v8, v1
.LBB132_31:
	;; [unrolled: 14-line block ×3, first 2 shown]
	s_or_b32 exec_lo, exec_lo, s1
	s_delay_alu instid0(SALU_CYCLE_1)
	s_mov_b32 s1, exec_lo
	s_waitcnt lgkmcnt(0)
	buffer_gl0_inv
                                        ; implicit-def: $vgpr1
	v_cmpx_gt_u32_e32 21, v0
; %bb.34:
	v_add_nc_u32_e32 v1, 21, v0
	s_or_b32 s0, s0, exec_lo
                                        ; implicit-def: $vgpr7
; %bb.35:
	s_or_b32 exec_lo, exec_lo, s1
	v_mov_b32_e32 v2, v8
.LBB132_36:
	s_and_saveexec_b32 s1, s0
	s_cbranch_execz .LBB132_38
; %bb.37:
	v_lshlrev_b32_e32 v1, 2, v1
	ds_load_b32 v2, v2
	ds_load_b32 v1, v1
	s_waitcnt lgkmcnt(0)
	v_add_f32_e32 v7, v2, v1
.LBB132_38:
	s_or_b32 exec_lo, exec_lo, s1
	s_delay_alu instid0(SALU_CYCLE_1)
	s_mov_b32 s0, exec_lo
	v_cmpx_gt_u32_e32 21, v0
	s_cbranch_execz .LBB132_42
; %bb.39:
	v_cmp_eq_f32_e64 s1, s8, 0
	v_mul_f32_e32 v1, s12, v7
	s_mov_b32 s3, 0
	s_mul_i32 s0, s11, 0x54
	s_mul_i32 s2, s10, 0x54
	s_and_b32 vcc_lo, exec_lo, s1
	s_mul_hi_u32 s1, s10, 0x54
	s_cbranch_vccz .LBB132_43
; %bb.40:
	v_lshlrev_b32_e32 v2, 2, v0
	s_add_i32 s5, s1, s0
	s_add_u32 s4, s14, s2
	s_addc_u32 s5, s15, s5
	global_store_b32 v2, v1, s[4:5]
	s_and_not1_b32 vcc_lo, exec_lo, s3
	s_cbranch_vccnz .LBB132_42
.LBB132_41:
	v_lshlrev_b32_e32 v0, 2, v0
	s_add_i32 s1, s1, s0
	s_add_u32 s0, s14, s2
	s_addc_u32 s1, s15, s1
	global_load_b32 v2, v0, s[0:1]
	s_waitcnt vmcnt(0)
	v_fmac_f32_e32 v1, s8, v2
	global_store_b32 v0, v1, s[0:1]
.LBB132_42:
	s_nop 0
	s_sendmsg sendmsg(MSG_DEALLOC_VGPRS)
	s_endpgm
.LBB132_43:
	s_branch .LBB132_41
	.section	.rodata,"a",@progbits
	.p2align	6, 0x0
	.amdhsa_kernel _ZN9rocsparseL20bsrxmvn_17_32_kernelILj21EfllfffEEvT2_20rocsparse_direction_NS_24const_host_device_scalarIT0_EES1_PKS1_PKT1_SA_S7_PKT3_PKT4_S5_PT5_21rocsparse_index_base_b
		.amdhsa_group_segment_fixed_size 1764
		.amdhsa_private_segment_fixed_size 0
		.amdhsa_kernarg_size 104
		.amdhsa_user_sgpr_count 15
		.amdhsa_user_sgpr_dispatch_ptr 0
		.amdhsa_user_sgpr_queue_ptr 0
		.amdhsa_user_sgpr_kernarg_segment_ptr 1
		.amdhsa_user_sgpr_dispatch_id 0
		.amdhsa_user_sgpr_private_segment_size 0
		.amdhsa_wavefront_size32 1
		.amdhsa_uses_dynamic_stack 0
		.amdhsa_enable_private_segment 0
		.amdhsa_system_sgpr_workgroup_id_x 1
		.amdhsa_system_sgpr_workgroup_id_y 0
		.amdhsa_system_sgpr_workgroup_id_z 0
		.amdhsa_system_sgpr_workgroup_info 0
		.amdhsa_system_vgpr_workitem_id 0
		.amdhsa_next_free_vgpr 16
		.amdhsa_next_free_sgpr 24
		.amdhsa_reserve_vcc 1
		.amdhsa_float_round_mode_32 0
		.amdhsa_float_round_mode_16_64 0
		.amdhsa_float_denorm_mode_32 3
		.amdhsa_float_denorm_mode_16_64 3
		.amdhsa_dx10_clamp 1
		.amdhsa_ieee_mode 1
		.amdhsa_fp16_overflow 0
		.amdhsa_workgroup_processor_mode 1
		.amdhsa_memory_ordered 1
		.amdhsa_forward_progress 0
		.amdhsa_shared_vgpr_count 0
		.amdhsa_exception_fp_ieee_invalid_op 0
		.amdhsa_exception_fp_denorm_src 0
		.amdhsa_exception_fp_ieee_div_zero 0
		.amdhsa_exception_fp_ieee_overflow 0
		.amdhsa_exception_fp_ieee_underflow 0
		.amdhsa_exception_fp_ieee_inexact 0
		.amdhsa_exception_int_div_zero 0
	.end_amdhsa_kernel
	.section	.text._ZN9rocsparseL20bsrxmvn_17_32_kernelILj21EfllfffEEvT2_20rocsparse_direction_NS_24const_host_device_scalarIT0_EES1_PKS1_PKT1_SA_S7_PKT3_PKT4_S5_PT5_21rocsparse_index_base_b,"axG",@progbits,_ZN9rocsparseL20bsrxmvn_17_32_kernelILj21EfllfffEEvT2_20rocsparse_direction_NS_24const_host_device_scalarIT0_EES1_PKS1_PKT1_SA_S7_PKT3_PKT4_S5_PT5_21rocsparse_index_base_b,comdat
.Lfunc_end132:
	.size	_ZN9rocsparseL20bsrxmvn_17_32_kernelILj21EfllfffEEvT2_20rocsparse_direction_NS_24const_host_device_scalarIT0_EES1_PKS1_PKT1_SA_S7_PKT3_PKT4_S5_PT5_21rocsparse_index_base_b, .Lfunc_end132-_ZN9rocsparseL20bsrxmvn_17_32_kernelILj21EfllfffEEvT2_20rocsparse_direction_NS_24const_host_device_scalarIT0_EES1_PKS1_PKT1_SA_S7_PKT3_PKT4_S5_PT5_21rocsparse_index_base_b
                                        ; -- End function
	.section	.AMDGPU.csdata,"",@progbits
; Kernel info:
; codeLenInByte = 1628
; NumSgprs: 26
; NumVgprs: 16
; ScratchSize: 0
; MemoryBound: 0
; FloatMode: 240
; IeeeMode: 1
; LDSByteSize: 1764 bytes/workgroup (compile time only)
; SGPRBlocks: 3
; VGPRBlocks: 1
; NumSGPRsForWavesPerEU: 26
; NumVGPRsForWavesPerEU: 16
; Occupancy: 14
; WaveLimiterHint : 1
; COMPUTE_PGM_RSRC2:SCRATCH_EN: 0
; COMPUTE_PGM_RSRC2:USER_SGPR: 15
; COMPUTE_PGM_RSRC2:TRAP_HANDLER: 0
; COMPUTE_PGM_RSRC2:TGID_X_EN: 1
; COMPUTE_PGM_RSRC2:TGID_Y_EN: 0
; COMPUTE_PGM_RSRC2:TGID_Z_EN: 0
; COMPUTE_PGM_RSRC2:TIDIG_COMP_CNT: 0
	.section	.text._ZN9rocsparseL20bsrxmvn_17_32_kernelILj22EfllfffEEvT2_20rocsparse_direction_NS_24const_host_device_scalarIT0_EES1_PKS1_PKT1_SA_S7_PKT3_PKT4_S5_PT5_21rocsparse_index_base_b,"axG",@progbits,_ZN9rocsparseL20bsrxmvn_17_32_kernelILj22EfllfffEEvT2_20rocsparse_direction_NS_24const_host_device_scalarIT0_EES1_PKS1_PKT1_SA_S7_PKT3_PKT4_S5_PT5_21rocsparse_index_base_b,comdat
	.globl	_ZN9rocsparseL20bsrxmvn_17_32_kernelILj22EfllfffEEvT2_20rocsparse_direction_NS_24const_host_device_scalarIT0_EES1_PKS1_PKT1_SA_S7_PKT3_PKT4_S5_PT5_21rocsparse_index_base_b ; -- Begin function _ZN9rocsparseL20bsrxmvn_17_32_kernelILj22EfllfffEEvT2_20rocsparse_direction_NS_24const_host_device_scalarIT0_EES1_PKS1_PKT1_SA_S7_PKT3_PKT4_S5_PT5_21rocsparse_index_base_b
	.p2align	8
	.type	_ZN9rocsparseL20bsrxmvn_17_32_kernelILj22EfllfffEEvT2_20rocsparse_direction_NS_24const_host_device_scalarIT0_EES1_PKS1_PKT1_SA_S7_PKT3_PKT4_S5_PT5_21rocsparse_index_base_b,@function
_ZN9rocsparseL20bsrxmvn_17_32_kernelILj22EfllfffEEvT2_20rocsparse_direction_NS_24const_host_device_scalarIT0_EES1_PKS1_PKT1_SA_S7_PKT3_PKT4_S5_PT5_21rocsparse_index_base_b: ; @_ZN9rocsparseL20bsrxmvn_17_32_kernelILj22EfllfffEEvT2_20rocsparse_direction_NS_24const_host_device_scalarIT0_EES1_PKS1_PKT1_SA_S7_PKT3_PKT4_S5_PT5_21rocsparse_index_base_b
; %bb.0:
	s_clause 0x2
	s_load_b64 s[16:17], s[0:1], 0x60
	s_load_b64 s[12:13], s[0:1], 0x10
	;; [unrolled: 1-line block ×3, first 2 shown]
	s_mov_b32 s10, s15
	s_waitcnt lgkmcnt(0)
	s_bitcmp1_b32 s17, 0
	s_cselect_b32 s2, -1, 0
	s_delay_alu instid0(SALU_CYCLE_1)
	s_and_b32 vcc_lo, exec_lo, s2
	s_xor_b32 s2, s2, -1
	s_cbranch_vccnz .LBB133_2
; %bb.1:
	s_load_b32 s12, s[12:13], 0x0
.LBB133_2:
	s_and_not1_b32 vcc_lo, exec_lo, s2
	s_cbranch_vccnz .LBB133_4
; %bb.3:
	s_load_b32 s8, s[8:9], 0x0
.LBB133_4:
	s_waitcnt lgkmcnt(0)
	v_cmp_neq_f32_e64 s2, s12, 0
	v_cmp_neq_f32_e64 s3, s8, 1.0
	s_mov_b32 s11, 0
	s_delay_alu instid0(VALU_DEP_1) | instskip(NEXT) | instid1(SALU_CYCLE_1)
	s_or_b32 s2, s2, s3
	s_and_not1_b32 vcc_lo, exec_lo, s2
	s_cbranch_vccnz .LBB133_42
; %bb.5:
	s_clause 0x1
	s_load_b128 s[4:7], s[0:1], 0x20
	s_load_b64 s[14:15], s[0:1], 0x30
	s_waitcnt lgkmcnt(0)
	s_cmp_eq_u64 s[4:5], 0
	s_cbranch_scc1 .LBB133_7
; %bb.6:
	s_lshl_b64 s[2:3], s[10:11], 3
	s_delay_alu instid0(SALU_CYCLE_1)
	s_add_u32 s2, s4, s2
	s_addc_u32 s3, s5, s3
	s_load_b64 s[2:3], s[2:3], 0x0
	s_waitcnt lgkmcnt(0)
	s_sub_u32 s10, s2, s16
	s_subb_u32 s11, s3, 0
.LBB133_7:
	s_load_b32 s3, s[0:1], 0x8
	v_mul_u32_u24_e32 v1, 0xba3, v0
	v_dual_mov_b32 v7, 0 :: v_dual_lshlrev_b32 v8, 2, v0
	s_delay_alu instid0(VALU_DEP_2) | instskip(NEXT) | instid1(VALU_DEP_1)
	v_lshrrev_b32_e32 v1, 16, v1
	v_mul_lo_u16 v2, v1, 22
	s_delay_alu instid0(VALU_DEP_1)
	v_sub_nc_u16 v9, v0, v2
	s_waitcnt lgkmcnt(0)
	s_cmp_eq_u32 s3, 1
	s_cselect_b32 s2, -1, 0
	s_cmp_lg_u32 s3, 1
	s_cselect_b32 s3, -1, 0
	s_lshl_b64 s[4:5], s[10:11], 3
	s_delay_alu instid0(SALU_CYCLE_1)
	s_add_u32 s6, s6, s4
	s_addc_u32 s7, s7, s5
	s_add_u32 s9, s6, 8
	s_addc_u32 s13, s7, 0
	;; [unrolled: 2-line block ×3, first 2 shown]
	s_cmp_eq_u64 s[14:15], 0
	s_load_b64 s[14:15], s[0:1], 0x58
	s_cselect_b32 s5, s13, s5
	s_cselect_b32 s4, s9, s4
	s_load_b64 s[20:21], s[6:7], 0x0
	s_load_b64 s[18:19], s[4:5], 0x0
	s_waitcnt lgkmcnt(0)
	v_cmp_ge_i64_e64 s4, s[20:21], s[18:19]
	s_delay_alu instid0(VALU_DEP_1)
	s_and_b32 vcc_lo, exec_lo, s4
	s_cbranch_vccnz .LBB133_12
; %bb.8:
	v_mul_lo_u16 v2, v1, 12
	v_dual_mov_b32 v7, 0 :: v_dual_and_b32 v4, 0xffff, v0
	v_and_b32_e32 v3, 0xffff, v9
	s_clause 0x1
	s_load_b128 s[4:7], s[0:1], 0x38
	s_load_b64 s[22:23], s[0:1], 0x48
	v_lshrrev_b16 v2, 8, v2
	s_sub_u32 s0, s18, s16
	s_subb_u32 s1, s19, 0
	s_sub_u32 s18, s20, s16
	s_subb_u32 s19, s21, 0
	v_mul_lo_u16 v2, v2, 22
	v_lshlrev_b32_e32 v11, 2, v0
	s_mul_hi_u32 s9, s18, 0x790
	s_mul_i32 s13, s19, 0x790
	s_mul_i32 s17, s18, 0x790
	v_sub_nc_u16 v1, v1, v2
	v_mul_u32_u24_e32 v2, 0x10f, v4
	s_add_i32 s9, s9, s13
	s_delay_alu instid0(VALU_DEP_2) | instskip(NEXT) | instid1(VALU_DEP_2)
	v_and_b32_e32 v1, 0xff, v1
	v_lshrrev_b32_e32 v10, 17, v2
	s_delay_alu instid0(VALU_DEP_2) | instskip(NEXT) | instid1(VALU_DEP_2)
	v_cndmask_b32_e64 v1, v3, v1, s2
	v_add_co_u32 v2, s2, s20, v10
	s_delay_alu instid0(VALU_DEP_1) | instskip(NEXT) | instid1(VALU_DEP_3)
	v_add_co_ci_u32_e64 v4, null, s21, 0, s2
	v_lshlrev_b32_e32 v1, 2, v1
	s_delay_alu instid0(VALU_DEP_3) | instskip(NEXT) | instid1(VALU_DEP_3)
	v_sub_co_u32 v3, vcc_lo, v2, s16
	v_subrev_co_ci_u32_e32 v4, vcc_lo, 0, v4, vcc_lo
	s_waitcnt lgkmcnt(0)
	s_add_u32 s2, s6, s17
	v_add_co_u32 v1, s6, s22, v1
	s_delay_alu instid0(VALU_DEP_2) | instskip(SKIP_3) | instid1(VALU_DEP_3)
	v_lshlrev_b64 v[5:6], 3, v[3:4]
	v_add_co_ci_u32_e64 v2, null, s23, 0, s6
	s_addc_u32 s6, s7, s9
	v_add_co_u32 v3, s2, s2, v11
	v_add_co_u32 v5, vcc_lo, s4, v5
	v_add_co_ci_u32_e64 v4, null, s6, 0, s2
	v_add_co_ci_u32_e32 v6, vcc_lo, s5, v6, vcc_lo
	s_set_inst_prefetch_distance 0x1
	s_branch .LBB133_10
	.p2align	6
.LBB133_9:                              ;   in Loop: Header=BB133_10 Depth=1
	s_or_b32 exec_lo, exec_lo, s2
	s_add_u32 s18, s18, 1
	s_addc_u32 s19, s19, 0
	v_add_co_u32 v5, vcc_lo, v5, 8
	v_cmp_lt_i64_e64 s2, s[18:19], s[0:1]
	v_add_co_ci_u32_e32 v6, vcc_lo, 0, v6, vcc_lo
	s_delay_alu instid0(VALU_DEP_2)
	s_and_b32 vcc_lo, exec_lo, s2
	s_cbranch_vccz .LBB133_12
.LBB133_10:                             ; =>This Inner Loop Header: Depth=1
	v_add_co_u32 v11, s2, v10, s18
	s_delay_alu instid0(VALU_DEP_1) | instskip(SKIP_1) | instid1(VALU_DEP_1)
	v_add_co_ci_u32_e64 v12, null, 0, s19, s2
	s_mov_b32 s2, exec_lo
	v_cmpx_gt_i64_e64 s[0:1], v[11:12]
	s_cbranch_execz .LBB133_9
; %bb.11:                               ;   in Loop: Header=BB133_10 Depth=1
	global_load_b64 v[11:12], v[5:6], off
	s_waitcnt vmcnt(0)
	v_sub_co_u32 v13, vcc_lo, v11, s16
	v_subrev_co_ci_u32_e32 v15, vcc_lo, 0, v12, vcc_lo
	s_delay_alu instid0(VALU_DEP_2) | instskip(NEXT) | instid1(VALU_DEP_1)
	v_mad_u64_u32 v[11:12], null, 0x58, v13, v[1:2]
	v_mad_u64_u32 v[13:14], null, 0x58, v15, v[12:13]
	s_delay_alu instid0(VALU_DEP_1)
	v_mov_b32_e32 v12, v13
	global_load_b32 v13, v[3:4], off
	global_load_b32 v11, v[11:12], off
	v_add_co_u32 v3, vcc_lo, 0x790, v3
	v_add_co_ci_u32_e32 v4, vcc_lo, 0, v4, vcc_lo
	s_waitcnt vmcnt(0)
	v_fmac_f32_e32 v7, v13, v11
	s_branch .LBB133_9
.LBB133_12:
	s_set_inst_prefetch_distance 0x2
	s_and_b32 vcc_lo, exec_lo, s3
	ds_store_b32 v8, v7
	s_waitcnt lgkmcnt(0)
	s_barrier
	buffer_gl0_inv
	s_cbranch_vccz .LBB133_24
; %bb.13:
	s_mov_b32 s0, exec_lo
	v_cmpx_gt_u16_e32 6, v9
	s_cbranch_execz .LBB133_15
; %bb.14:
	ds_load_2addr_b32 v[1:2], v8 offset1:16
	s_waitcnt lgkmcnt(0)
	v_add_f32_e32 v1, v2, v1
	ds_store_b32 v8, v1
.LBB133_15:
	s_or_b32 exec_lo, exec_lo, s0
	s_delay_alu instid0(SALU_CYCLE_1)
	s_mov_b32 s0, exec_lo
	s_waitcnt lgkmcnt(0)
	s_barrier
	buffer_gl0_inv
	v_cmpx_gt_u16_e32 8, v9
	s_cbranch_execz .LBB133_17
; %bb.16:
	ds_load_2addr_b32 v[1:2], v8 offset1:8
	s_waitcnt lgkmcnt(0)
	v_add_f32_e32 v1, v2, v1
	ds_store_b32 v8, v1
.LBB133_17:
	s_or_b32 exec_lo, exec_lo, s0
	s_delay_alu instid0(SALU_CYCLE_1)
	s_mov_b32 s0, exec_lo
	s_waitcnt lgkmcnt(0)
	s_barrier
	buffer_gl0_inv
	;; [unrolled: 14-line block ×3, first 2 shown]
	v_cmpx_gt_u16_e32 2, v9
	s_cbranch_execz .LBB133_21
; %bb.20:
	ds_load_2addr_b32 v[1:2], v8 offset1:2
	s_waitcnt lgkmcnt(0)
	v_add_f32_e32 v1, v2, v1
	ds_store_b32 v8, v1
.LBB133_21:
	s_or_b32 exec_lo, exec_lo, s0
	s_mov_b32 s1, 0
	s_mov_b32 s0, 0
	s_mov_b32 s2, exec_lo
	s_waitcnt lgkmcnt(0)
	s_barrier
	buffer_gl0_inv
                                        ; implicit-def: $vgpr1
                                        ; implicit-def: $vgpr2
	v_cmpx_gt_u32_e32 22, v0
	s_xor_b32 s2, exec_lo, s2
; %bb.22:
	v_mul_u32_u24_e32 v1, 22, v0
	v_mad_u32_u24 v2, 0x54, v0, v8
	s_mov_b32 s0, exec_lo
	s_delay_alu instid0(VALU_DEP_2)
	v_or_b32_e32 v1, 1, v1
; %bb.23:
	s_or_b32 exec_lo, exec_lo, s2
	s_delay_alu instid0(SALU_CYCLE_1)
	s_and_b32 vcc_lo, exec_lo, s1
	s_cbranch_vccnz .LBB133_25
	s_branch .LBB133_36
.LBB133_24:
	s_mov_b32 s0, 0
                                        ; implicit-def: $vgpr1
                                        ; implicit-def: $vgpr2
	s_cbranch_execz .LBB133_36
.LBB133_25:
	s_mov_b32 s1, exec_lo
	v_cmpx_gt_u32_e32 0x84, v0
	s_cbranch_execz .LBB133_27
; %bb.26:
	ds_load_b32 v1, v8 offset:1408
	ds_load_b32 v2, v8
	s_waitcnt lgkmcnt(0)
	v_add_f32_e32 v1, v1, v2
	ds_store_b32 v8, v1
.LBB133_27:
	s_or_b32 exec_lo, exec_lo, s1
	s_delay_alu instid0(SALU_CYCLE_1)
	s_mov_b32 s1, exec_lo
	s_waitcnt lgkmcnt(0)
	s_barrier
	buffer_gl0_inv
	v_cmpx_gt_u32_e32 0xb0, v0
	s_cbranch_execz .LBB133_29
; %bb.28:
	ds_load_2addr_b32 v[1:2], v8 offset1:176
	s_waitcnt lgkmcnt(0)
	v_add_f32_e32 v1, v2, v1
	ds_store_b32 v8, v1
.LBB133_29:
	s_or_b32 exec_lo, exec_lo, s1
	s_delay_alu instid0(SALU_CYCLE_1)
	s_mov_b32 s1, exec_lo
	s_waitcnt lgkmcnt(0)
	s_barrier
	buffer_gl0_inv
	v_cmpx_gt_u32_e32 0x58, v0
	s_cbranch_execz .LBB133_31
; %bb.30:
	ds_load_2addr_b32 v[1:2], v8 offset1:88
	s_waitcnt lgkmcnt(0)
	v_add_f32_e32 v1, v2, v1
	ds_store_b32 v8, v1
.LBB133_31:
	;; [unrolled: 14-line block ×3, first 2 shown]
	s_or_b32 exec_lo, exec_lo, s1
	s_delay_alu instid0(SALU_CYCLE_1)
	s_mov_b32 s1, exec_lo
	s_waitcnt lgkmcnt(0)
	buffer_gl0_inv
                                        ; implicit-def: $vgpr1
	v_cmpx_gt_u32_e32 22, v0
; %bb.34:
	v_add_nc_u32_e32 v1, 22, v0
	s_or_b32 s0, s0, exec_lo
                                        ; implicit-def: $vgpr7
; %bb.35:
	s_or_b32 exec_lo, exec_lo, s1
	v_mov_b32_e32 v2, v8
.LBB133_36:
	s_and_saveexec_b32 s1, s0
	s_cbranch_execz .LBB133_38
; %bb.37:
	v_lshlrev_b32_e32 v1, 2, v1
	ds_load_b32 v2, v2
	ds_load_b32 v1, v1
	s_waitcnt lgkmcnt(0)
	v_add_f32_e32 v7, v2, v1
.LBB133_38:
	s_or_b32 exec_lo, exec_lo, s1
	s_delay_alu instid0(SALU_CYCLE_1)
	s_mov_b32 s0, exec_lo
	v_cmpx_gt_u32_e32 22, v0
	s_cbranch_execz .LBB133_42
; %bb.39:
	v_cmp_eq_f32_e64 s1, s8, 0
	v_mul_f32_e32 v1, s12, v7
	s_mov_b32 s3, 0
	s_mul_i32 s0, s11, 0x58
	s_mul_i32 s2, s10, 0x58
	s_and_b32 vcc_lo, exec_lo, s1
	s_mul_hi_u32 s1, s10, 0x58
	s_cbranch_vccz .LBB133_43
; %bb.40:
	v_lshlrev_b32_e32 v2, 2, v0
	s_add_i32 s5, s1, s0
	s_add_u32 s4, s14, s2
	s_addc_u32 s5, s15, s5
	global_store_b32 v2, v1, s[4:5]
	s_and_not1_b32 vcc_lo, exec_lo, s3
	s_cbranch_vccnz .LBB133_42
.LBB133_41:
	v_lshlrev_b32_e32 v0, 2, v0
	s_add_i32 s1, s1, s0
	s_add_u32 s0, s14, s2
	s_addc_u32 s1, s15, s1
	global_load_b32 v2, v0, s[0:1]
	s_waitcnt vmcnt(0)
	v_fmac_f32_e32 v1, s8, v2
	global_store_b32 v0, v1, s[0:1]
.LBB133_42:
	s_nop 0
	s_sendmsg sendmsg(MSG_DEALLOC_VGPRS)
	s_endpgm
.LBB133_43:
	s_branch .LBB133_41
	.section	.rodata,"a",@progbits
	.p2align	6, 0x0
	.amdhsa_kernel _ZN9rocsparseL20bsrxmvn_17_32_kernelILj22EfllfffEEvT2_20rocsparse_direction_NS_24const_host_device_scalarIT0_EES1_PKS1_PKT1_SA_S7_PKT3_PKT4_S5_PT5_21rocsparse_index_base_b
		.amdhsa_group_segment_fixed_size 1936
		.amdhsa_private_segment_fixed_size 0
		.amdhsa_kernarg_size 104
		.amdhsa_user_sgpr_count 15
		.amdhsa_user_sgpr_dispatch_ptr 0
		.amdhsa_user_sgpr_queue_ptr 0
		.amdhsa_user_sgpr_kernarg_segment_ptr 1
		.amdhsa_user_sgpr_dispatch_id 0
		.amdhsa_user_sgpr_private_segment_size 0
		.amdhsa_wavefront_size32 1
		.amdhsa_uses_dynamic_stack 0
		.amdhsa_enable_private_segment 0
		.amdhsa_system_sgpr_workgroup_id_x 1
		.amdhsa_system_sgpr_workgroup_id_y 0
		.amdhsa_system_sgpr_workgroup_id_z 0
		.amdhsa_system_sgpr_workgroup_info 0
		.amdhsa_system_vgpr_workitem_id 0
		.amdhsa_next_free_vgpr 16
		.amdhsa_next_free_sgpr 24
		.amdhsa_reserve_vcc 1
		.amdhsa_float_round_mode_32 0
		.amdhsa_float_round_mode_16_64 0
		.amdhsa_float_denorm_mode_32 3
		.amdhsa_float_denorm_mode_16_64 3
		.amdhsa_dx10_clamp 1
		.amdhsa_ieee_mode 1
		.amdhsa_fp16_overflow 0
		.amdhsa_workgroup_processor_mode 1
		.amdhsa_memory_ordered 1
		.amdhsa_forward_progress 0
		.amdhsa_shared_vgpr_count 0
		.amdhsa_exception_fp_ieee_invalid_op 0
		.amdhsa_exception_fp_denorm_src 0
		.amdhsa_exception_fp_ieee_div_zero 0
		.amdhsa_exception_fp_ieee_overflow 0
		.amdhsa_exception_fp_ieee_underflow 0
		.amdhsa_exception_fp_ieee_inexact 0
		.amdhsa_exception_int_div_zero 0
	.end_amdhsa_kernel
	.section	.text._ZN9rocsparseL20bsrxmvn_17_32_kernelILj22EfllfffEEvT2_20rocsparse_direction_NS_24const_host_device_scalarIT0_EES1_PKS1_PKT1_SA_S7_PKT3_PKT4_S5_PT5_21rocsparse_index_base_b,"axG",@progbits,_ZN9rocsparseL20bsrxmvn_17_32_kernelILj22EfllfffEEvT2_20rocsparse_direction_NS_24const_host_device_scalarIT0_EES1_PKS1_PKT1_SA_S7_PKT3_PKT4_S5_PT5_21rocsparse_index_base_b,comdat
.Lfunc_end133:
	.size	_ZN9rocsparseL20bsrxmvn_17_32_kernelILj22EfllfffEEvT2_20rocsparse_direction_NS_24const_host_device_scalarIT0_EES1_PKS1_PKT1_SA_S7_PKT3_PKT4_S5_PT5_21rocsparse_index_base_b, .Lfunc_end133-_ZN9rocsparseL20bsrxmvn_17_32_kernelILj22EfllfffEEvT2_20rocsparse_direction_NS_24const_host_device_scalarIT0_EES1_PKS1_PKT1_SA_S7_PKT3_PKT4_S5_PT5_21rocsparse_index_base_b
                                        ; -- End function
	.section	.AMDGPU.csdata,"",@progbits
; Kernel info:
; codeLenInByte = 1632
; NumSgprs: 26
; NumVgprs: 16
; ScratchSize: 0
; MemoryBound: 0
; FloatMode: 240
; IeeeMode: 1
; LDSByteSize: 1936 bytes/workgroup (compile time only)
; SGPRBlocks: 3
; VGPRBlocks: 1
; NumSGPRsForWavesPerEU: 26
; NumVGPRsForWavesPerEU: 16
; Occupancy: 16
; WaveLimiterHint : 1
; COMPUTE_PGM_RSRC2:SCRATCH_EN: 0
; COMPUTE_PGM_RSRC2:USER_SGPR: 15
; COMPUTE_PGM_RSRC2:TRAP_HANDLER: 0
; COMPUTE_PGM_RSRC2:TGID_X_EN: 1
; COMPUTE_PGM_RSRC2:TGID_Y_EN: 0
; COMPUTE_PGM_RSRC2:TGID_Z_EN: 0
; COMPUTE_PGM_RSRC2:TIDIG_COMP_CNT: 0
	.section	.text._ZN9rocsparseL20bsrxmvn_17_32_kernelILj23EfllfffEEvT2_20rocsparse_direction_NS_24const_host_device_scalarIT0_EES1_PKS1_PKT1_SA_S7_PKT3_PKT4_S5_PT5_21rocsparse_index_base_b,"axG",@progbits,_ZN9rocsparseL20bsrxmvn_17_32_kernelILj23EfllfffEEvT2_20rocsparse_direction_NS_24const_host_device_scalarIT0_EES1_PKS1_PKT1_SA_S7_PKT3_PKT4_S5_PT5_21rocsparse_index_base_b,comdat
	.globl	_ZN9rocsparseL20bsrxmvn_17_32_kernelILj23EfllfffEEvT2_20rocsparse_direction_NS_24const_host_device_scalarIT0_EES1_PKS1_PKT1_SA_S7_PKT3_PKT4_S5_PT5_21rocsparse_index_base_b ; -- Begin function _ZN9rocsparseL20bsrxmvn_17_32_kernelILj23EfllfffEEvT2_20rocsparse_direction_NS_24const_host_device_scalarIT0_EES1_PKS1_PKT1_SA_S7_PKT3_PKT4_S5_PT5_21rocsparse_index_base_b
	.p2align	8
	.type	_ZN9rocsparseL20bsrxmvn_17_32_kernelILj23EfllfffEEvT2_20rocsparse_direction_NS_24const_host_device_scalarIT0_EES1_PKS1_PKT1_SA_S7_PKT3_PKT4_S5_PT5_21rocsparse_index_base_b,@function
_ZN9rocsparseL20bsrxmvn_17_32_kernelILj23EfllfffEEvT2_20rocsparse_direction_NS_24const_host_device_scalarIT0_EES1_PKS1_PKT1_SA_S7_PKT3_PKT4_S5_PT5_21rocsparse_index_base_b: ; @_ZN9rocsparseL20bsrxmvn_17_32_kernelILj23EfllfffEEvT2_20rocsparse_direction_NS_24const_host_device_scalarIT0_EES1_PKS1_PKT1_SA_S7_PKT3_PKT4_S5_PT5_21rocsparse_index_base_b
; %bb.0:
	s_clause 0x2
	s_load_b64 s[16:17], s[0:1], 0x60
	s_load_b64 s[12:13], s[0:1], 0x10
	;; [unrolled: 1-line block ×3, first 2 shown]
	s_mov_b32 s10, s15
	s_waitcnt lgkmcnt(0)
	s_bitcmp1_b32 s17, 0
	s_cselect_b32 s2, -1, 0
	s_delay_alu instid0(SALU_CYCLE_1)
	s_and_b32 vcc_lo, exec_lo, s2
	s_xor_b32 s2, s2, -1
	s_cbranch_vccnz .LBB134_2
; %bb.1:
	s_load_b32 s12, s[12:13], 0x0
.LBB134_2:
	s_and_not1_b32 vcc_lo, exec_lo, s2
	s_cbranch_vccnz .LBB134_4
; %bb.3:
	s_load_b32 s8, s[8:9], 0x0
.LBB134_4:
	s_waitcnt lgkmcnt(0)
	v_cmp_neq_f32_e64 s2, s12, 0
	v_cmp_neq_f32_e64 s3, s8, 1.0
	s_mov_b32 s11, 0
	s_delay_alu instid0(VALU_DEP_1) | instskip(NEXT) | instid1(SALU_CYCLE_1)
	s_or_b32 s2, s2, s3
	s_and_not1_b32 vcc_lo, exec_lo, s2
	s_cbranch_vccnz .LBB134_42
; %bb.5:
	s_clause 0x1
	s_load_b128 s[4:7], s[0:1], 0x20
	s_load_b64 s[14:15], s[0:1], 0x30
	s_waitcnt lgkmcnt(0)
	s_cmp_eq_u64 s[4:5], 0
	s_cbranch_scc1 .LBB134_7
; %bb.6:
	s_lshl_b64 s[2:3], s[10:11], 3
	s_delay_alu instid0(SALU_CYCLE_1)
	s_add_u32 s2, s4, s2
	s_addc_u32 s3, s5, s3
	s_load_b64 s[2:3], s[2:3], 0x0
	s_waitcnt lgkmcnt(0)
	s_sub_u32 s10, s2, s16
	s_subb_u32 s11, s3, 0
.LBB134_7:
	s_load_b32 s3, s[0:1], 0x8
	v_mul_u32_u24_e32 v1, 0xb22, v0
	v_dual_mov_b32 v2, 0 :: v_dual_lshlrev_b32 v9, 2, v0
	s_delay_alu instid0(VALU_DEP_2) | instskip(NEXT) | instid1(VALU_DEP_1)
	v_lshrrev_b32_e32 v1, 16, v1
	v_mul_lo_u16 v3, v1, 23
	s_delay_alu instid0(VALU_DEP_1)
	v_sub_nc_u16 v10, v0, v3
	s_waitcnt lgkmcnt(0)
	s_cmp_eq_u32 s3, 1
	s_cselect_b32 s2, -1, 0
	s_cmp_lg_u32 s3, 1
	s_cselect_b32 s9, -1, 0
	s_lshl_b64 s[4:5], s[10:11], 3
	s_delay_alu instid0(SALU_CYCLE_1)
	s_add_u32 s6, s6, s4
	s_addc_u32 s7, s7, s5
	s_add_u32 s3, s6, 8
	s_addc_u32 s13, s7, 0
	;; [unrolled: 2-line block ×3, first 2 shown]
	s_cmp_eq_u64 s[14:15], 0
	s_load_b64 s[14:15], s[0:1], 0x58
	s_cselect_b32 s5, s13, s5
	s_cselect_b32 s4, s3, s4
	s_load_b64 s[18:19], s[6:7], 0x0
	s_load_b64 s[20:21], s[4:5], 0x0
	s_waitcnt lgkmcnt(0)
	v_cmp_ge_i64_e64 s3, s[18:19], s[20:21]
	s_delay_alu instid0(VALU_DEP_1)
	s_and_b32 vcc_lo, exec_lo, s3
	s_cbranch_vccnz .LBB134_12
; %bb.8:
	v_dual_mov_b32 v2, 0 :: v_dual_and_b32 v1, 0xffff, v1
	v_cmp_gt_u32_e32 vcc_lo, 0x211, v0
	s_clause 0x1
	s_load_b128 s[4:7], s[0:1], 0x38
	s_load_b64 s[22:23], s[0:1], 0x48
	s_sub_u32 s0, s20, s16
	v_subrev_nc_u32_e32 v3, 23, v1
	v_and_b32_e32 v4, 0xffff, v10
	s_subb_u32 s1, s21, 0
	s_delay_alu instid0(VALU_DEP_2) | instskip(SKIP_1) | instid1(VALU_DEP_2)
	v_cndmask_b32_e32 v1, v3, v1, vcc_lo
	v_cmp_lt_u32_e32 vcc_lo, 0x210, v0
	v_cndmask_b32_e64 v1, v4, v1, s2
	v_cndmask_b32_e64 v11, 0, 1, vcc_lo
	s_sub_u32 s2, s18, s16
	s_subb_u32 s3, s19, 0
	s_mul_hi_u32 s13, s2, 0x844
	v_lshlrev_b64 v[3:4], 2, v[1:2]
	v_add_co_u32 v1, s18, s18, v11
	s_delay_alu instid0(VALU_DEP_1) | instskip(SKIP_2) | instid1(VALU_DEP_3)
	v_add_co_ci_u32_e64 v6, null, s19, 0, s18
	s_mul_i32 s17, s3, 0x844
	s_waitcnt lgkmcnt(0)
	v_add_co_u32 v3, vcc_lo, s22, v3
	v_add_co_ci_u32_e32 v4, vcc_lo, s23, v4, vcc_lo
	v_sub_co_u32 v5, vcc_lo, v1, s16
	v_subrev_co_ci_u32_e32 v6, vcc_lo, 0, v6, vcc_lo
	v_lshlrev_b32_e32 v1, 2, v0
	s_add_i32 s13, s13, s17
	s_mul_i32 s17, s2, 0x844
	s_delay_alu instid0(VALU_DEP_2) | instskip(SKIP_3) | instid1(VALU_DEP_1)
	v_lshlrev_b64 v[7:8], 3, v[5:6]
	s_add_u32 s6, s6, s17
	s_addc_u32 s7, s7, s13
	v_add_co_u32 v5, s6, s6, v1
	v_add_co_ci_u32_e64 v6, null, s7, 0, s6
	s_delay_alu instid0(VALU_DEP_3)
	v_add_co_u32 v7, vcc_lo, s4, v7
	v_add_co_ci_u32_e32 v8, vcc_lo, s5, v8, vcc_lo
	s_set_inst_prefetch_distance 0x1
	s_branch .LBB134_10
	.p2align	6
.LBB134_9:                              ;   in Loop: Header=BB134_10 Depth=1
	s_or_b32 exec_lo, exec_lo, s4
	s_add_u32 s2, s2, 1
	s_addc_u32 s3, s3, 0
	v_add_co_u32 v7, vcc_lo, v7, 8
	v_cmp_lt_i64_e64 s4, s[2:3], s[0:1]
	v_add_co_ci_u32_e32 v8, vcc_lo, 0, v8, vcc_lo
	s_delay_alu instid0(VALU_DEP_2)
	s_and_b32 vcc_lo, exec_lo, s4
	s_cbranch_vccz .LBB134_12
.LBB134_10:                             ; =>This Inner Loop Header: Depth=1
	v_add_co_u32 v12, s4, v11, s2
	s_delay_alu instid0(VALU_DEP_1) | instskip(SKIP_1) | instid1(VALU_DEP_1)
	v_add_co_ci_u32_e64 v13, null, 0, s3, s4
	s_mov_b32 s4, exec_lo
	v_cmpx_gt_i64_e64 s[0:1], v[12:13]
	s_cbranch_execz .LBB134_9
; %bb.11:                               ;   in Loop: Header=BB134_10 Depth=1
	global_load_b64 v[12:13], v[7:8], off
	s_waitcnt vmcnt(0)
	v_sub_co_u32 v1, vcc_lo, v12, s16
	v_subrev_co_ci_u32_e32 v15, vcc_lo, 0, v13, vcc_lo
	s_delay_alu instid0(VALU_DEP_2) | instskip(NEXT) | instid1(VALU_DEP_1)
	v_mad_u64_u32 v[12:13], null, 0x5c, v1, v[3:4]
	v_mov_b32_e32 v1, v13
	s_delay_alu instid0(VALU_DEP_1)
	v_mad_u64_u32 v[13:14], null, 0x5c, v15, v[1:2]
	global_load_b32 v1, v[5:6], off
	global_load_b32 v12, v[12:13], off
	v_add_co_u32 v5, vcc_lo, 0x844, v5
	v_add_co_ci_u32_e32 v6, vcc_lo, 0, v6, vcc_lo
	s_waitcnt vmcnt(0)
	v_fmac_f32_e32 v2, v1, v12
	s_branch .LBB134_9
.LBB134_12:
	s_set_inst_prefetch_distance 0x2
	s_and_b32 vcc_lo, exec_lo, s9
	ds_store_b32 v9, v2
	s_waitcnt lgkmcnt(0)
	s_barrier
	buffer_gl0_inv
	s_cbranch_vccz .LBB134_24
; %bb.13:
	s_mov_b32 s0, exec_lo
	v_cmpx_gt_u16_e32 7, v10
	s_cbranch_execz .LBB134_15
; %bb.14:
	ds_load_2addr_b32 v[3:4], v9 offset1:16
	s_waitcnt lgkmcnt(0)
	v_add_f32_e32 v1, v4, v3
	ds_store_b32 v9, v1
.LBB134_15:
	s_or_b32 exec_lo, exec_lo, s0
	s_delay_alu instid0(SALU_CYCLE_1)
	s_mov_b32 s0, exec_lo
	s_waitcnt lgkmcnt(0)
	s_barrier
	buffer_gl0_inv
	v_cmpx_gt_u16_e32 8, v10
	s_cbranch_execz .LBB134_17
; %bb.16:
	ds_load_2addr_b32 v[3:4], v9 offset1:8
	s_waitcnt lgkmcnt(0)
	v_add_f32_e32 v1, v4, v3
	ds_store_b32 v9, v1
.LBB134_17:
	s_or_b32 exec_lo, exec_lo, s0
	s_delay_alu instid0(SALU_CYCLE_1)
	s_mov_b32 s0, exec_lo
	s_waitcnt lgkmcnt(0)
	s_barrier
	buffer_gl0_inv
	;; [unrolled: 14-line block ×3, first 2 shown]
	v_cmpx_gt_u16_e32 2, v10
	s_cbranch_execz .LBB134_21
; %bb.20:
	ds_load_2addr_b32 v[3:4], v9 offset1:2
	s_waitcnt lgkmcnt(0)
	v_add_f32_e32 v1, v4, v3
	ds_store_b32 v9, v1
.LBB134_21:
	s_or_b32 exec_lo, exec_lo, s0
	s_mov_b32 s1, 0
	s_mov_b32 s0, 0
	s_mov_b32 s2, exec_lo
	s_waitcnt lgkmcnt(0)
	s_barrier
	buffer_gl0_inv
                                        ; implicit-def: $vgpr1
                                        ; implicit-def: $vgpr3
	v_cmpx_gt_u32_e32 23, v0
	s_xor_b32 s2, exec_lo, s2
; %bb.22:
	v_mad_u32_u24 v1, v0, 23, 1
	v_mad_u32_u24 v3, 0x58, v0, v9
	s_mov_b32 s0, exec_lo
; %bb.23:
	s_or_b32 exec_lo, exec_lo, s2
	s_delay_alu instid0(SALU_CYCLE_1)
	s_and_b32 vcc_lo, exec_lo, s1
	s_cbranch_vccnz .LBB134_25
	s_branch .LBB134_36
.LBB134_24:
	s_mov_b32 s0, 0
                                        ; implicit-def: $vgpr1
                                        ; implicit-def: $vgpr3
	s_cbranch_execz .LBB134_36
.LBB134_25:
	s_mov_b32 s1, exec_lo
	v_cmpx_gt_u32_e32 0xa1, v0
	s_cbranch_execz .LBB134_27
; %bb.26:
	ds_load_b32 v1, v9 offset:1472
	ds_load_b32 v3, v9
	s_waitcnt lgkmcnt(0)
	v_add_f32_e32 v1, v1, v3
	ds_store_b32 v9, v1
.LBB134_27:
	s_or_b32 exec_lo, exec_lo, s1
	s_delay_alu instid0(SALU_CYCLE_1)
	s_mov_b32 s1, exec_lo
	s_waitcnt lgkmcnt(0)
	s_barrier
	buffer_gl0_inv
	v_cmpx_gt_u32_e32 0xb8, v0
	s_cbranch_execz .LBB134_29
; %bb.28:
	ds_load_2addr_b32 v[3:4], v9 offset1:184
	s_waitcnt lgkmcnt(0)
	v_add_f32_e32 v1, v4, v3
	ds_store_b32 v9, v1
.LBB134_29:
	s_or_b32 exec_lo, exec_lo, s1
	s_delay_alu instid0(SALU_CYCLE_1)
	s_mov_b32 s1, exec_lo
	s_waitcnt lgkmcnt(0)
	s_barrier
	buffer_gl0_inv
	v_cmpx_gt_u32_e32 0x5c, v0
	s_cbranch_execz .LBB134_31
; %bb.30:
	ds_load_2addr_b32 v[3:4], v9 offset1:92
	s_waitcnt lgkmcnt(0)
	v_add_f32_e32 v1, v4, v3
	ds_store_b32 v9, v1
.LBB134_31:
	s_or_b32 exec_lo, exec_lo, s1
	s_delay_alu instid0(SALU_CYCLE_1)
	s_mov_b32 s1, exec_lo
	s_waitcnt lgkmcnt(0)
	s_barrier
	buffer_gl0_inv
	v_cmpx_gt_u32_e32 46, v0
	s_cbranch_execz .LBB134_33
; %bb.32:
	ds_load_2addr_b32 v[3:4], v9 offset1:46
	s_waitcnt lgkmcnt(0)
	v_add_f32_e32 v1, v4, v3
	ds_store_b32 v9, v1
.LBB134_33:
	s_or_b32 exec_lo, exec_lo, s1
	s_delay_alu instid0(SALU_CYCLE_1)
	s_mov_b32 s1, exec_lo
	s_waitcnt lgkmcnt(0)
	buffer_gl0_inv
                                        ; implicit-def: $vgpr1
	v_cmpx_gt_u32_e32 23, v0
; %bb.34:
	v_add_nc_u32_e32 v1, 23, v0
	s_or_b32 s0, s0, exec_lo
                                        ; implicit-def: $vgpr2
; %bb.35:
	s_or_b32 exec_lo, exec_lo, s1
	v_mov_b32_e32 v3, v9
.LBB134_36:
	s_and_saveexec_b32 s1, s0
	s_cbranch_execz .LBB134_38
; %bb.37:
	v_lshlrev_b32_e32 v1, 2, v1
	ds_load_b32 v2, v3
	ds_load_b32 v1, v1
	s_waitcnt lgkmcnt(0)
	v_add_f32_e32 v2, v2, v1
.LBB134_38:
	s_or_b32 exec_lo, exec_lo, s1
	s_delay_alu instid0(SALU_CYCLE_1)
	s_mov_b32 s0, exec_lo
	v_cmpx_gt_u32_e32 23, v0
	s_cbranch_execz .LBB134_42
; %bb.39:
	v_cmp_eq_f32_e64 s1, s8, 0
	v_mul_f32_e32 v1, s12, v2
	s_mov_b32 s3, 0
	s_mul_i32 s0, s11, 0x5c
	s_mul_i32 s2, s10, 0x5c
	s_and_b32 vcc_lo, exec_lo, s1
	s_mul_hi_u32 s1, s10, 0x5c
	s_cbranch_vccz .LBB134_43
; %bb.40:
	v_lshlrev_b32_e32 v2, 2, v0
	s_add_i32 s5, s1, s0
	s_add_u32 s4, s14, s2
	s_addc_u32 s5, s15, s5
	global_store_b32 v2, v1, s[4:5]
	s_and_not1_b32 vcc_lo, exec_lo, s3
	s_cbranch_vccnz .LBB134_42
.LBB134_41:
	v_lshlrev_b32_e32 v0, 2, v0
	s_add_i32 s1, s1, s0
	s_add_u32 s0, s14, s2
	s_addc_u32 s1, s15, s1
	global_load_b32 v2, v0, s[0:1]
	s_waitcnt vmcnt(0)
	v_fmac_f32_e32 v1, s8, v2
	global_store_b32 v0, v1, s[0:1]
.LBB134_42:
	s_nop 0
	s_sendmsg sendmsg(MSG_DEALLOC_VGPRS)
	s_endpgm
.LBB134_43:
	s_branch .LBB134_41
	.section	.rodata,"a",@progbits
	.p2align	6, 0x0
	.amdhsa_kernel _ZN9rocsparseL20bsrxmvn_17_32_kernelILj23EfllfffEEvT2_20rocsparse_direction_NS_24const_host_device_scalarIT0_EES1_PKS1_PKT1_SA_S7_PKT3_PKT4_S5_PT5_21rocsparse_index_base_b
		.amdhsa_group_segment_fixed_size 2116
		.amdhsa_private_segment_fixed_size 0
		.amdhsa_kernarg_size 104
		.amdhsa_user_sgpr_count 15
		.amdhsa_user_sgpr_dispatch_ptr 0
		.amdhsa_user_sgpr_queue_ptr 0
		.amdhsa_user_sgpr_kernarg_segment_ptr 1
		.amdhsa_user_sgpr_dispatch_id 0
		.amdhsa_user_sgpr_private_segment_size 0
		.amdhsa_wavefront_size32 1
		.amdhsa_uses_dynamic_stack 0
		.amdhsa_enable_private_segment 0
		.amdhsa_system_sgpr_workgroup_id_x 1
		.amdhsa_system_sgpr_workgroup_id_y 0
		.amdhsa_system_sgpr_workgroup_id_z 0
		.amdhsa_system_sgpr_workgroup_info 0
		.amdhsa_system_vgpr_workitem_id 0
		.amdhsa_next_free_vgpr 16
		.amdhsa_next_free_sgpr 24
		.amdhsa_reserve_vcc 1
		.amdhsa_float_round_mode_32 0
		.amdhsa_float_round_mode_16_64 0
		.amdhsa_float_denorm_mode_32 3
		.amdhsa_float_denorm_mode_16_64 3
		.amdhsa_dx10_clamp 1
		.amdhsa_ieee_mode 1
		.amdhsa_fp16_overflow 0
		.amdhsa_workgroup_processor_mode 1
		.amdhsa_memory_ordered 1
		.amdhsa_forward_progress 0
		.amdhsa_shared_vgpr_count 0
		.amdhsa_exception_fp_ieee_invalid_op 0
		.amdhsa_exception_fp_denorm_src 0
		.amdhsa_exception_fp_ieee_div_zero 0
		.amdhsa_exception_fp_ieee_overflow 0
		.amdhsa_exception_fp_ieee_underflow 0
		.amdhsa_exception_fp_ieee_inexact 0
		.amdhsa_exception_int_div_zero 0
	.end_amdhsa_kernel
	.section	.text._ZN9rocsparseL20bsrxmvn_17_32_kernelILj23EfllfffEEvT2_20rocsparse_direction_NS_24const_host_device_scalarIT0_EES1_PKS1_PKT1_SA_S7_PKT3_PKT4_S5_PT5_21rocsparse_index_base_b,"axG",@progbits,_ZN9rocsparseL20bsrxmvn_17_32_kernelILj23EfllfffEEvT2_20rocsparse_direction_NS_24const_host_device_scalarIT0_EES1_PKS1_PKT1_SA_S7_PKT3_PKT4_S5_PT5_21rocsparse_index_base_b,comdat
.Lfunc_end134:
	.size	_ZN9rocsparseL20bsrxmvn_17_32_kernelILj23EfllfffEEvT2_20rocsparse_direction_NS_24const_host_device_scalarIT0_EES1_PKS1_PKT1_SA_S7_PKT3_PKT4_S5_PT5_21rocsparse_index_base_b, .Lfunc_end134-_ZN9rocsparseL20bsrxmvn_17_32_kernelILj23EfllfffEEvT2_20rocsparse_direction_NS_24const_host_device_scalarIT0_EES1_PKS1_PKT1_SA_S7_PKT3_PKT4_S5_PT5_21rocsparse_index_base_b
                                        ; -- End function
	.section	.AMDGPU.csdata,"",@progbits
; Kernel info:
; codeLenInByte = 1604
; NumSgprs: 26
; NumVgprs: 16
; ScratchSize: 0
; MemoryBound: 0
; FloatMode: 240
; IeeeMode: 1
; LDSByteSize: 2116 bytes/workgroup (compile time only)
; SGPRBlocks: 3
; VGPRBlocks: 1
; NumSGPRsForWavesPerEU: 26
; NumVGPRsForWavesPerEU: 16
; Occupancy: 13
; WaveLimiterHint : 1
; COMPUTE_PGM_RSRC2:SCRATCH_EN: 0
; COMPUTE_PGM_RSRC2:USER_SGPR: 15
; COMPUTE_PGM_RSRC2:TRAP_HANDLER: 0
; COMPUTE_PGM_RSRC2:TGID_X_EN: 1
; COMPUTE_PGM_RSRC2:TGID_Y_EN: 0
; COMPUTE_PGM_RSRC2:TGID_Z_EN: 0
; COMPUTE_PGM_RSRC2:TIDIG_COMP_CNT: 0
	.section	.text._ZN9rocsparseL20bsrxmvn_17_32_kernelILj24EfllfffEEvT2_20rocsparse_direction_NS_24const_host_device_scalarIT0_EES1_PKS1_PKT1_SA_S7_PKT3_PKT4_S5_PT5_21rocsparse_index_base_b,"axG",@progbits,_ZN9rocsparseL20bsrxmvn_17_32_kernelILj24EfllfffEEvT2_20rocsparse_direction_NS_24const_host_device_scalarIT0_EES1_PKS1_PKT1_SA_S7_PKT3_PKT4_S5_PT5_21rocsparse_index_base_b,comdat
	.globl	_ZN9rocsparseL20bsrxmvn_17_32_kernelILj24EfllfffEEvT2_20rocsparse_direction_NS_24const_host_device_scalarIT0_EES1_PKS1_PKT1_SA_S7_PKT3_PKT4_S5_PT5_21rocsparse_index_base_b ; -- Begin function _ZN9rocsparseL20bsrxmvn_17_32_kernelILj24EfllfffEEvT2_20rocsparse_direction_NS_24const_host_device_scalarIT0_EES1_PKS1_PKT1_SA_S7_PKT3_PKT4_S5_PT5_21rocsparse_index_base_b
	.p2align	8
	.type	_ZN9rocsparseL20bsrxmvn_17_32_kernelILj24EfllfffEEvT2_20rocsparse_direction_NS_24const_host_device_scalarIT0_EES1_PKS1_PKT1_SA_S7_PKT3_PKT4_S5_PT5_21rocsparse_index_base_b,@function
_ZN9rocsparseL20bsrxmvn_17_32_kernelILj24EfllfffEEvT2_20rocsparse_direction_NS_24const_host_device_scalarIT0_EES1_PKS1_PKT1_SA_S7_PKT3_PKT4_S5_PT5_21rocsparse_index_base_b: ; @_ZN9rocsparseL20bsrxmvn_17_32_kernelILj24EfllfffEEvT2_20rocsparse_direction_NS_24const_host_device_scalarIT0_EES1_PKS1_PKT1_SA_S7_PKT3_PKT4_S5_PT5_21rocsparse_index_base_b
; %bb.0:
	s_clause 0x2
	s_load_b64 s[16:17], s[0:1], 0x60
	s_load_b64 s[12:13], s[0:1], 0x10
	;; [unrolled: 1-line block ×3, first 2 shown]
	s_mov_b32 s10, s15
	s_waitcnt lgkmcnt(0)
	s_bitcmp1_b32 s17, 0
	s_cselect_b32 s2, -1, 0
	s_delay_alu instid0(SALU_CYCLE_1)
	s_and_b32 vcc_lo, exec_lo, s2
	s_xor_b32 s2, s2, -1
	s_cbranch_vccnz .LBB135_2
; %bb.1:
	s_load_b32 s12, s[12:13], 0x0
.LBB135_2:
	s_and_not1_b32 vcc_lo, exec_lo, s2
	s_cbranch_vccnz .LBB135_4
; %bb.3:
	s_load_b32 s8, s[8:9], 0x0
.LBB135_4:
	s_waitcnt lgkmcnt(0)
	v_cmp_neq_f32_e64 s2, s12, 0
	v_cmp_neq_f32_e64 s3, s8, 1.0
	s_mov_b32 s11, 0
	s_delay_alu instid0(VALU_DEP_1) | instskip(NEXT) | instid1(SALU_CYCLE_1)
	s_or_b32 s2, s2, s3
	s_and_not1_b32 vcc_lo, exec_lo, s2
	s_cbranch_vccnz .LBB135_42
; %bb.5:
	s_clause 0x1
	s_load_b128 s[4:7], s[0:1], 0x20
	s_load_b64 s[14:15], s[0:1], 0x30
	s_waitcnt lgkmcnt(0)
	s_cmp_eq_u64 s[4:5], 0
	s_cbranch_scc1 .LBB135_7
; %bb.6:
	s_lshl_b64 s[2:3], s[10:11], 3
	s_delay_alu instid0(SALU_CYCLE_1)
	s_add_u32 s2, s4, s2
	s_addc_u32 s3, s5, s3
	s_load_b64 s[2:3], s[2:3], 0x0
	s_waitcnt lgkmcnt(0)
	s_sub_u32 s10, s2, s16
	s_subb_u32 s11, s3, 0
.LBB135_7:
	s_load_b32 s3, s[0:1], 0x8
	v_mul_u32_u24_e32 v1, 0xaab, v0
	v_dual_mov_b32 v2, 0 :: v_dual_lshlrev_b32 v9, 2, v0
	s_delay_alu instid0(VALU_DEP_2) | instskip(NEXT) | instid1(VALU_DEP_1)
	v_lshrrev_b32_e32 v1, 16, v1
	v_mul_lo_u16 v3, v1, 24
	s_delay_alu instid0(VALU_DEP_1)
	v_sub_nc_u16 v10, v0, v3
	s_waitcnt lgkmcnt(0)
	s_cmp_eq_u32 s3, 1
	s_cselect_b32 s2, -1, 0
	s_cmp_lg_u32 s3, 1
	s_cselect_b32 s9, -1, 0
	s_lshl_b64 s[4:5], s[10:11], 3
	s_delay_alu instid0(SALU_CYCLE_1)
	s_add_u32 s6, s6, s4
	s_addc_u32 s7, s7, s5
	s_add_u32 s3, s6, 8
	s_addc_u32 s13, s7, 0
	;; [unrolled: 2-line block ×3, first 2 shown]
	s_cmp_eq_u64 s[14:15], 0
	s_load_b64 s[14:15], s[0:1], 0x58
	s_cselect_b32 s5, s13, s5
	s_cselect_b32 s4, s3, s4
	s_load_b64 s[18:19], s[6:7], 0x0
	s_load_b64 s[20:21], s[4:5], 0x0
	s_waitcnt lgkmcnt(0)
	v_cmp_ge_i64_e64 s3, s[18:19], s[20:21]
	s_delay_alu instid0(VALU_DEP_1)
	s_and_b32 vcc_lo, exec_lo, s3
	s_cbranch_vccnz .LBB135_12
; %bb.8:
	v_dual_mov_b32 v2, 0 :: v_dual_and_b32 v1, 0xffff, v1
	v_cmp_gt_u32_e32 vcc_lo, 0x240, v0
	s_clause 0x1
	s_load_b128 s[4:7], s[0:1], 0x38
	s_load_b64 s[22:23], s[0:1], 0x48
	s_sub_u32 s0, s20, s16
	v_subrev_nc_u32_e32 v3, 24, v1
	v_and_b32_e32 v4, 0xffff, v10
	s_subb_u32 s1, s21, 0
	s_delay_alu instid0(VALU_DEP_2) | instskip(SKIP_1) | instid1(VALU_DEP_2)
	v_cndmask_b32_e32 v1, v3, v1, vcc_lo
	v_cmp_lt_u32_e32 vcc_lo, 0x23f, v0
	v_cndmask_b32_e64 v1, v4, v1, s2
	v_cndmask_b32_e64 v11, 0, 1, vcc_lo
	s_sub_u32 s2, s18, s16
	s_subb_u32 s3, s19, 0
	s_mul_hi_u32 s13, s2, 0x900
	v_lshlrev_b64 v[3:4], 2, v[1:2]
	v_add_co_u32 v1, s18, s18, v11
	s_delay_alu instid0(VALU_DEP_1) | instskip(SKIP_2) | instid1(VALU_DEP_3)
	v_add_co_ci_u32_e64 v6, null, s19, 0, s18
	s_mul_i32 s17, s3, 0x900
	s_waitcnt lgkmcnt(0)
	v_add_co_u32 v3, vcc_lo, s22, v3
	v_add_co_ci_u32_e32 v4, vcc_lo, s23, v4, vcc_lo
	v_sub_co_u32 v5, vcc_lo, v1, s16
	v_subrev_co_ci_u32_e32 v6, vcc_lo, 0, v6, vcc_lo
	v_lshlrev_b32_e32 v1, 2, v0
	s_add_i32 s13, s13, s17
	s_mul_i32 s17, s2, 0x900
	s_delay_alu instid0(VALU_DEP_2) | instskip(SKIP_3) | instid1(VALU_DEP_1)
	v_lshlrev_b64 v[7:8], 3, v[5:6]
	s_add_u32 s6, s6, s17
	s_addc_u32 s7, s7, s13
	v_add_co_u32 v5, s6, s6, v1
	v_add_co_ci_u32_e64 v6, null, s7, 0, s6
	s_delay_alu instid0(VALU_DEP_3)
	v_add_co_u32 v7, vcc_lo, s4, v7
	v_add_co_ci_u32_e32 v8, vcc_lo, s5, v8, vcc_lo
	s_set_inst_prefetch_distance 0x1
	s_branch .LBB135_10
	.p2align	6
.LBB135_9:                              ;   in Loop: Header=BB135_10 Depth=1
	s_or_b32 exec_lo, exec_lo, s4
	s_add_u32 s2, s2, 1
	s_addc_u32 s3, s3, 0
	v_add_co_u32 v7, vcc_lo, v7, 8
	v_cmp_lt_i64_e64 s4, s[2:3], s[0:1]
	v_add_co_ci_u32_e32 v8, vcc_lo, 0, v8, vcc_lo
	s_delay_alu instid0(VALU_DEP_2)
	s_and_b32 vcc_lo, exec_lo, s4
	s_cbranch_vccz .LBB135_12
.LBB135_10:                             ; =>This Inner Loop Header: Depth=1
	v_add_co_u32 v12, s4, v11, s2
	s_delay_alu instid0(VALU_DEP_1) | instskip(SKIP_1) | instid1(VALU_DEP_1)
	v_add_co_ci_u32_e64 v13, null, 0, s3, s4
	s_mov_b32 s4, exec_lo
	v_cmpx_gt_i64_e64 s[0:1], v[12:13]
	s_cbranch_execz .LBB135_9
; %bb.11:                               ;   in Loop: Header=BB135_10 Depth=1
	global_load_b64 v[12:13], v[7:8], off
	s_waitcnt vmcnt(0)
	v_sub_co_u32 v1, vcc_lo, v12, s16
	v_subrev_co_ci_u32_e32 v15, vcc_lo, 0, v13, vcc_lo
	s_delay_alu instid0(VALU_DEP_2) | instskip(NEXT) | instid1(VALU_DEP_1)
	v_mad_u64_u32 v[12:13], null, 0x60, v1, v[3:4]
	v_mov_b32_e32 v1, v13
	s_delay_alu instid0(VALU_DEP_1)
	v_mad_u64_u32 v[13:14], null, 0x60, v15, v[1:2]
	global_load_b32 v1, v[5:6], off
	global_load_b32 v12, v[12:13], off
	v_add_co_u32 v5, vcc_lo, 0x900, v5
	v_add_co_ci_u32_e32 v6, vcc_lo, 0, v6, vcc_lo
	s_waitcnt vmcnt(0)
	v_fmac_f32_e32 v2, v1, v12
	s_branch .LBB135_9
.LBB135_12:
	s_set_inst_prefetch_distance 0x2
	s_and_b32 vcc_lo, exec_lo, s9
	ds_store_b32 v9, v2
	s_waitcnt lgkmcnt(0)
	s_barrier
	buffer_gl0_inv
	s_cbranch_vccz .LBB135_24
; %bb.13:
	v_cmp_gt_u16_e32 vcc_lo, 8, v10
	s_and_saveexec_b32 s0, vcc_lo
	s_cbranch_execz .LBB135_15
; %bb.14:
	ds_load_2addr_b32 v[3:4], v9 offset1:16
	s_waitcnt lgkmcnt(0)
	v_add_f32_e32 v1, v4, v3
	ds_store_b32 v9, v1
.LBB135_15:
	s_or_b32 exec_lo, exec_lo, s0
	s_waitcnt lgkmcnt(0)
	s_barrier
	buffer_gl0_inv
	s_and_saveexec_b32 s0, vcc_lo
	s_cbranch_execz .LBB135_17
; %bb.16:
	ds_load_2addr_b32 v[3:4], v9 offset1:8
	s_waitcnt lgkmcnt(0)
	v_add_f32_e32 v1, v4, v3
	ds_store_b32 v9, v1
.LBB135_17:
	s_or_b32 exec_lo, exec_lo, s0
	s_delay_alu instid0(SALU_CYCLE_1)
	s_mov_b32 s0, exec_lo
	s_waitcnt lgkmcnt(0)
	s_barrier
	buffer_gl0_inv
	v_cmpx_gt_u16_e32 4, v10
	s_cbranch_execz .LBB135_19
; %bb.18:
	ds_load_2addr_b32 v[3:4], v9 offset1:4
	s_waitcnt lgkmcnt(0)
	v_add_f32_e32 v1, v4, v3
	ds_store_b32 v9, v1
.LBB135_19:
	s_or_b32 exec_lo, exec_lo, s0
	s_delay_alu instid0(SALU_CYCLE_1)
	s_mov_b32 s0, exec_lo
	s_waitcnt lgkmcnt(0)
	s_barrier
	buffer_gl0_inv
	v_cmpx_gt_u16_e32 2, v10
	s_cbranch_execz .LBB135_21
; %bb.20:
	ds_load_2addr_b32 v[3:4], v9 offset1:2
	s_waitcnt lgkmcnt(0)
	v_add_f32_e32 v1, v4, v3
	ds_store_b32 v9, v1
.LBB135_21:
	s_or_b32 exec_lo, exec_lo, s0
	s_mov_b32 s1, 0
	s_mov_b32 s0, 0
	s_mov_b32 s2, exec_lo
	s_waitcnt lgkmcnt(0)
	s_barrier
	buffer_gl0_inv
                                        ; implicit-def: $vgpr1
                                        ; implicit-def: $vgpr3
	v_cmpx_gt_u32_e32 24, v0
	s_xor_b32 s2, exec_lo, s2
; %bb.22:
	v_mul_u32_u24_e32 v1, 24, v0
	v_mad_u32_u24 v3, 0x5c, v0, v9
	s_mov_b32 s0, exec_lo
	s_delay_alu instid0(VALU_DEP_2)
	v_or_b32_e32 v1, 1, v1
; %bb.23:
	s_or_b32 exec_lo, exec_lo, s2
	s_delay_alu instid0(SALU_CYCLE_1)
	s_and_b32 vcc_lo, exec_lo, s1
	s_cbranch_vccnz .LBB135_25
	s_branch .LBB135_36
.LBB135_24:
	s_mov_b32 s0, 0
                                        ; implicit-def: $vgpr1
                                        ; implicit-def: $vgpr3
	s_cbranch_execz .LBB135_36
.LBB135_25:
	v_cmp_gt_u32_e32 vcc_lo, 0xc0, v0
	s_and_saveexec_b32 s1, vcc_lo
	s_cbranch_execz .LBB135_27
; %bb.26:
	ds_load_2addr_stride64_b32 v[3:4], v9 offset1:6
	s_waitcnt lgkmcnt(0)
	v_add_f32_e32 v1, v4, v3
	ds_store_b32 v9, v1
.LBB135_27:
	s_or_b32 exec_lo, exec_lo, s1
	s_waitcnt lgkmcnt(0)
	s_barrier
	buffer_gl0_inv
	s_and_saveexec_b32 s1, vcc_lo
	s_cbranch_execz .LBB135_29
; %bb.28:
	ds_load_2addr_stride64_b32 v[3:4], v9 offset1:3
	s_waitcnt lgkmcnt(0)
	v_add_f32_e32 v1, v4, v3
	ds_store_b32 v9, v1
.LBB135_29:
	s_or_b32 exec_lo, exec_lo, s1
	s_delay_alu instid0(SALU_CYCLE_1)
	s_mov_b32 s1, exec_lo
	s_waitcnt lgkmcnt(0)
	s_barrier
	buffer_gl0_inv
	v_cmpx_gt_u32_e32 0x60, v0
	s_cbranch_execz .LBB135_31
; %bb.30:
	ds_load_2addr_b32 v[3:4], v9 offset1:96
	s_waitcnt lgkmcnt(0)
	v_add_f32_e32 v1, v4, v3
	ds_store_b32 v9, v1
.LBB135_31:
	s_or_b32 exec_lo, exec_lo, s1
	s_delay_alu instid0(SALU_CYCLE_1)
	s_mov_b32 s1, exec_lo
	s_waitcnt lgkmcnt(0)
	s_barrier
	buffer_gl0_inv
	v_cmpx_gt_u32_e32 48, v0
	s_cbranch_execz .LBB135_33
; %bb.32:
	ds_load_2addr_b32 v[3:4], v9 offset1:48
	s_waitcnt lgkmcnt(0)
	v_add_f32_e32 v1, v4, v3
	ds_store_b32 v9, v1
.LBB135_33:
	s_or_b32 exec_lo, exec_lo, s1
	s_delay_alu instid0(SALU_CYCLE_1)
	s_mov_b32 s1, exec_lo
	s_waitcnt lgkmcnt(0)
	buffer_gl0_inv
                                        ; implicit-def: $vgpr1
	v_cmpx_gt_u32_e32 24, v0
; %bb.34:
	v_add_nc_u32_e32 v1, 24, v0
	s_or_b32 s0, s0, exec_lo
                                        ; implicit-def: $vgpr2
; %bb.35:
	s_or_b32 exec_lo, exec_lo, s1
	v_mov_b32_e32 v3, v9
.LBB135_36:
	s_and_saveexec_b32 s1, s0
	s_cbranch_execz .LBB135_38
; %bb.37:
	v_lshlrev_b32_e32 v1, 2, v1
	ds_load_b32 v2, v3
	ds_load_b32 v1, v1
	s_waitcnt lgkmcnt(0)
	v_add_f32_e32 v2, v2, v1
.LBB135_38:
	s_or_b32 exec_lo, exec_lo, s1
	s_delay_alu instid0(SALU_CYCLE_1)
	s_mov_b32 s0, exec_lo
	v_cmpx_gt_u32_e32 24, v0
	s_cbranch_execz .LBB135_42
; %bb.39:
	v_cmp_eq_f32_e64 s1, s8, 0
	v_mul_f32_e32 v1, s12, v2
	s_mov_b32 s3, 0
	s_mul_i32 s0, s11, 0x60
	s_mul_i32 s2, s10, 0x60
	s_and_b32 vcc_lo, exec_lo, s1
	s_mul_hi_u32 s1, s10, 0x60
	s_cbranch_vccz .LBB135_43
; %bb.40:
	v_lshlrev_b32_e32 v2, 2, v0
	s_add_i32 s5, s1, s0
	s_add_u32 s4, s14, s2
	s_addc_u32 s5, s15, s5
	global_store_b32 v2, v1, s[4:5]
	s_and_not1_b32 vcc_lo, exec_lo, s3
	s_cbranch_vccnz .LBB135_42
.LBB135_41:
	v_lshlrev_b32_e32 v0, 2, v0
	s_add_i32 s1, s1, s0
	s_add_u32 s0, s14, s2
	s_addc_u32 s1, s15, s1
	global_load_b32 v2, v0, s[0:1]
	s_waitcnt vmcnt(0)
	v_fmac_f32_e32 v1, s8, v2
	global_store_b32 v0, v1, s[0:1]
.LBB135_42:
	s_nop 0
	s_sendmsg sendmsg(MSG_DEALLOC_VGPRS)
	s_endpgm
.LBB135_43:
	s_branch .LBB135_41
	.section	.rodata,"a",@progbits
	.p2align	6, 0x0
	.amdhsa_kernel _ZN9rocsparseL20bsrxmvn_17_32_kernelILj24EfllfffEEvT2_20rocsparse_direction_NS_24const_host_device_scalarIT0_EES1_PKS1_PKT1_SA_S7_PKT3_PKT4_S5_PT5_21rocsparse_index_base_b
		.amdhsa_group_segment_fixed_size 2304
		.amdhsa_private_segment_fixed_size 0
		.amdhsa_kernarg_size 104
		.amdhsa_user_sgpr_count 15
		.amdhsa_user_sgpr_dispatch_ptr 0
		.amdhsa_user_sgpr_queue_ptr 0
		.amdhsa_user_sgpr_kernarg_segment_ptr 1
		.amdhsa_user_sgpr_dispatch_id 0
		.amdhsa_user_sgpr_private_segment_size 0
		.amdhsa_wavefront_size32 1
		.amdhsa_uses_dynamic_stack 0
		.amdhsa_enable_private_segment 0
		.amdhsa_system_sgpr_workgroup_id_x 1
		.amdhsa_system_sgpr_workgroup_id_y 0
		.amdhsa_system_sgpr_workgroup_id_z 0
		.amdhsa_system_sgpr_workgroup_info 0
		.amdhsa_system_vgpr_workitem_id 0
		.amdhsa_next_free_vgpr 16
		.amdhsa_next_free_sgpr 24
		.amdhsa_reserve_vcc 1
		.amdhsa_float_round_mode_32 0
		.amdhsa_float_round_mode_16_64 0
		.amdhsa_float_denorm_mode_32 3
		.amdhsa_float_denorm_mode_16_64 3
		.amdhsa_dx10_clamp 1
		.amdhsa_ieee_mode 1
		.amdhsa_fp16_overflow 0
		.amdhsa_workgroup_processor_mode 1
		.amdhsa_memory_ordered 1
		.amdhsa_forward_progress 0
		.amdhsa_shared_vgpr_count 0
		.amdhsa_exception_fp_ieee_invalid_op 0
		.amdhsa_exception_fp_denorm_src 0
		.amdhsa_exception_fp_ieee_div_zero 0
		.amdhsa_exception_fp_ieee_overflow 0
		.amdhsa_exception_fp_ieee_underflow 0
		.amdhsa_exception_fp_ieee_inexact 0
		.amdhsa_exception_int_div_zero 0
	.end_amdhsa_kernel
	.section	.text._ZN9rocsparseL20bsrxmvn_17_32_kernelILj24EfllfffEEvT2_20rocsparse_direction_NS_24const_host_device_scalarIT0_EES1_PKS1_PKT1_SA_S7_PKT3_PKT4_S5_PT5_21rocsparse_index_base_b,"axG",@progbits,_ZN9rocsparseL20bsrxmvn_17_32_kernelILj24EfllfffEEvT2_20rocsparse_direction_NS_24const_host_device_scalarIT0_EES1_PKS1_PKT1_SA_S7_PKT3_PKT4_S5_PT5_21rocsparse_index_base_b,comdat
.Lfunc_end135:
	.size	_ZN9rocsparseL20bsrxmvn_17_32_kernelILj24EfllfffEEvT2_20rocsparse_direction_NS_24const_host_device_scalarIT0_EES1_PKS1_PKT1_SA_S7_PKT3_PKT4_S5_PT5_21rocsparse_index_base_b, .Lfunc_end135-_ZN9rocsparseL20bsrxmvn_17_32_kernelILj24EfllfffEEvT2_20rocsparse_direction_NS_24const_host_device_scalarIT0_EES1_PKS1_PKT1_SA_S7_PKT3_PKT4_S5_PT5_21rocsparse_index_base_b
                                        ; -- End function
	.section	.AMDGPU.csdata,"",@progbits
; Kernel info:
; codeLenInByte = 1580
; NumSgprs: 26
; NumVgprs: 16
; ScratchSize: 0
; MemoryBound: 0
; FloatMode: 240
; IeeeMode: 1
; LDSByteSize: 2304 bytes/workgroup (compile time only)
; SGPRBlocks: 3
; VGPRBlocks: 1
; NumSGPRsForWavesPerEU: 26
; NumVGPRsForWavesPerEU: 16
; Occupancy: 14
; WaveLimiterHint : 1
; COMPUTE_PGM_RSRC2:SCRATCH_EN: 0
; COMPUTE_PGM_RSRC2:USER_SGPR: 15
; COMPUTE_PGM_RSRC2:TRAP_HANDLER: 0
; COMPUTE_PGM_RSRC2:TGID_X_EN: 1
; COMPUTE_PGM_RSRC2:TGID_Y_EN: 0
; COMPUTE_PGM_RSRC2:TGID_Z_EN: 0
; COMPUTE_PGM_RSRC2:TIDIG_COMP_CNT: 0
	.section	.text._ZN9rocsparseL20bsrxmvn_17_32_kernelILj25EfllfffEEvT2_20rocsparse_direction_NS_24const_host_device_scalarIT0_EES1_PKS1_PKT1_SA_S7_PKT3_PKT4_S5_PT5_21rocsparse_index_base_b,"axG",@progbits,_ZN9rocsparseL20bsrxmvn_17_32_kernelILj25EfllfffEEvT2_20rocsparse_direction_NS_24const_host_device_scalarIT0_EES1_PKS1_PKT1_SA_S7_PKT3_PKT4_S5_PT5_21rocsparse_index_base_b,comdat
	.globl	_ZN9rocsparseL20bsrxmvn_17_32_kernelILj25EfllfffEEvT2_20rocsparse_direction_NS_24const_host_device_scalarIT0_EES1_PKS1_PKT1_SA_S7_PKT3_PKT4_S5_PT5_21rocsparse_index_base_b ; -- Begin function _ZN9rocsparseL20bsrxmvn_17_32_kernelILj25EfllfffEEvT2_20rocsparse_direction_NS_24const_host_device_scalarIT0_EES1_PKS1_PKT1_SA_S7_PKT3_PKT4_S5_PT5_21rocsparse_index_base_b
	.p2align	8
	.type	_ZN9rocsparseL20bsrxmvn_17_32_kernelILj25EfllfffEEvT2_20rocsparse_direction_NS_24const_host_device_scalarIT0_EES1_PKS1_PKT1_SA_S7_PKT3_PKT4_S5_PT5_21rocsparse_index_base_b,@function
_ZN9rocsparseL20bsrxmvn_17_32_kernelILj25EfllfffEEvT2_20rocsparse_direction_NS_24const_host_device_scalarIT0_EES1_PKS1_PKT1_SA_S7_PKT3_PKT4_S5_PT5_21rocsparse_index_base_b: ; @_ZN9rocsparseL20bsrxmvn_17_32_kernelILj25EfllfffEEvT2_20rocsparse_direction_NS_24const_host_device_scalarIT0_EES1_PKS1_PKT1_SA_S7_PKT3_PKT4_S5_PT5_21rocsparse_index_base_b
; %bb.0:
	s_clause 0x2
	s_load_b64 s[16:17], s[0:1], 0x60
	s_load_b64 s[12:13], s[0:1], 0x10
	s_load_b64 s[8:9], s[0:1], 0x50
	s_mov_b32 s10, s15
	s_waitcnt lgkmcnt(0)
	s_bitcmp1_b32 s17, 0
	s_cselect_b32 s2, -1, 0
	s_delay_alu instid0(SALU_CYCLE_1)
	s_and_b32 vcc_lo, exec_lo, s2
	s_xor_b32 s2, s2, -1
	s_cbranch_vccnz .LBB136_2
; %bb.1:
	s_load_b32 s12, s[12:13], 0x0
.LBB136_2:
	s_and_not1_b32 vcc_lo, exec_lo, s2
	s_cbranch_vccnz .LBB136_4
; %bb.3:
	s_load_b32 s8, s[8:9], 0x0
.LBB136_4:
	s_waitcnt lgkmcnt(0)
	v_cmp_neq_f32_e64 s2, s12, 0
	v_cmp_neq_f32_e64 s3, s8, 1.0
	s_mov_b32 s11, 0
	s_delay_alu instid0(VALU_DEP_1) | instskip(NEXT) | instid1(SALU_CYCLE_1)
	s_or_b32 s2, s2, s3
	s_and_not1_b32 vcc_lo, exec_lo, s2
	s_cbranch_vccnz .LBB136_42
; %bb.5:
	s_clause 0x1
	s_load_b128 s[4:7], s[0:1], 0x20
	s_load_b64 s[14:15], s[0:1], 0x30
	s_waitcnt lgkmcnt(0)
	s_cmp_eq_u64 s[4:5], 0
	s_cbranch_scc1 .LBB136_7
; %bb.6:
	s_lshl_b64 s[2:3], s[10:11], 3
	s_delay_alu instid0(SALU_CYCLE_1)
	s_add_u32 s2, s4, s2
	s_addc_u32 s3, s5, s3
	s_load_b64 s[2:3], s[2:3], 0x0
	s_waitcnt lgkmcnt(0)
	s_sub_u32 s10, s2, s16
	s_subb_u32 s11, s3, 0
.LBB136_7:
	s_load_b32 s3, s[0:1], 0x8
	v_mul_u32_u24_e32 v1, 0xa3e, v0
	v_dual_mov_b32 v2, 0 :: v_dual_lshlrev_b32 v9, 2, v0
	s_delay_alu instid0(VALU_DEP_2) | instskip(NEXT) | instid1(VALU_DEP_1)
	v_lshrrev_b32_e32 v1, 16, v1
	v_mul_lo_u16 v3, v1, 25
	s_delay_alu instid0(VALU_DEP_1)
	v_sub_nc_u16 v10, v0, v3
	s_waitcnt lgkmcnt(0)
	s_cmp_eq_u32 s3, 1
	s_cselect_b32 s2, -1, 0
	s_cmp_lg_u32 s3, 1
	s_cselect_b32 s9, -1, 0
	s_lshl_b64 s[4:5], s[10:11], 3
	s_delay_alu instid0(SALU_CYCLE_1)
	s_add_u32 s6, s6, s4
	s_addc_u32 s7, s7, s5
	s_add_u32 s3, s6, 8
	s_addc_u32 s13, s7, 0
	s_add_u32 s4, s14, s4
	s_addc_u32 s5, s15, s5
	s_cmp_eq_u64 s[14:15], 0
	s_load_b64 s[14:15], s[0:1], 0x58
	s_cselect_b32 s5, s13, s5
	s_cselect_b32 s4, s3, s4
	s_load_b64 s[18:19], s[6:7], 0x0
	s_load_b64 s[20:21], s[4:5], 0x0
	s_waitcnt lgkmcnt(0)
	v_cmp_ge_i64_e64 s3, s[18:19], s[20:21]
	s_delay_alu instid0(VALU_DEP_1)
	s_and_b32 vcc_lo, exec_lo, s3
	s_cbranch_vccnz .LBB136_12
; %bb.8:
	v_dual_mov_b32 v2, 0 :: v_dual_and_b32 v1, 0xffff, v1
	v_cmp_gt_u32_e32 vcc_lo, 0x271, v0
	s_clause 0x1
	s_load_b128 s[4:7], s[0:1], 0x38
	s_load_b64 s[22:23], s[0:1], 0x48
	s_sub_u32 s0, s20, s16
	v_subrev_nc_u32_e32 v3, 25, v1
	v_and_b32_e32 v4, 0xffff, v10
	s_subb_u32 s1, s21, 0
	s_delay_alu instid0(VALU_DEP_2) | instskip(SKIP_1) | instid1(VALU_DEP_2)
	v_cndmask_b32_e32 v1, v3, v1, vcc_lo
	v_cmp_lt_u32_e32 vcc_lo, 0x270, v0
	v_cndmask_b32_e64 v1, v4, v1, s2
	v_cndmask_b32_e64 v11, 0, 1, vcc_lo
	s_sub_u32 s2, s18, s16
	s_subb_u32 s3, s19, 0
	s_mul_hi_u32 s13, s2, 0x9c4
	v_lshlrev_b64 v[3:4], 2, v[1:2]
	v_add_co_u32 v1, s18, s18, v11
	s_delay_alu instid0(VALU_DEP_1) | instskip(SKIP_2) | instid1(VALU_DEP_3)
	v_add_co_ci_u32_e64 v6, null, s19, 0, s18
	s_mul_i32 s17, s3, 0x9c4
	s_waitcnt lgkmcnt(0)
	v_add_co_u32 v3, vcc_lo, s22, v3
	v_add_co_ci_u32_e32 v4, vcc_lo, s23, v4, vcc_lo
	v_sub_co_u32 v5, vcc_lo, v1, s16
	v_subrev_co_ci_u32_e32 v6, vcc_lo, 0, v6, vcc_lo
	v_lshlrev_b32_e32 v1, 2, v0
	s_add_i32 s13, s13, s17
	s_mul_i32 s17, s2, 0x9c4
	s_delay_alu instid0(VALU_DEP_2) | instskip(SKIP_3) | instid1(VALU_DEP_1)
	v_lshlrev_b64 v[7:8], 3, v[5:6]
	s_add_u32 s6, s6, s17
	s_addc_u32 s7, s7, s13
	v_add_co_u32 v5, s6, s6, v1
	v_add_co_ci_u32_e64 v6, null, s7, 0, s6
	s_delay_alu instid0(VALU_DEP_3)
	v_add_co_u32 v7, vcc_lo, s4, v7
	v_add_co_ci_u32_e32 v8, vcc_lo, s5, v8, vcc_lo
	s_set_inst_prefetch_distance 0x1
	s_branch .LBB136_10
	.p2align	6
.LBB136_9:                              ;   in Loop: Header=BB136_10 Depth=1
	s_or_b32 exec_lo, exec_lo, s4
	s_add_u32 s2, s2, 1
	s_addc_u32 s3, s3, 0
	v_add_co_u32 v7, vcc_lo, v7, 8
	v_cmp_lt_i64_e64 s4, s[2:3], s[0:1]
	v_add_co_ci_u32_e32 v8, vcc_lo, 0, v8, vcc_lo
	s_delay_alu instid0(VALU_DEP_2)
	s_and_b32 vcc_lo, exec_lo, s4
	s_cbranch_vccz .LBB136_12
.LBB136_10:                             ; =>This Inner Loop Header: Depth=1
	v_add_co_u32 v12, s4, v11, s2
	s_delay_alu instid0(VALU_DEP_1) | instskip(SKIP_1) | instid1(VALU_DEP_1)
	v_add_co_ci_u32_e64 v13, null, 0, s3, s4
	s_mov_b32 s4, exec_lo
	v_cmpx_gt_i64_e64 s[0:1], v[12:13]
	s_cbranch_execz .LBB136_9
; %bb.11:                               ;   in Loop: Header=BB136_10 Depth=1
	global_load_b64 v[12:13], v[7:8], off
	s_waitcnt vmcnt(0)
	v_sub_co_u32 v1, vcc_lo, v12, s16
	v_subrev_co_ci_u32_e32 v15, vcc_lo, 0, v13, vcc_lo
	s_delay_alu instid0(VALU_DEP_2) | instskip(NEXT) | instid1(VALU_DEP_1)
	v_mad_u64_u32 v[12:13], null, 0x64, v1, v[3:4]
	v_mov_b32_e32 v1, v13
	s_delay_alu instid0(VALU_DEP_1)
	v_mad_u64_u32 v[13:14], null, 0x64, v15, v[1:2]
	global_load_b32 v1, v[5:6], off
	global_load_b32 v12, v[12:13], off
	v_add_co_u32 v5, vcc_lo, 0x9c4, v5
	v_add_co_ci_u32_e32 v6, vcc_lo, 0, v6, vcc_lo
	s_waitcnt vmcnt(0)
	v_fmac_f32_e32 v2, v1, v12
	s_branch .LBB136_9
.LBB136_12:
	s_set_inst_prefetch_distance 0x2
	s_and_b32 vcc_lo, exec_lo, s9
	ds_store_b32 v9, v2
	s_waitcnt lgkmcnt(0)
	s_barrier
	buffer_gl0_inv
	s_cbranch_vccz .LBB136_24
; %bb.13:
	s_mov_b32 s0, exec_lo
	v_cmpx_gt_u16_e32 9, v10
	s_cbranch_execz .LBB136_15
; %bb.14:
	ds_load_2addr_b32 v[3:4], v9 offset1:16
	s_waitcnt lgkmcnt(0)
	v_add_f32_e32 v1, v4, v3
	ds_store_b32 v9, v1
.LBB136_15:
	s_or_b32 exec_lo, exec_lo, s0
	s_delay_alu instid0(SALU_CYCLE_1)
	s_mov_b32 s0, exec_lo
	s_waitcnt lgkmcnt(0)
	s_barrier
	buffer_gl0_inv
	v_cmpx_gt_u16_e32 8, v10
	s_cbranch_execz .LBB136_17
; %bb.16:
	ds_load_2addr_b32 v[3:4], v9 offset1:8
	s_waitcnt lgkmcnt(0)
	v_add_f32_e32 v1, v4, v3
	ds_store_b32 v9, v1
.LBB136_17:
	s_or_b32 exec_lo, exec_lo, s0
	s_delay_alu instid0(SALU_CYCLE_1)
	s_mov_b32 s0, exec_lo
	s_waitcnt lgkmcnt(0)
	s_barrier
	buffer_gl0_inv
	v_cmpx_gt_u16_e32 4, v10
	s_cbranch_execz .LBB136_19
; %bb.18:
	ds_load_2addr_b32 v[3:4], v9 offset1:4
	s_waitcnt lgkmcnt(0)
	v_add_f32_e32 v1, v4, v3
	ds_store_b32 v9, v1
.LBB136_19:
	s_or_b32 exec_lo, exec_lo, s0
	s_delay_alu instid0(SALU_CYCLE_1)
	s_mov_b32 s0, exec_lo
	s_waitcnt lgkmcnt(0)
	s_barrier
	buffer_gl0_inv
	v_cmpx_gt_u16_e32 2, v10
	s_cbranch_execz .LBB136_21
; %bb.20:
	ds_load_2addr_b32 v[3:4], v9 offset1:2
	s_waitcnt lgkmcnt(0)
	v_add_f32_e32 v1, v4, v3
	ds_store_b32 v9, v1
.LBB136_21:
	s_or_b32 exec_lo, exec_lo, s0
	s_mov_b32 s1, 0
	s_mov_b32 s0, 0
	s_mov_b32 s2, exec_lo
	s_waitcnt lgkmcnt(0)
	s_barrier
	buffer_gl0_inv
                                        ; implicit-def: $vgpr1
                                        ; implicit-def: $vgpr3
	v_cmpx_gt_u32_e32 25, v0
	s_xor_b32 s2, exec_lo, s2
; %bb.22:
	v_mad_u32_u24 v1, v0, 25, 1
	v_mad_u32_u24 v3, 0x60, v0, v9
	s_mov_b32 s0, exec_lo
; %bb.23:
	s_or_b32 exec_lo, exec_lo, s2
	s_delay_alu instid0(SALU_CYCLE_1)
	s_and_b32 vcc_lo, exec_lo, s1
	s_cbranch_vccnz .LBB136_25
	s_branch .LBB136_36
.LBB136_24:
	s_mov_b32 s0, 0
                                        ; implicit-def: $vgpr1
                                        ; implicit-def: $vgpr3
	s_cbranch_execz .LBB136_36
.LBB136_25:
	s_mov_b32 s1, exec_lo
	v_cmpx_gt_u32_e32 0xe1, v0
	s_cbranch_execz .LBB136_27
; %bb.26:
	ds_load_b32 v1, v9 offset:1600
	ds_load_b32 v3, v9
	s_waitcnt lgkmcnt(0)
	v_add_f32_e32 v1, v1, v3
	ds_store_b32 v9, v1
.LBB136_27:
	s_or_b32 exec_lo, exec_lo, s1
	s_delay_alu instid0(SALU_CYCLE_1)
	s_mov_b32 s1, exec_lo
	s_waitcnt lgkmcnt(0)
	s_barrier
	buffer_gl0_inv
	v_cmpx_gt_u32_e32 0xc8, v0
	s_cbranch_execz .LBB136_29
; %bb.28:
	ds_load_2addr_b32 v[3:4], v9 offset1:200
	s_waitcnt lgkmcnt(0)
	v_add_f32_e32 v1, v4, v3
	ds_store_b32 v9, v1
.LBB136_29:
	s_or_b32 exec_lo, exec_lo, s1
	s_delay_alu instid0(SALU_CYCLE_1)
	s_mov_b32 s1, exec_lo
	s_waitcnt lgkmcnt(0)
	s_barrier
	buffer_gl0_inv
	v_cmpx_gt_u32_e32 0x64, v0
	s_cbranch_execz .LBB136_31
; %bb.30:
	ds_load_2addr_b32 v[3:4], v9 offset1:100
	s_waitcnt lgkmcnt(0)
	v_add_f32_e32 v1, v4, v3
	ds_store_b32 v9, v1
.LBB136_31:
	;; [unrolled: 14-line block ×3, first 2 shown]
	s_or_b32 exec_lo, exec_lo, s1
	s_delay_alu instid0(SALU_CYCLE_1)
	s_mov_b32 s1, exec_lo
	s_waitcnt lgkmcnt(0)
	buffer_gl0_inv
                                        ; implicit-def: $vgpr1
	v_cmpx_gt_u32_e32 25, v0
; %bb.34:
	v_add_nc_u32_e32 v1, 25, v0
	s_or_b32 s0, s0, exec_lo
                                        ; implicit-def: $vgpr2
; %bb.35:
	s_or_b32 exec_lo, exec_lo, s1
	v_mov_b32_e32 v3, v9
.LBB136_36:
	s_and_saveexec_b32 s1, s0
	s_cbranch_execz .LBB136_38
; %bb.37:
	v_lshlrev_b32_e32 v1, 2, v1
	ds_load_b32 v2, v3
	ds_load_b32 v1, v1
	s_waitcnt lgkmcnt(0)
	v_add_f32_e32 v2, v2, v1
.LBB136_38:
	s_or_b32 exec_lo, exec_lo, s1
	s_delay_alu instid0(SALU_CYCLE_1)
	s_mov_b32 s0, exec_lo
	v_cmpx_gt_u32_e32 25, v0
	s_cbranch_execz .LBB136_42
; %bb.39:
	v_cmp_eq_f32_e64 s1, s8, 0
	v_mul_f32_e32 v1, s12, v2
	s_mov_b32 s3, 0
	s_mul_i32 s0, s11, 0x64
	s_mul_i32 s2, s10, 0x64
	s_and_b32 vcc_lo, exec_lo, s1
	s_mul_hi_u32 s1, s10, 0x64
	s_cbranch_vccz .LBB136_43
; %bb.40:
	v_lshlrev_b32_e32 v2, 2, v0
	s_add_i32 s5, s1, s0
	s_add_u32 s4, s14, s2
	s_addc_u32 s5, s15, s5
	global_store_b32 v2, v1, s[4:5]
	s_and_not1_b32 vcc_lo, exec_lo, s3
	s_cbranch_vccnz .LBB136_42
.LBB136_41:
	v_lshlrev_b32_e32 v0, 2, v0
	s_add_i32 s1, s1, s0
	s_add_u32 s0, s14, s2
	s_addc_u32 s1, s15, s1
	global_load_b32 v2, v0, s[0:1]
	s_waitcnt vmcnt(0)
	v_fmac_f32_e32 v1, s8, v2
	global_store_b32 v0, v1, s[0:1]
.LBB136_42:
	s_nop 0
	s_sendmsg sendmsg(MSG_DEALLOC_VGPRS)
	s_endpgm
.LBB136_43:
	s_branch .LBB136_41
	.section	.rodata,"a",@progbits
	.p2align	6, 0x0
	.amdhsa_kernel _ZN9rocsparseL20bsrxmvn_17_32_kernelILj25EfllfffEEvT2_20rocsparse_direction_NS_24const_host_device_scalarIT0_EES1_PKS1_PKT1_SA_S7_PKT3_PKT4_S5_PT5_21rocsparse_index_base_b
		.amdhsa_group_segment_fixed_size 2500
		.amdhsa_private_segment_fixed_size 0
		.amdhsa_kernarg_size 104
		.amdhsa_user_sgpr_count 15
		.amdhsa_user_sgpr_dispatch_ptr 0
		.amdhsa_user_sgpr_queue_ptr 0
		.amdhsa_user_sgpr_kernarg_segment_ptr 1
		.amdhsa_user_sgpr_dispatch_id 0
		.amdhsa_user_sgpr_private_segment_size 0
		.amdhsa_wavefront_size32 1
		.amdhsa_uses_dynamic_stack 0
		.amdhsa_enable_private_segment 0
		.amdhsa_system_sgpr_workgroup_id_x 1
		.amdhsa_system_sgpr_workgroup_id_y 0
		.amdhsa_system_sgpr_workgroup_id_z 0
		.amdhsa_system_sgpr_workgroup_info 0
		.amdhsa_system_vgpr_workitem_id 0
		.amdhsa_next_free_vgpr 16
		.amdhsa_next_free_sgpr 24
		.amdhsa_reserve_vcc 1
		.amdhsa_float_round_mode_32 0
		.amdhsa_float_round_mode_16_64 0
		.amdhsa_float_denorm_mode_32 3
		.amdhsa_float_denorm_mode_16_64 3
		.amdhsa_dx10_clamp 1
		.amdhsa_ieee_mode 1
		.amdhsa_fp16_overflow 0
		.amdhsa_workgroup_processor_mode 1
		.amdhsa_memory_ordered 1
		.amdhsa_forward_progress 0
		.amdhsa_shared_vgpr_count 0
		.amdhsa_exception_fp_ieee_invalid_op 0
		.amdhsa_exception_fp_denorm_src 0
		.amdhsa_exception_fp_ieee_div_zero 0
		.amdhsa_exception_fp_ieee_overflow 0
		.amdhsa_exception_fp_ieee_underflow 0
		.amdhsa_exception_fp_ieee_inexact 0
		.amdhsa_exception_int_div_zero 0
	.end_amdhsa_kernel
	.section	.text._ZN9rocsparseL20bsrxmvn_17_32_kernelILj25EfllfffEEvT2_20rocsparse_direction_NS_24const_host_device_scalarIT0_EES1_PKS1_PKT1_SA_S7_PKT3_PKT4_S5_PT5_21rocsparse_index_base_b,"axG",@progbits,_ZN9rocsparseL20bsrxmvn_17_32_kernelILj25EfllfffEEvT2_20rocsparse_direction_NS_24const_host_device_scalarIT0_EES1_PKS1_PKT1_SA_S7_PKT3_PKT4_S5_PT5_21rocsparse_index_base_b,comdat
.Lfunc_end136:
	.size	_ZN9rocsparseL20bsrxmvn_17_32_kernelILj25EfllfffEEvT2_20rocsparse_direction_NS_24const_host_device_scalarIT0_EES1_PKS1_PKT1_SA_S7_PKT3_PKT4_S5_PT5_21rocsparse_index_base_b, .Lfunc_end136-_ZN9rocsparseL20bsrxmvn_17_32_kernelILj25EfllfffEEvT2_20rocsparse_direction_NS_24const_host_device_scalarIT0_EES1_PKS1_PKT1_SA_S7_PKT3_PKT4_S5_PT5_21rocsparse_index_base_b
                                        ; -- End function
	.section	.AMDGPU.csdata,"",@progbits
; Kernel info:
; codeLenInByte = 1604
; NumSgprs: 26
; NumVgprs: 16
; ScratchSize: 0
; MemoryBound: 0
; FloatMode: 240
; IeeeMode: 1
; LDSByteSize: 2500 bytes/workgroup (compile time only)
; SGPRBlocks: 3
; VGPRBlocks: 1
; NumSGPRsForWavesPerEU: 26
; NumVGPRsForWavesPerEU: 16
; Occupancy: 15
; WaveLimiterHint : 1
; COMPUTE_PGM_RSRC2:SCRATCH_EN: 0
; COMPUTE_PGM_RSRC2:USER_SGPR: 15
; COMPUTE_PGM_RSRC2:TRAP_HANDLER: 0
; COMPUTE_PGM_RSRC2:TGID_X_EN: 1
; COMPUTE_PGM_RSRC2:TGID_Y_EN: 0
; COMPUTE_PGM_RSRC2:TGID_Z_EN: 0
; COMPUTE_PGM_RSRC2:TIDIG_COMP_CNT: 0
	.section	.text._ZN9rocsparseL20bsrxmvn_17_32_kernelILj26EfllfffEEvT2_20rocsparse_direction_NS_24const_host_device_scalarIT0_EES1_PKS1_PKT1_SA_S7_PKT3_PKT4_S5_PT5_21rocsparse_index_base_b,"axG",@progbits,_ZN9rocsparseL20bsrxmvn_17_32_kernelILj26EfllfffEEvT2_20rocsparse_direction_NS_24const_host_device_scalarIT0_EES1_PKS1_PKT1_SA_S7_PKT3_PKT4_S5_PT5_21rocsparse_index_base_b,comdat
	.globl	_ZN9rocsparseL20bsrxmvn_17_32_kernelILj26EfllfffEEvT2_20rocsparse_direction_NS_24const_host_device_scalarIT0_EES1_PKS1_PKT1_SA_S7_PKT3_PKT4_S5_PT5_21rocsparse_index_base_b ; -- Begin function _ZN9rocsparseL20bsrxmvn_17_32_kernelILj26EfllfffEEvT2_20rocsparse_direction_NS_24const_host_device_scalarIT0_EES1_PKS1_PKT1_SA_S7_PKT3_PKT4_S5_PT5_21rocsparse_index_base_b
	.p2align	8
	.type	_ZN9rocsparseL20bsrxmvn_17_32_kernelILj26EfllfffEEvT2_20rocsparse_direction_NS_24const_host_device_scalarIT0_EES1_PKS1_PKT1_SA_S7_PKT3_PKT4_S5_PT5_21rocsparse_index_base_b,@function
_ZN9rocsparseL20bsrxmvn_17_32_kernelILj26EfllfffEEvT2_20rocsparse_direction_NS_24const_host_device_scalarIT0_EES1_PKS1_PKT1_SA_S7_PKT3_PKT4_S5_PT5_21rocsparse_index_base_b: ; @_ZN9rocsparseL20bsrxmvn_17_32_kernelILj26EfllfffEEvT2_20rocsparse_direction_NS_24const_host_device_scalarIT0_EES1_PKS1_PKT1_SA_S7_PKT3_PKT4_S5_PT5_21rocsparse_index_base_b
; %bb.0:
	s_clause 0x2
	s_load_b64 s[16:17], s[0:1], 0x60
	s_load_b64 s[12:13], s[0:1], 0x10
	;; [unrolled: 1-line block ×3, first 2 shown]
	s_mov_b32 s10, s15
	s_waitcnt lgkmcnt(0)
	s_bitcmp1_b32 s17, 0
	s_cselect_b32 s2, -1, 0
	s_delay_alu instid0(SALU_CYCLE_1)
	s_and_b32 vcc_lo, exec_lo, s2
	s_xor_b32 s2, s2, -1
	s_cbranch_vccnz .LBB137_2
; %bb.1:
	s_load_b32 s12, s[12:13], 0x0
.LBB137_2:
	s_and_not1_b32 vcc_lo, exec_lo, s2
	s_cbranch_vccnz .LBB137_4
; %bb.3:
	s_load_b32 s8, s[8:9], 0x0
.LBB137_4:
	s_waitcnt lgkmcnt(0)
	v_cmp_neq_f32_e64 s2, s12, 0
	v_cmp_neq_f32_e64 s3, s8, 1.0
	s_mov_b32 s11, 0
	s_delay_alu instid0(VALU_DEP_1) | instskip(NEXT) | instid1(SALU_CYCLE_1)
	s_or_b32 s2, s2, s3
	s_and_not1_b32 vcc_lo, exec_lo, s2
	s_cbranch_vccnz .LBB137_42
; %bb.5:
	s_clause 0x1
	s_load_b128 s[4:7], s[0:1], 0x20
	s_load_b64 s[14:15], s[0:1], 0x30
	s_waitcnt lgkmcnt(0)
	s_cmp_eq_u64 s[4:5], 0
	s_cbranch_scc1 .LBB137_7
; %bb.6:
	s_lshl_b64 s[2:3], s[10:11], 3
	s_delay_alu instid0(SALU_CYCLE_1)
	s_add_u32 s2, s4, s2
	s_addc_u32 s3, s5, s3
	s_load_b64 s[2:3], s[2:3], 0x0
	s_waitcnt lgkmcnt(0)
	s_sub_u32 s10, s2, s16
	s_subb_u32 s11, s3, 0
.LBB137_7:
	s_load_b32 s3, s[0:1], 0x8
	v_mul_u32_u24_e32 v1, 0x9d9, v0
	v_dual_mov_b32 v2, 0 :: v_dual_lshlrev_b32 v9, 2, v0
	s_delay_alu instid0(VALU_DEP_2) | instskip(NEXT) | instid1(VALU_DEP_1)
	v_lshrrev_b32_e32 v1, 16, v1
	v_mul_lo_u16 v3, v1, 26
	s_delay_alu instid0(VALU_DEP_1)
	v_sub_nc_u16 v10, v0, v3
	s_waitcnt lgkmcnt(0)
	s_cmp_eq_u32 s3, 1
	s_cselect_b32 s2, -1, 0
	s_cmp_lg_u32 s3, 1
	s_cselect_b32 s9, -1, 0
	s_lshl_b64 s[4:5], s[10:11], 3
	s_delay_alu instid0(SALU_CYCLE_1)
	s_add_u32 s6, s6, s4
	s_addc_u32 s7, s7, s5
	s_add_u32 s3, s6, 8
	s_addc_u32 s13, s7, 0
	;; [unrolled: 2-line block ×3, first 2 shown]
	s_cmp_eq_u64 s[14:15], 0
	s_load_b64 s[14:15], s[0:1], 0x58
	s_cselect_b32 s5, s13, s5
	s_cselect_b32 s4, s3, s4
	s_load_b64 s[18:19], s[6:7], 0x0
	s_load_b64 s[20:21], s[4:5], 0x0
	s_waitcnt lgkmcnt(0)
	v_cmp_ge_i64_e64 s3, s[18:19], s[20:21]
	s_delay_alu instid0(VALU_DEP_1)
	s_and_b32 vcc_lo, exec_lo, s3
	s_cbranch_vccnz .LBB137_12
; %bb.8:
	v_dual_mov_b32 v2, 0 :: v_dual_and_b32 v1, 0xffff, v1
	v_cmp_gt_u32_e32 vcc_lo, 0x2a4, v0
	s_clause 0x1
	s_load_b128 s[4:7], s[0:1], 0x38
	s_load_b64 s[22:23], s[0:1], 0x48
	s_sub_u32 s0, s20, s16
	v_subrev_nc_u32_e32 v3, 26, v1
	v_and_b32_e32 v4, 0xffff, v10
	s_subb_u32 s1, s21, 0
	s_delay_alu instid0(VALU_DEP_2) | instskip(SKIP_1) | instid1(VALU_DEP_2)
	v_cndmask_b32_e32 v1, v3, v1, vcc_lo
	v_cmp_lt_u32_e32 vcc_lo, 0x2a3, v0
	v_cndmask_b32_e64 v1, v4, v1, s2
	v_cndmask_b32_e64 v11, 0, 1, vcc_lo
	s_sub_u32 s2, s18, s16
	s_subb_u32 s3, s19, 0
	s_mul_hi_u32 s13, s2, 0xa90
	v_lshlrev_b64 v[3:4], 2, v[1:2]
	v_add_co_u32 v1, s18, s18, v11
	s_delay_alu instid0(VALU_DEP_1) | instskip(SKIP_2) | instid1(VALU_DEP_3)
	v_add_co_ci_u32_e64 v6, null, s19, 0, s18
	s_mul_i32 s17, s3, 0xa90
	s_waitcnt lgkmcnt(0)
	v_add_co_u32 v3, vcc_lo, s22, v3
	v_add_co_ci_u32_e32 v4, vcc_lo, s23, v4, vcc_lo
	v_sub_co_u32 v5, vcc_lo, v1, s16
	v_subrev_co_ci_u32_e32 v6, vcc_lo, 0, v6, vcc_lo
	v_lshlrev_b32_e32 v1, 2, v0
	s_add_i32 s13, s13, s17
	s_mul_i32 s17, s2, 0xa90
	s_delay_alu instid0(VALU_DEP_2) | instskip(SKIP_3) | instid1(VALU_DEP_1)
	v_lshlrev_b64 v[7:8], 3, v[5:6]
	s_add_u32 s6, s6, s17
	s_addc_u32 s7, s7, s13
	v_add_co_u32 v5, s6, s6, v1
	v_add_co_ci_u32_e64 v6, null, s7, 0, s6
	s_delay_alu instid0(VALU_DEP_3)
	v_add_co_u32 v7, vcc_lo, s4, v7
	v_add_co_ci_u32_e32 v8, vcc_lo, s5, v8, vcc_lo
	s_set_inst_prefetch_distance 0x1
	s_branch .LBB137_10
	.p2align	6
.LBB137_9:                              ;   in Loop: Header=BB137_10 Depth=1
	s_or_b32 exec_lo, exec_lo, s4
	s_add_u32 s2, s2, 1
	s_addc_u32 s3, s3, 0
	v_add_co_u32 v7, vcc_lo, v7, 8
	v_cmp_lt_i64_e64 s4, s[2:3], s[0:1]
	v_add_co_ci_u32_e32 v8, vcc_lo, 0, v8, vcc_lo
	s_delay_alu instid0(VALU_DEP_2)
	s_and_b32 vcc_lo, exec_lo, s4
	s_cbranch_vccz .LBB137_12
.LBB137_10:                             ; =>This Inner Loop Header: Depth=1
	v_add_co_u32 v12, s4, v11, s2
	s_delay_alu instid0(VALU_DEP_1) | instskip(SKIP_1) | instid1(VALU_DEP_1)
	v_add_co_ci_u32_e64 v13, null, 0, s3, s4
	s_mov_b32 s4, exec_lo
	v_cmpx_gt_i64_e64 s[0:1], v[12:13]
	s_cbranch_execz .LBB137_9
; %bb.11:                               ;   in Loop: Header=BB137_10 Depth=1
	global_load_b64 v[12:13], v[7:8], off
	s_waitcnt vmcnt(0)
	v_sub_co_u32 v1, vcc_lo, v12, s16
	v_subrev_co_ci_u32_e32 v15, vcc_lo, 0, v13, vcc_lo
	s_delay_alu instid0(VALU_DEP_2) | instskip(NEXT) | instid1(VALU_DEP_1)
	v_mad_u64_u32 v[12:13], null, 0x68, v1, v[3:4]
	v_mov_b32_e32 v1, v13
	s_delay_alu instid0(VALU_DEP_1)
	v_mad_u64_u32 v[13:14], null, 0x68, v15, v[1:2]
	global_load_b32 v1, v[5:6], off
	global_load_b32 v12, v[12:13], off
	v_add_co_u32 v5, vcc_lo, 0xa90, v5
	v_add_co_ci_u32_e32 v6, vcc_lo, 0, v6, vcc_lo
	s_waitcnt vmcnt(0)
	v_fmac_f32_e32 v2, v1, v12
	s_branch .LBB137_9
.LBB137_12:
	s_set_inst_prefetch_distance 0x2
	s_and_b32 vcc_lo, exec_lo, s9
	ds_store_b32 v9, v2
	s_waitcnt lgkmcnt(0)
	s_barrier
	buffer_gl0_inv
	s_cbranch_vccz .LBB137_24
; %bb.13:
	s_mov_b32 s0, exec_lo
	v_cmpx_gt_u16_e32 10, v10
	s_cbranch_execz .LBB137_15
; %bb.14:
	ds_load_2addr_b32 v[3:4], v9 offset1:16
	s_waitcnt lgkmcnt(0)
	v_add_f32_e32 v1, v4, v3
	ds_store_b32 v9, v1
.LBB137_15:
	s_or_b32 exec_lo, exec_lo, s0
	s_delay_alu instid0(SALU_CYCLE_1)
	s_mov_b32 s0, exec_lo
	s_waitcnt lgkmcnt(0)
	s_barrier
	buffer_gl0_inv
	v_cmpx_gt_u16_e32 8, v10
	s_cbranch_execz .LBB137_17
; %bb.16:
	ds_load_2addr_b32 v[3:4], v9 offset1:8
	s_waitcnt lgkmcnt(0)
	v_add_f32_e32 v1, v4, v3
	ds_store_b32 v9, v1
.LBB137_17:
	s_or_b32 exec_lo, exec_lo, s0
	s_delay_alu instid0(SALU_CYCLE_1)
	s_mov_b32 s0, exec_lo
	s_waitcnt lgkmcnt(0)
	s_barrier
	buffer_gl0_inv
	;; [unrolled: 14-line block ×3, first 2 shown]
	v_cmpx_gt_u16_e32 2, v10
	s_cbranch_execz .LBB137_21
; %bb.20:
	ds_load_2addr_b32 v[3:4], v9 offset1:2
	s_waitcnt lgkmcnt(0)
	v_add_f32_e32 v1, v4, v3
	ds_store_b32 v9, v1
.LBB137_21:
	s_or_b32 exec_lo, exec_lo, s0
	s_mov_b32 s1, 0
	s_mov_b32 s0, 0
	s_mov_b32 s2, exec_lo
	s_waitcnt lgkmcnt(0)
	s_barrier
	buffer_gl0_inv
                                        ; implicit-def: $vgpr1
                                        ; implicit-def: $vgpr3
	v_cmpx_gt_u32_e32 26, v0
	s_xor_b32 s2, exec_lo, s2
; %bb.22:
	v_mul_u32_u24_e32 v1, 26, v0
	v_mad_u32_u24 v3, 0x64, v0, v9
	s_mov_b32 s0, exec_lo
	s_delay_alu instid0(VALU_DEP_2)
	v_or_b32_e32 v1, 1, v1
; %bb.23:
	s_or_b32 exec_lo, exec_lo, s2
	s_delay_alu instid0(SALU_CYCLE_1)
	s_and_b32 vcc_lo, exec_lo, s1
	s_cbranch_vccnz .LBB137_25
	s_branch .LBB137_36
.LBB137_24:
	s_mov_b32 s0, 0
                                        ; implicit-def: $vgpr1
                                        ; implicit-def: $vgpr3
	s_cbranch_execz .LBB137_36
.LBB137_25:
	s_mov_b32 s1, exec_lo
	v_cmpx_gt_u32_e32 0x104, v0
	s_cbranch_execz .LBB137_27
; %bb.26:
	ds_load_b32 v1, v9 offset:1664
	ds_load_b32 v3, v9
	s_waitcnt lgkmcnt(0)
	v_add_f32_e32 v1, v1, v3
	ds_store_b32 v9, v1
.LBB137_27:
	s_or_b32 exec_lo, exec_lo, s1
	s_delay_alu instid0(SALU_CYCLE_1)
	s_mov_b32 s1, exec_lo
	s_waitcnt lgkmcnt(0)
	s_barrier
	buffer_gl0_inv
	v_cmpx_gt_u32_e32 0xd0, v0
	s_cbranch_execz .LBB137_29
; %bb.28:
	ds_load_2addr_b32 v[3:4], v9 offset1:208
	s_waitcnt lgkmcnt(0)
	v_add_f32_e32 v1, v4, v3
	ds_store_b32 v9, v1
.LBB137_29:
	s_or_b32 exec_lo, exec_lo, s1
	s_delay_alu instid0(SALU_CYCLE_1)
	s_mov_b32 s1, exec_lo
	s_waitcnt lgkmcnt(0)
	s_barrier
	buffer_gl0_inv
	v_cmpx_gt_u32_e32 0x68, v0
	s_cbranch_execz .LBB137_31
; %bb.30:
	ds_load_2addr_b32 v[3:4], v9 offset1:104
	s_waitcnt lgkmcnt(0)
	v_add_f32_e32 v1, v4, v3
	ds_store_b32 v9, v1
.LBB137_31:
	;; [unrolled: 14-line block ×3, first 2 shown]
	s_or_b32 exec_lo, exec_lo, s1
	s_delay_alu instid0(SALU_CYCLE_1)
	s_mov_b32 s1, exec_lo
	s_waitcnt lgkmcnt(0)
	buffer_gl0_inv
                                        ; implicit-def: $vgpr1
	v_cmpx_gt_u32_e32 26, v0
; %bb.34:
	v_add_nc_u32_e32 v1, 26, v0
	s_or_b32 s0, s0, exec_lo
                                        ; implicit-def: $vgpr2
; %bb.35:
	s_or_b32 exec_lo, exec_lo, s1
	v_mov_b32_e32 v3, v9
.LBB137_36:
	s_and_saveexec_b32 s1, s0
	s_cbranch_execz .LBB137_38
; %bb.37:
	v_lshlrev_b32_e32 v1, 2, v1
	ds_load_b32 v2, v3
	ds_load_b32 v1, v1
	s_waitcnt lgkmcnt(0)
	v_add_f32_e32 v2, v2, v1
.LBB137_38:
	s_or_b32 exec_lo, exec_lo, s1
	s_delay_alu instid0(SALU_CYCLE_1)
	s_mov_b32 s0, exec_lo
	v_cmpx_gt_u32_e32 26, v0
	s_cbranch_execz .LBB137_42
; %bb.39:
	v_cmp_eq_f32_e64 s1, s8, 0
	v_mul_f32_e32 v1, s12, v2
	s_mov_b32 s3, 0
	s_mul_i32 s0, s11, 0x68
	s_mul_i32 s2, s10, 0x68
	s_and_b32 vcc_lo, exec_lo, s1
	s_mul_hi_u32 s1, s10, 0x68
	s_cbranch_vccz .LBB137_43
; %bb.40:
	v_lshlrev_b32_e32 v2, 2, v0
	s_add_i32 s5, s1, s0
	s_add_u32 s4, s14, s2
	s_addc_u32 s5, s15, s5
	global_store_b32 v2, v1, s[4:5]
	s_and_not1_b32 vcc_lo, exec_lo, s3
	s_cbranch_vccnz .LBB137_42
.LBB137_41:
	v_lshlrev_b32_e32 v0, 2, v0
	s_add_i32 s1, s1, s0
	s_add_u32 s0, s14, s2
	s_addc_u32 s1, s15, s1
	global_load_b32 v2, v0, s[0:1]
	s_waitcnt vmcnt(0)
	v_fmac_f32_e32 v1, s8, v2
	global_store_b32 v0, v1, s[0:1]
.LBB137_42:
	s_nop 0
	s_sendmsg sendmsg(MSG_DEALLOC_VGPRS)
	s_endpgm
.LBB137_43:
	s_branch .LBB137_41
	.section	.rodata,"a",@progbits
	.p2align	6, 0x0
	.amdhsa_kernel _ZN9rocsparseL20bsrxmvn_17_32_kernelILj26EfllfffEEvT2_20rocsparse_direction_NS_24const_host_device_scalarIT0_EES1_PKS1_PKT1_SA_S7_PKT3_PKT4_S5_PT5_21rocsparse_index_base_b
		.amdhsa_group_segment_fixed_size 2704
		.amdhsa_private_segment_fixed_size 0
		.amdhsa_kernarg_size 104
		.amdhsa_user_sgpr_count 15
		.amdhsa_user_sgpr_dispatch_ptr 0
		.amdhsa_user_sgpr_queue_ptr 0
		.amdhsa_user_sgpr_kernarg_segment_ptr 1
		.amdhsa_user_sgpr_dispatch_id 0
		.amdhsa_user_sgpr_private_segment_size 0
		.amdhsa_wavefront_size32 1
		.amdhsa_uses_dynamic_stack 0
		.amdhsa_enable_private_segment 0
		.amdhsa_system_sgpr_workgroup_id_x 1
		.amdhsa_system_sgpr_workgroup_id_y 0
		.amdhsa_system_sgpr_workgroup_id_z 0
		.amdhsa_system_sgpr_workgroup_info 0
		.amdhsa_system_vgpr_workitem_id 0
		.amdhsa_next_free_vgpr 16
		.amdhsa_next_free_sgpr 24
		.amdhsa_reserve_vcc 1
		.amdhsa_float_round_mode_32 0
		.amdhsa_float_round_mode_16_64 0
		.amdhsa_float_denorm_mode_32 3
		.amdhsa_float_denorm_mode_16_64 3
		.amdhsa_dx10_clamp 1
		.amdhsa_ieee_mode 1
		.amdhsa_fp16_overflow 0
		.amdhsa_workgroup_processor_mode 1
		.amdhsa_memory_ordered 1
		.amdhsa_forward_progress 0
		.amdhsa_shared_vgpr_count 0
		.amdhsa_exception_fp_ieee_invalid_op 0
		.amdhsa_exception_fp_denorm_src 0
		.amdhsa_exception_fp_ieee_div_zero 0
		.amdhsa_exception_fp_ieee_overflow 0
		.amdhsa_exception_fp_ieee_underflow 0
		.amdhsa_exception_fp_ieee_inexact 0
		.amdhsa_exception_int_div_zero 0
	.end_amdhsa_kernel
	.section	.text._ZN9rocsparseL20bsrxmvn_17_32_kernelILj26EfllfffEEvT2_20rocsparse_direction_NS_24const_host_device_scalarIT0_EES1_PKS1_PKT1_SA_S7_PKT3_PKT4_S5_PT5_21rocsparse_index_base_b,"axG",@progbits,_ZN9rocsparseL20bsrxmvn_17_32_kernelILj26EfllfffEEvT2_20rocsparse_direction_NS_24const_host_device_scalarIT0_EES1_PKS1_PKT1_SA_S7_PKT3_PKT4_S5_PT5_21rocsparse_index_base_b,comdat
.Lfunc_end137:
	.size	_ZN9rocsparseL20bsrxmvn_17_32_kernelILj26EfllfffEEvT2_20rocsparse_direction_NS_24const_host_device_scalarIT0_EES1_PKS1_PKT1_SA_S7_PKT3_PKT4_S5_PT5_21rocsparse_index_base_b, .Lfunc_end137-_ZN9rocsparseL20bsrxmvn_17_32_kernelILj26EfllfffEEvT2_20rocsparse_direction_NS_24const_host_device_scalarIT0_EES1_PKS1_PKT1_SA_S7_PKT3_PKT4_S5_PT5_21rocsparse_index_base_b
                                        ; -- End function
	.section	.AMDGPU.csdata,"",@progbits
; Kernel info:
; codeLenInByte = 1608
; NumSgprs: 26
; NumVgprs: 16
; ScratchSize: 0
; MemoryBound: 0
; FloatMode: 240
; IeeeMode: 1
; LDSByteSize: 2704 bytes/workgroup (compile time only)
; SGPRBlocks: 3
; VGPRBlocks: 1
; NumSGPRsForWavesPerEU: 26
; NumVGPRsForWavesPerEU: 16
; Occupancy: 11
; WaveLimiterHint : 1
; COMPUTE_PGM_RSRC2:SCRATCH_EN: 0
; COMPUTE_PGM_RSRC2:USER_SGPR: 15
; COMPUTE_PGM_RSRC2:TRAP_HANDLER: 0
; COMPUTE_PGM_RSRC2:TGID_X_EN: 1
; COMPUTE_PGM_RSRC2:TGID_Y_EN: 0
; COMPUTE_PGM_RSRC2:TGID_Z_EN: 0
; COMPUTE_PGM_RSRC2:TIDIG_COMP_CNT: 0
	.section	.text._ZN9rocsparseL20bsrxmvn_17_32_kernelILj27EfllfffEEvT2_20rocsparse_direction_NS_24const_host_device_scalarIT0_EES1_PKS1_PKT1_SA_S7_PKT3_PKT4_S5_PT5_21rocsparse_index_base_b,"axG",@progbits,_ZN9rocsparseL20bsrxmvn_17_32_kernelILj27EfllfffEEvT2_20rocsparse_direction_NS_24const_host_device_scalarIT0_EES1_PKS1_PKT1_SA_S7_PKT3_PKT4_S5_PT5_21rocsparse_index_base_b,comdat
	.globl	_ZN9rocsparseL20bsrxmvn_17_32_kernelILj27EfllfffEEvT2_20rocsparse_direction_NS_24const_host_device_scalarIT0_EES1_PKS1_PKT1_SA_S7_PKT3_PKT4_S5_PT5_21rocsparse_index_base_b ; -- Begin function _ZN9rocsparseL20bsrxmvn_17_32_kernelILj27EfllfffEEvT2_20rocsparse_direction_NS_24const_host_device_scalarIT0_EES1_PKS1_PKT1_SA_S7_PKT3_PKT4_S5_PT5_21rocsparse_index_base_b
	.p2align	8
	.type	_ZN9rocsparseL20bsrxmvn_17_32_kernelILj27EfllfffEEvT2_20rocsparse_direction_NS_24const_host_device_scalarIT0_EES1_PKS1_PKT1_SA_S7_PKT3_PKT4_S5_PT5_21rocsparse_index_base_b,@function
_ZN9rocsparseL20bsrxmvn_17_32_kernelILj27EfllfffEEvT2_20rocsparse_direction_NS_24const_host_device_scalarIT0_EES1_PKS1_PKT1_SA_S7_PKT3_PKT4_S5_PT5_21rocsparse_index_base_b: ; @_ZN9rocsparseL20bsrxmvn_17_32_kernelILj27EfllfffEEvT2_20rocsparse_direction_NS_24const_host_device_scalarIT0_EES1_PKS1_PKT1_SA_S7_PKT3_PKT4_S5_PT5_21rocsparse_index_base_b
; %bb.0:
	s_clause 0x2
	s_load_b64 s[16:17], s[0:1], 0x60
	s_load_b64 s[12:13], s[0:1], 0x10
	;; [unrolled: 1-line block ×3, first 2 shown]
	s_mov_b32 s10, s15
	s_waitcnt lgkmcnt(0)
	s_bitcmp1_b32 s17, 0
	s_cselect_b32 s2, -1, 0
	s_delay_alu instid0(SALU_CYCLE_1)
	s_and_b32 vcc_lo, exec_lo, s2
	s_xor_b32 s2, s2, -1
	s_cbranch_vccnz .LBB138_2
; %bb.1:
	s_load_b32 s12, s[12:13], 0x0
.LBB138_2:
	s_and_not1_b32 vcc_lo, exec_lo, s2
	s_cbranch_vccnz .LBB138_4
; %bb.3:
	s_load_b32 s8, s[8:9], 0x0
.LBB138_4:
	s_waitcnt lgkmcnt(0)
	v_cmp_neq_f32_e64 s2, s12, 0
	v_cmp_neq_f32_e64 s3, s8, 1.0
	s_mov_b32 s11, 0
	s_delay_alu instid0(VALU_DEP_1) | instskip(NEXT) | instid1(SALU_CYCLE_1)
	s_or_b32 s2, s2, s3
	s_and_not1_b32 vcc_lo, exec_lo, s2
	s_cbranch_vccnz .LBB138_42
; %bb.5:
	s_clause 0x1
	s_load_b128 s[4:7], s[0:1], 0x20
	s_load_b64 s[14:15], s[0:1], 0x30
	s_waitcnt lgkmcnt(0)
	s_cmp_eq_u64 s[4:5], 0
	s_cbranch_scc1 .LBB138_7
; %bb.6:
	s_lshl_b64 s[2:3], s[10:11], 3
	s_delay_alu instid0(SALU_CYCLE_1)
	s_add_u32 s2, s4, s2
	s_addc_u32 s3, s5, s3
	s_load_b64 s[2:3], s[2:3], 0x0
	s_waitcnt lgkmcnt(0)
	s_sub_u32 s10, s2, s16
	s_subb_u32 s11, s3, 0
.LBB138_7:
	s_load_b32 s3, s[0:1], 0x8
	v_mul_u32_u24_e32 v1, 0x97c, v0
	v_dual_mov_b32 v2, 0 :: v_dual_lshlrev_b32 v9, 2, v0
	s_delay_alu instid0(VALU_DEP_2) | instskip(NEXT) | instid1(VALU_DEP_1)
	v_lshrrev_b32_e32 v1, 16, v1
	v_mul_lo_u16 v3, v1, 27
	s_delay_alu instid0(VALU_DEP_1)
	v_sub_nc_u16 v10, v0, v3
	s_waitcnt lgkmcnt(0)
	s_cmp_eq_u32 s3, 1
	s_cselect_b32 s2, -1, 0
	s_cmp_lg_u32 s3, 1
	s_cselect_b32 s9, -1, 0
	s_lshl_b64 s[4:5], s[10:11], 3
	s_delay_alu instid0(SALU_CYCLE_1)
	s_add_u32 s6, s6, s4
	s_addc_u32 s7, s7, s5
	s_add_u32 s3, s6, 8
	s_addc_u32 s13, s7, 0
	;; [unrolled: 2-line block ×3, first 2 shown]
	s_cmp_eq_u64 s[14:15], 0
	s_load_b64 s[14:15], s[0:1], 0x58
	s_cselect_b32 s5, s13, s5
	s_cselect_b32 s4, s3, s4
	s_load_b64 s[18:19], s[6:7], 0x0
	s_load_b64 s[20:21], s[4:5], 0x0
	s_waitcnt lgkmcnt(0)
	v_cmp_ge_i64_e64 s3, s[18:19], s[20:21]
	s_delay_alu instid0(VALU_DEP_1)
	s_and_b32 vcc_lo, exec_lo, s3
	s_cbranch_vccnz .LBB138_12
; %bb.8:
	v_dual_mov_b32 v2, 0 :: v_dual_and_b32 v1, 0xffff, v1
	v_cmp_gt_u32_e32 vcc_lo, 0x2d9, v0
	s_clause 0x1
	s_load_b128 s[4:7], s[0:1], 0x38
	s_load_b64 s[22:23], s[0:1], 0x48
	s_sub_u32 s0, s20, s16
	v_subrev_nc_u32_e32 v3, 27, v1
	v_and_b32_e32 v4, 0xffff, v10
	s_subb_u32 s1, s21, 0
	s_delay_alu instid0(VALU_DEP_2) | instskip(SKIP_1) | instid1(VALU_DEP_2)
	v_cndmask_b32_e32 v1, v3, v1, vcc_lo
	v_cmp_lt_u32_e32 vcc_lo, 0x2d8, v0
	v_cndmask_b32_e64 v1, v4, v1, s2
	v_cndmask_b32_e64 v11, 0, 1, vcc_lo
	s_sub_u32 s2, s18, s16
	s_subb_u32 s3, s19, 0
	s_mul_hi_u32 s13, s2, 0xb64
	v_lshlrev_b64 v[3:4], 2, v[1:2]
	v_add_co_u32 v1, s18, s18, v11
	s_delay_alu instid0(VALU_DEP_1) | instskip(SKIP_2) | instid1(VALU_DEP_3)
	v_add_co_ci_u32_e64 v6, null, s19, 0, s18
	s_mul_i32 s17, s3, 0xb64
	s_waitcnt lgkmcnt(0)
	v_add_co_u32 v3, vcc_lo, s22, v3
	v_add_co_ci_u32_e32 v4, vcc_lo, s23, v4, vcc_lo
	v_sub_co_u32 v5, vcc_lo, v1, s16
	v_subrev_co_ci_u32_e32 v6, vcc_lo, 0, v6, vcc_lo
	v_lshlrev_b32_e32 v1, 2, v0
	s_add_i32 s13, s13, s17
	s_mul_i32 s17, s2, 0xb64
	s_delay_alu instid0(VALU_DEP_2) | instskip(SKIP_3) | instid1(VALU_DEP_1)
	v_lshlrev_b64 v[7:8], 3, v[5:6]
	s_add_u32 s6, s6, s17
	s_addc_u32 s7, s7, s13
	v_add_co_u32 v5, s6, s6, v1
	v_add_co_ci_u32_e64 v6, null, s7, 0, s6
	s_delay_alu instid0(VALU_DEP_3)
	v_add_co_u32 v7, vcc_lo, s4, v7
	v_add_co_ci_u32_e32 v8, vcc_lo, s5, v8, vcc_lo
	s_set_inst_prefetch_distance 0x1
	s_branch .LBB138_10
	.p2align	6
.LBB138_9:                              ;   in Loop: Header=BB138_10 Depth=1
	s_or_b32 exec_lo, exec_lo, s4
	s_add_u32 s2, s2, 1
	s_addc_u32 s3, s3, 0
	v_add_co_u32 v7, vcc_lo, v7, 8
	v_cmp_lt_i64_e64 s4, s[2:3], s[0:1]
	v_add_co_ci_u32_e32 v8, vcc_lo, 0, v8, vcc_lo
	s_delay_alu instid0(VALU_DEP_2)
	s_and_b32 vcc_lo, exec_lo, s4
	s_cbranch_vccz .LBB138_12
.LBB138_10:                             ; =>This Inner Loop Header: Depth=1
	v_add_co_u32 v12, s4, v11, s2
	s_delay_alu instid0(VALU_DEP_1) | instskip(SKIP_1) | instid1(VALU_DEP_1)
	v_add_co_ci_u32_e64 v13, null, 0, s3, s4
	s_mov_b32 s4, exec_lo
	v_cmpx_gt_i64_e64 s[0:1], v[12:13]
	s_cbranch_execz .LBB138_9
; %bb.11:                               ;   in Loop: Header=BB138_10 Depth=1
	global_load_b64 v[12:13], v[7:8], off
	s_waitcnt vmcnt(0)
	v_sub_co_u32 v1, vcc_lo, v12, s16
	v_subrev_co_ci_u32_e32 v15, vcc_lo, 0, v13, vcc_lo
	s_delay_alu instid0(VALU_DEP_2) | instskip(NEXT) | instid1(VALU_DEP_1)
	v_mad_u64_u32 v[12:13], null, 0x6c, v1, v[3:4]
	v_mov_b32_e32 v1, v13
	s_delay_alu instid0(VALU_DEP_1)
	v_mad_u64_u32 v[13:14], null, 0x6c, v15, v[1:2]
	global_load_b32 v1, v[5:6], off
	global_load_b32 v12, v[12:13], off
	v_add_co_u32 v5, vcc_lo, 0xb64, v5
	v_add_co_ci_u32_e32 v6, vcc_lo, 0, v6, vcc_lo
	s_waitcnt vmcnt(0)
	v_fmac_f32_e32 v2, v1, v12
	s_branch .LBB138_9
.LBB138_12:
	s_set_inst_prefetch_distance 0x2
	s_and_b32 vcc_lo, exec_lo, s9
	ds_store_b32 v9, v2
	s_waitcnt lgkmcnt(0)
	s_barrier
	buffer_gl0_inv
	s_cbranch_vccz .LBB138_24
; %bb.13:
	s_mov_b32 s0, exec_lo
	v_cmpx_gt_u16_e32 11, v10
	s_cbranch_execz .LBB138_15
; %bb.14:
	ds_load_2addr_b32 v[3:4], v9 offset1:16
	s_waitcnt lgkmcnt(0)
	v_add_f32_e32 v1, v4, v3
	ds_store_b32 v9, v1
.LBB138_15:
	s_or_b32 exec_lo, exec_lo, s0
	s_delay_alu instid0(SALU_CYCLE_1)
	s_mov_b32 s0, exec_lo
	s_waitcnt lgkmcnt(0)
	s_barrier
	buffer_gl0_inv
	v_cmpx_gt_u16_e32 8, v10
	s_cbranch_execz .LBB138_17
; %bb.16:
	ds_load_2addr_b32 v[3:4], v9 offset1:8
	s_waitcnt lgkmcnt(0)
	v_add_f32_e32 v1, v4, v3
	ds_store_b32 v9, v1
.LBB138_17:
	s_or_b32 exec_lo, exec_lo, s0
	s_delay_alu instid0(SALU_CYCLE_1)
	s_mov_b32 s0, exec_lo
	s_waitcnt lgkmcnt(0)
	s_barrier
	buffer_gl0_inv
	;; [unrolled: 14-line block ×3, first 2 shown]
	v_cmpx_gt_u16_e32 2, v10
	s_cbranch_execz .LBB138_21
; %bb.20:
	ds_load_2addr_b32 v[3:4], v9 offset1:2
	s_waitcnt lgkmcnt(0)
	v_add_f32_e32 v1, v4, v3
	ds_store_b32 v9, v1
.LBB138_21:
	s_or_b32 exec_lo, exec_lo, s0
	s_mov_b32 s1, 0
	s_mov_b32 s0, 0
	s_mov_b32 s2, exec_lo
	s_waitcnt lgkmcnt(0)
	s_barrier
	buffer_gl0_inv
                                        ; implicit-def: $vgpr1
                                        ; implicit-def: $vgpr3
	v_cmpx_gt_u32_e32 27, v0
	s_xor_b32 s2, exec_lo, s2
; %bb.22:
	v_mad_u32_u24 v1, v0, 27, 1
	v_mad_u32_u24 v3, 0x68, v0, v9
	s_mov_b32 s0, exec_lo
; %bb.23:
	s_or_b32 exec_lo, exec_lo, s2
	s_delay_alu instid0(SALU_CYCLE_1)
	s_and_b32 vcc_lo, exec_lo, s1
	s_cbranch_vccnz .LBB138_25
	s_branch .LBB138_36
.LBB138_24:
	s_mov_b32 s0, 0
                                        ; implicit-def: $vgpr1
                                        ; implicit-def: $vgpr3
	s_cbranch_execz .LBB138_36
.LBB138_25:
	s_mov_b32 s1, exec_lo
	v_cmpx_gt_u32_e32 0x129, v0
	s_cbranch_execz .LBB138_27
; %bb.26:
	ds_load_b32 v1, v9 offset:1728
	ds_load_b32 v3, v9
	s_waitcnt lgkmcnt(0)
	v_add_f32_e32 v1, v1, v3
	ds_store_b32 v9, v1
.LBB138_27:
	s_or_b32 exec_lo, exec_lo, s1
	s_delay_alu instid0(SALU_CYCLE_1)
	s_mov_b32 s1, exec_lo
	s_waitcnt lgkmcnt(0)
	s_barrier
	buffer_gl0_inv
	v_cmpx_gt_u32_e32 0xd8, v0
	s_cbranch_execz .LBB138_29
; %bb.28:
	ds_load_2addr_b32 v[3:4], v9 offset1:216
	s_waitcnt lgkmcnt(0)
	v_add_f32_e32 v1, v4, v3
	ds_store_b32 v9, v1
.LBB138_29:
	s_or_b32 exec_lo, exec_lo, s1
	s_delay_alu instid0(SALU_CYCLE_1)
	s_mov_b32 s1, exec_lo
	s_waitcnt lgkmcnt(0)
	s_barrier
	buffer_gl0_inv
	v_cmpx_gt_u32_e32 0x6c, v0
	s_cbranch_execz .LBB138_31
; %bb.30:
	ds_load_2addr_b32 v[3:4], v9 offset1:108
	s_waitcnt lgkmcnt(0)
	v_add_f32_e32 v1, v4, v3
	ds_store_b32 v9, v1
.LBB138_31:
	s_or_b32 exec_lo, exec_lo, s1
	s_delay_alu instid0(SALU_CYCLE_1)
	s_mov_b32 s1, exec_lo
	s_waitcnt lgkmcnt(0)
	s_barrier
	buffer_gl0_inv
	v_cmpx_gt_u32_e32 54, v0
	s_cbranch_execz .LBB138_33
; %bb.32:
	ds_load_2addr_b32 v[3:4], v9 offset1:54
	s_waitcnt lgkmcnt(0)
	v_add_f32_e32 v1, v4, v3
	ds_store_b32 v9, v1
.LBB138_33:
	s_or_b32 exec_lo, exec_lo, s1
	s_delay_alu instid0(SALU_CYCLE_1)
	s_mov_b32 s1, exec_lo
	s_waitcnt lgkmcnt(0)
	buffer_gl0_inv
                                        ; implicit-def: $vgpr1
	v_cmpx_gt_u32_e32 27, v0
; %bb.34:
	v_add_nc_u32_e32 v1, 27, v0
	s_or_b32 s0, s0, exec_lo
                                        ; implicit-def: $vgpr2
; %bb.35:
	s_or_b32 exec_lo, exec_lo, s1
	v_mov_b32_e32 v3, v9
.LBB138_36:
	s_and_saveexec_b32 s1, s0
	s_cbranch_execz .LBB138_38
; %bb.37:
	v_lshlrev_b32_e32 v1, 2, v1
	ds_load_b32 v2, v3
	ds_load_b32 v1, v1
	s_waitcnt lgkmcnt(0)
	v_add_f32_e32 v2, v2, v1
.LBB138_38:
	s_or_b32 exec_lo, exec_lo, s1
	s_delay_alu instid0(SALU_CYCLE_1)
	s_mov_b32 s0, exec_lo
	v_cmpx_gt_u32_e32 27, v0
	s_cbranch_execz .LBB138_42
; %bb.39:
	v_cmp_eq_f32_e64 s1, s8, 0
	v_mul_f32_e32 v1, s12, v2
	s_mov_b32 s3, 0
	s_mul_i32 s0, s11, 0x6c
	s_mul_i32 s2, s10, 0x6c
	s_and_b32 vcc_lo, exec_lo, s1
	s_mul_hi_u32 s1, s10, 0x6c
	s_cbranch_vccz .LBB138_43
; %bb.40:
	v_lshlrev_b32_e32 v2, 2, v0
	s_add_i32 s5, s1, s0
	s_add_u32 s4, s14, s2
	s_addc_u32 s5, s15, s5
	global_store_b32 v2, v1, s[4:5]
	s_and_not1_b32 vcc_lo, exec_lo, s3
	s_cbranch_vccnz .LBB138_42
.LBB138_41:
	v_lshlrev_b32_e32 v0, 2, v0
	s_add_i32 s1, s1, s0
	s_add_u32 s0, s14, s2
	s_addc_u32 s1, s15, s1
	global_load_b32 v2, v0, s[0:1]
	s_waitcnt vmcnt(0)
	v_fmac_f32_e32 v1, s8, v2
	global_store_b32 v0, v1, s[0:1]
.LBB138_42:
	s_nop 0
	s_sendmsg sendmsg(MSG_DEALLOC_VGPRS)
	s_endpgm
.LBB138_43:
	s_branch .LBB138_41
	.section	.rodata,"a",@progbits
	.p2align	6, 0x0
	.amdhsa_kernel _ZN9rocsparseL20bsrxmvn_17_32_kernelILj27EfllfffEEvT2_20rocsparse_direction_NS_24const_host_device_scalarIT0_EES1_PKS1_PKT1_SA_S7_PKT3_PKT4_S5_PT5_21rocsparse_index_base_b
		.amdhsa_group_segment_fixed_size 2916
		.amdhsa_private_segment_fixed_size 0
		.amdhsa_kernarg_size 104
		.amdhsa_user_sgpr_count 15
		.amdhsa_user_sgpr_dispatch_ptr 0
		.amdhsa_user_sgpr_queue_ptr 0
		.amdhsa_user_sgpr_kernarg_segment_ptr 1
		.amdhsa_user_sgpr_dispatch_id 0
		.amdhsa_user_sgpr_private_segment_size 0
		.amdhsa_wavefront_size32 1
		.amdhsa_uses_dynamic_stack 0
		.amdhsa_enable_private_segment 0
		.amdhsa_system_sgpr_workgroup_id_x 1
		.amdhsa_system_sgpr_workgroup_id_y 0
		.amdhsa_system_sgpr_workgroup_id_z 0
		.amdhsa_system_sgpr_workgroup_info 0
		.amdhsa_system_vgpr_workitem_id 0
		.amdhsa_next_free_vgpr 16
		.amdhsa_next_free_sgpr 24
		.amdhsa_reserve_vcc 1
		.amdhsa_float_round_mode_32 0
		.amdhsa_float_round_mode_16_64 0
		.amdhsa_float_denorm_mode_32 3
		.amdhsa_float_denorm_mode_16_64 3
		.amdhsa_dx10_clamp 1
		.amdhsa_ieee_mode 1
		.amdhsa_fp16_overflow 0
		.amdhsa_workgroup_processor_mode 1
		.amdhsa_memory_ordered 1
		.amdhsa_forward_progress 0
		.amdhsa_shared_vgpr_count 0
		.amdhsa_exception_fp_ieee_invalid_op 0
		.amdhsa_exception_fp_denorm_src 0
		.amdhsa_exception_fp_ieee_div_zero 0
		.amdhsa_exception_fp_ieee_overflow 0
		.amdhsa_exception_fp_ieee_underflow 0
		.amdhsa_exception_fp_ieee_inexact 0
		.amdhsa_exception_int_div_zero 0
	.end_amdhsa_kernel
	.section	.text._ZN9rocsparseL20bsrxmvn_17_32_kernelILj27EfllfffEEvT2_20rocsparse_direction_NS_24const_host_device_scalarIT0_EES1_PKS1_PKT1_SA_S7_PKT3_PKT4_S5_PT5_21rocsparse_index_base_b,"axG",@progbits,_ZN9rocsparseL20bsrxmvn_17_32_kernelILj27EfllfffEEvT2_20rocsparse_direction_NS_24const_host_device_scalarIT0_EES1_PKS1_PKT1_SA_S7_PKT3_PKT4_S5_PT5_21rocsparse_index_base_b,comdat
.Lfunc_end138:
	.size	_ZN9rocsparseL20bsrxmvn_17_32_kernelILj27EfllfffEEvT2_20rocsparse_direction_NS_24const_host_device_scalarIT0_EES1_PKS1_PKT1_SA_S7_PKT3_PKT4_S5_PT5_21rocsparse_index_base_b, .Lfunc_end138-_ZN9rocsparseL20bsrxmvn_17_32_kernelILj27EfllfffEEvT2_20rocsparse_direction_NS_24const_host_device_scalarIT0_EES1_PKS1_PKT1_SA_S7_PKT3_PKT4_S5_PT5_21rocsparse_index_base_b
                                        ; -- End function
	.section	.AMDGPU.csdata,"",@progbits
; Kernel info:
; codeLenInByte = 1604
; NumSgprs: 26
; NumVgprs: 16
; ScratchSize: 0
; MemoryBound: 0
; FloatMode: 240
; IeeeMode: 1
; LDSByteSize: 2916 bytes/workgroup (compile time only)
; SGPRBlocks: 3
; VGPRBlocks: 1
; NumSGPRsForWavesPerEU: 26
; NumVGPRsForWavesPerEU: 16
; Occupancy: 12
; WaveLimiterHint : 1
; COMPUTE_PGM_RSRC2:SCRATCH_EN: 0
; COMPUTE_PGM_RSRC2:USER_SGPR: 15
; COMPUTE_PGM_RSRC2:TRAP_HANDLER: 0
; COMPUTE_PGM_RSRC2:TGID_X_EN: 1
; COMPUTE_PGM_RSRC2:TGID_Y_EN: 0
; COMPUTE_PGM_RSRC2:TGID_Z_EN: 0
; COMPUTE_PGM_RSRC2:TIDIG_COMP_CNT: 0
	.section	.text._ZN9rocsparseL20bsrxmvn_17_32_kernelILj28EfllfffEEvT2_20rocsparse_direction_NS_24const_host_device_scalarIT0_EES1_PKS1_PKT1_SA_S7_PKT3_PKT4_S5_PT5_21rocsparse_index_base_b,"axG",@progbits,_ZN9rocsparseL20bsrxmvn_17_32_kernelILj28EfllfffEEvT2_20rocsparse_direction_NS_24const_host_device_scalarIT0_EES1_PKS1_PKT1_SA_S7_PKT3_PKT4_S5_PT5_21rocsparse_index_base_b,comdat
	.globl	_ZN9rocsparseL20bsrxmvn_17_32_kernelILj28EfllfffEEvT2_20rocsparse_direction_NS_24const_host_device_scalarIT0_EES1_PKS1_PKT1_SA_S7_PKT3_PKT4_S5_PT5_21rocsparse_index_base_b ; -- Begin function _ZN9rocsparseL20bsrxmvn_17_32_kernelILj28EfllfffEEvT2_20rocsparse_direction_NS_24const_host_device_scalarIT0_EES1_PKS1_PKT1_SA_S7_PKT3_PKT4_S5_PT5_21rocsparse_index_base_b
	.p2align	8
	.type	_ZN9rocsparseL20bsrxmvn_17_32_kernelILj28EfllfffEEvT2_20rocsparse_direction_NS_24const_host_device_scalarIT0_EES1_PKS1_PKT1_SA_S7_PKT3_PKT4_S5_PT5_21rocsparse_index_base_b,@function
_ZN9rocsparseL20bsrxmvn_17_32_kernelILj28EfllfffEEvT2_20rocsparse_direction_NS_24const_host_device_scalarIT0_EES1_PKS1_PKT1_SA_S7_PKT3_PKT4_S5_PT5_21rocsparse_index_base_b: ; @_ZN9rocsparseL20bsrxmvn_17_32_kernelILj28EfllfffEEvT2_20rocsparse_direction_NS_24const_host_device_scalarIT0_EES1_PKS1_PKT1_SA_S7_PKT3_PKT4_S5_PT5_21rocsparse_index_base_b
; %bb.0:
	s_clause 0x2
	s_load_b64 s[16:17], s[0:1], 0x60
	s_load_b64 s[12:13], s[0:1], 0x10
	;; [unrolled: 1-line block ×3, first 2 shown]
	s_mov_b32 s10, s15
	s_waitcnt lgkmcnt(0)
	s_bitcmp1_b32 s17, 0
	s_cselect_b32 s2, -1, 0
	s_delay_alu instid0(SALU_CYCLE_1)
	s_and_b32 vcc_lo, exec_lo, s2
	s_xor_b32 s2, s2, -1
	s_cbranch_vccnz .LBB139_2
; %bb.1:
	s_load_b32 s12, s[12:13], 0x0
.LBB139_2:
	s_and_not1_b32 vcc_lo, exec_lo, s2
	s_cbranch_vccnz .LBB139_4
; %bb.3:
	s_load_b32 s8, s[8:9], 0x0
.LBB139_4:
	s_waitcnt lgkmcnt(0)
	v_cmp_neq_f32_e64 s2, s12, 0
	v_cmp_neq_f32_e64 s3, s8, 1.0
	s_mov_b32 s11, 0
	s_delay_alu instid0(VALU_DEP_1) | instskip(NEXT) | instid1(SALU_CYCLE_1)
	s_or_b32 s2, s2, s3
	s_and_not1_b32 vcc_lo, exec_lo, s2
	s_cbranch_vccnz .LBB139_42
; %bb.5:
	s_clause 0x1
	s_load_b128 s[4:7], s[0:1], 0x20
	s_load_b64 s[14:15], s[0:1], 0x30
	s_waitcnt lgkmcnt(0)
	s_cmp_eq_u64 s[4:5], 0
	s_cbranch_scc1 .LBB139_7
; %bb.6:
	s_lshl_b64 s[2:3], s[10:11], 3
	s_delay_alu instid0(SALU_CYCLE_1)
	s_add_u32 s2, s4, s2
	s_addc_u32 s3, s5, s3
	s_load_b64 s[2:3], s[2:3], 0x0
	s_waitcnt lgkmcnt(0)
	s_sub_u32 s10, s2, s16
	s_subb_u32 s11, s3, 0
.LBB139_7:
	s_load_b32 s3, s[0:1], 0x8
	v_mul_u32_u24_e32 v1, 0x925, v0
	v_dual_mov_b32 v2, 0 :: v_dual_lshlrev_b32 v9, 2, v0
	s_delay_alu instid0(VALU_DEP_2) | instskip(NEXT) | instid1(VALU_DEP_1)
	v_lshrrev_b32_e32 v1, 16, v1
	v_mul_lo_u16 v3, v1, 28
	s_delay_alu instid0(VALU_DEP_1)
	v_sub_nc_u16 v10, v0, v3
	s_waitcnt lgkmcnt(0)
	s_cmp_eq_u32 s3, 1
	s_cselect_b32 s2, -1, 0
	s_cmp_lg_u32 s3, 1
	s_cselect_b32 s9, -1, 0
	s_lshl_b64 s[4:5], s[10:11], 3
	s_delay_alu instid0(SALU_CYCLE_1)
	s_add_u32 s6, s6, s4
	s_addc_u32 s7, s7, s5
	s_add_u32 s3, s6, 8
	s_addc_u32 s13, s7, 0
	;; [unrolled: 2-line block ×3, first 2 shown]
	s_cmp_eq_u64 s[14:15], 0
	s_load_b64 s[14:15], s[0:1], 0x58
	s_cselect_b32 s5, s13, s5
	s_cselect_b32 s4, s3, s4
	s_load_b64 s[18:19], s[6:7], 0x0
	s_load_b64 s[20:21], s[4:5], 0x0
	s_waitcnt lgkmcnt(0)
	v_cmp_ge_i64_e64 s3, s[18:19], s[20:21]
	s_delay_alu instid0(VALU_DEP_1)
	s_and_b32 vcc_lo, exec_lo, s3
	s_cbranch_vccnz .LBB139_12
; %bb.8:
	v_dual_mov_b32 v2, 0 :: v_dual_and_b32 v1, 0xffff, v1
	v_cmp_gt_u32_e32 vcc_lo, 0x310, v0
	s_clause 0x1
	s_load_b128 s[4:7], s[0:1], 0x38
	s_load_b64 s[22:23], s[0:1], 0x48
	s_sub_u32 s0, s20, s16
	v_subrev_nc_u32_e32 v3, 28, v1
	v_and_b32_e32 v4, 0xffff, v10
	s_subb_u32 s1, s21, 0
	s_delay_alu instid0(VALU_DEP_2) | instskip(SKIP_1) | instid1(VALU_DEP_2)
	v_cndmask_b32_e32 v1, v3, v1, vcc_lo
	v_cmp_lt_u32_e32 vcc_lo, 0x30f, v0
	v_cndmask_b32_e64 v1, v4, v1, s2
	v_cndmask_b32_e64 v11, 0, 1, vcc_lo
	s_sub_u32 s2, s18, s16
	s_subb_u32 s3, s19, 0
	s_mul_hi_u32 s13, s2, 0xc40
	v_lshlrev_b64 v[3:4], 2, v[1:2]
	v_add_co_u32 v1, s18, s18, v11
	s_delay_alu instid0(VALU_DEP_1) | instskip(SKIP_2) | instid1(VALU_DEP_3)
	v_add_co_ci_u32_e64 v6, null, s19, 0, s18
	s_mul_i32 s17, s3, 0xc40
	s_waitcnt lgkmcnt(0)
	v_add_co_u32 v3, vcc_lo, s22, v3
	v_add_co_ci_u32_e32 v4, vcc_lo, s23, v4, vcc_lo
	v_sub_co_u32 v5, vcc_lo, v1, s16
	v_subrev_co_ci_u32_e32 v6, vcc_lo, 0, v6, vcc_lo
	v_lshlrev_b32_e32 v1, 2, v0
	s_add_i32 s13, s13, s17
	s_mul_i32 s17, s2, 0xc40
	s_delay_alu instid0(VALU_DEP_2) | instskip(SKIP_3) | instid1(VALU_DEP_1)
	v_lshlrev_b64 v[7:8], 3, v[5:6]
	s_add_u32 s6, s6, s17
	s_addc_u32 s7, s7, s13
	v_add_co_u32 v5, s6, s6, v1
	v_add_co_ci_u32_e64 v6, null, s7, 0, s6
	s_delay_alu instid0(VALU_DEP_3)
	v_add_co_u32 v7, vcc_lo, s4, v7
	v_add_co_ci_u32_e32 v8, vcc_lo, s5, v8, vcc_lo
	s_set_inst_prefetch_distance 0x1
	s_branch .LBB139_10
	.p2align	6
.LBB139_9:                              ;   in Loop: Header=BB139_10 Depth=1
	s_or_b32 exec_lo, exec_lo, s4
	s_add_u32 s2, s2, 1
	s_addc_u32 s3, s3, 0
	v_add_co_u32 v7, vcc_lo, v7, 8
	v_cmp_lt_i64_e64 s4, s[2:3], s[0:1]
	v_add_co_ci_u32_e32 v8, vcc_lo, 0, v8, vcc_lo
	s_delay_alu instid0(VALU_DEP_2)
	s_and_b32 vcc_lo, exec_lo, s4
	s_cbranch_vccz .LBB139_12
.LBB139_10:                             ; =>This Inner Loop Header: Depth=1
	v_add_co_u32 v12, s4, v11, s2
	s_delay_alu instid0(VALU_DEP_1) | instskip(SKIP_1) | instid1(VALU_DEP_1)
	v_add_co_ci_u32_e64 v13, null, 0, s3, s4
	s_mov_b32 s4, exec_lo
	v_cmpx_gt_i64_e64 s[0:1], v[12:13]
	s_cbranch_execz .LBB139_9
; %bb.11:                               ;   in Loop: Header=BB139_10 Depth=1
	global_load_b64 v[12:13], v[7:8], off
	s_waitcnt vmcnt(0)
	v_sub_co_u32 v1, vcc_lo, v12, s16
	v_subrev_co_ci_u32_e32 v15, vcc_lo, 0, v13, vcc_lo
	s_delay_alu instid0(VALU_DEP_2) | instskip(NEXT) | instid1(VALU_DEP_1)
	v_mad_u64_u32 v[12:13], null, 0x70, v1, v[3:4]
	v_mov_b32_e32 v1, v13
	s_delay_alu instid0(VALU_DEP_1)
	v_mad_u64_u32 v[13:14], null, 0x70, v15, v[1:2]
	global_load_b32 v1, v[5:6], off
	global_load_b32 v12, v[12:13], off
	v_add_co_u32 v5, vcc_lo, 0xc40, v5
	v_add_co_ci_u32_e32 v6, vcc_lo, 0, v6, vcc_lo
	s_waitcnt vmcnt(0)
	v_fmac_f32_e32 v2, v1, v12
	s_branch .LBB139_9
.LBB139_12:
	s_set_inst_prefetch_distance 0x2
	s_and_b32 vcc_lo, exec_lo, s9
	ds_store_b32 v9, v2
	s_waitcnt lgkmcnt(0)
	s_barrier
	buffer_gl0_inv
	s_cbranch_vccz .LBB139_24
; %bb.13:
	s_mov_b32 s0, exec_lo
	v_cmpx_gt_u16_e32 12, v10
	s_cbranch_execz .LBB139_15
; %bb.14:
	ds_load_2addr_b32 v[3:4], v9 offset1:16
	s_waitcnt lgkmcnt(0)
	v_add_f32_e32 v1, v4, v3
	ds_store_b32 v9, v1
.LBB139_15:
	s_or_b32 exec_lo, exec_lo, s0
	s_delay_alu instid0(SALU_CYCLE_1)
	s_mov_b32 s0, exec_lo
	s_waitcnt lgkmcnt(0)
	s_barrier
	buffer_gl0_inv
	v_cmpx_gt_u16_e32 8, v10
	s_cbranch_execz .LBB139_17
; %bb.16:
	ds_load_2addr_b32 v[3:4], v9 offset1:8
	s_waitcnt lgkmcnt(0)
	v_add_f32_e32 v1, v4, v3
	ds_store_b32 v9, v1
.LBB139_17:
	s_or_b32 exec_lo, exec_lo, s0
	s_delay_alu instid0(SALU_CYCLE_1)
	s_mov_b32 s0, exec_lo
	s_waitcnt lgkmcnt(0)
	s_barrier
	buffer_gl0_inv
	;; [unrolled: 14-line block ×3, first 2 shown]
	v_cmpx_gt_u16_e32 2, v10
	s_cbranch_execz .LBB139_21
; %bb.20:
	ds_load_2addr_b32 v[3:4], v9 offset1:2
	s_waitcnt lgkmcnt(0)
	v_add_f32_e32 v1, v4, v3
	ds_store_b32 v9, v1
.LBB139_21:
	s_or_b32 exec_lo, exec_lo, s0
	s_mov_b32 s1, 0
	s_mov_b32 s0, 0
	s_mov_b32 s2, exec_lo
	s_waitcnt lgkmcnt(0)
	s_barrier
	buffer_gl0_inv
                                        ; implicit-def: $vgpr1
                                        ; implicit-def: $vgpr3
	v_cmpx_gt_u32_e32 28, v0
	s_xor_b32 s2, exec_lo, s2
; %bb.22:
	v_mul_u32_u24_e32 v1, 28, v0
	v_mad_u32_u24 v3, 0x6c, v0, v9
	s_mov_b32 s0, exec_lo
	s_delay_alu instid0(VALU_DEP_2)
	v_or_b32_e32 v1, 1, v1
; %bb.23:
	s_or_b32 exec_lo, exec_lo, s2
	s_delay_alu instid0(SALU_CYCLE_1)
	s_and_b32 vcc_lo, exec_lo, s1
	s_cbranch_vccnz .LBB139_25
	s_branch .LBB139_36
.LBB139_24:
	s_mov_b32 s0, 0
                                        ; implicit-def: $vgpr1
                                        ; implicit-def: $vgpr3
	s_cbranch_execz .LBB139_36
.LBB139_25:
	s_mov_b32 s1, exec_lo
	v_cmpx_gt_u32_e32 0x150, v0
	s_cbranch_execz .LBB139_27
; %bb.26:
	ds_load_2addr_stride64_b32 v[3:4], v9 offset1:7
	s_waitcnt lgkmcnt(0)
	v_add_f32_e32 v1, v4, v3
	ds_store_b32 v9, v1
.LBB139_27:
	s_or_b32 exec_lo, exec_lo, s1
	s_delay_alu instid0(SALU_CYCLE_1)
	s_mov_b32 s1, exec_lo
	s_waitcnt lgkmcnt(0)
	s_barrier
	buffer_gl0_inv
	v_cmpx_gt_u32_e32 0xe0, v0
	s_cbranch_execz .LBB139_29
; %bb.28:
	ds_load_2addr_b32 v[3:4], v9 offset1:224
	s_waitcnt lgkmcnt(0)
	v_add_f32_e32 v1, v4, v3
	ds_store_b32 v9, v1
.LBB139_29:
	s_or_b32 exec_lo, exec_lo, s1
	s_delay_alu instid0(SALU_CYCLE_1)
	s_mov_b32 s1, exec_lo
	s_waitcnt lgkmcnt(0)
	s_barrier
	buffer_gl0_inv
	v_cmpx_gt_u32_e32 0x70, v0
	s_cbranch_execz .LBB139_31
; %bb.30:
	ds_load_2addr_b32 v[3:4], v9 offset1:112
	s_waitcnt lgkmcnt(0)
	v_add_f32_e32 v1, v4, v3
	ds_store_b32 v9, v1
.LBB139_31:
	;; [unrolled: 14-line block ×3, first 2 shown]
	s_or_b32 exec_lo, exec_lo, s1
	s_delay_alu instid0(SALU_CYCLE_1)
	s_mov_b32 s1, exec_lo
	s_waitcnt lgkmcnt(0)
	buffer_gl0_inv
                                        ; implicit-def: $vgpr1
	v_cmpx_gt_u32_e32 28, v0
; %bb.34:
	v_add_nc_u32_e32 v1, 28, v0
	s_or_b32 s0, s0, exec_lo
                                        ; implicit-def: $vgpr2
; %bb.35:
	s_or_b32 exec_lo, exec_lo, s1
	v_mov_b32_e32 v3, v9
.LBB139_36:
	s_and_saveexec_b32 s1, s0
	s_cbranch_execz .LBB139_38
; %bb.37:
	v_lshlrev_b32_e32 v1, 2, v1
	ds_load_b32 v2, v3
	ds_load_b32 v1, v1
	s_waitcnt lgkmcnt(0)
	v_add_f32_e32 v2, v2, v1
.LBB139_38:
	s_or_b32 exec_lo, exec_lo, s1
	s_delay_alu instid0(SALU_CYCLE_1)
	s_mov_b32 s0, exec_lo
	v_cmpx_gt_u32_e32 28, v0
	s_cbranch_execz .LBB139_42
; %bb.39:
	v_cmp_eq_f32_e64 s1, s8, 0
	v_mul_f32_e32 v1, s12, v2
	s_mov_b32 s3, 0
	s_mul_i32 s0, s11, 0x70
	s_mul_i32 s2, s10, 0x70
	s_and_b32 vcc_lo, exec_lo, s1
	s_mul_hi_u32 s1, s10, 0x70
	s_cbranch_vccz .LBB139_43
; %bb.40:
	v_lshlrev_b32_e32 v2, 2, v0
	s_add_i32 s5, s1, s0
	s_add_u32 s4, s14, s2
	s_addc_u32 s5, s15, s5
	global_store_b32 v2, v1, s[4:5]
	s_and_not1_b32 vcc_lo, exec_lo, s3
	s_cbranch_vccnz .LBB139_42
.LBB139_41:
	v_lshlrev_b32_e32 v0, 2, v0
	s_add_i32 s1, s1, s0
	s_add_u32 s0, s14, s2
	s_addc_u32 s1, s15, s1
	global_load_b32 v2, v0, s[0:1]
	s_waitcnt vmcnt(0)
	v_fmac_f32_e32 v1, s8, v2
	global_store_b32 v0, v1, s[0:1]
.LBB139_42:
	s_nop 0
	s_sendmsg sendmsg(MSG_DEALLOC_VGPRS)
	s_endpgm
.LBB139_43:
	s_branch .LBB139_41
	.section	.rodata,"a",@progbits
	.p2align	6, 0x0
	.amdhsa_kernel _ZN9rocsparseL20bsrxmvn_17_32_kernelILj28EfllfffEEvT2_20rocsparse_direction_NS_24const_host_device_scalarIT0_EES1_PKS1_PKT1_SA_S7_PKT3_PKT4_S5_PT5_21rocsparse_index_base_b
		.amdhsa_group_segment_fixed_size 3136
		.amdhsa_private_segment_fixed_size 0
		.amdhsa_kernarg_size 104
		.amdhsa_user_sgpr_count 15
		.amdhsa_user_sgpr_dispatch_ptr 0
		.amdhsa_user_sgpr_queue_ptr 0
		.amdhsa_user_sgpr_kernarg_segment_ptr 1
		.amdhsa_user_sgpr_dispatch_id 0
		.amdhsa_user_sgpr_private_segment_size 0
		.amdhsa_wavefront_size32 1
		.amdhsa_uses_dynamic_stack 0
		.amdhsa_enable_private_segment 0
		.amdhsa_system_sgpr_workgroup_id_x 1
		.amdhsa_system_sgpr_workgroup_id_y 0
		.amdhsa_system_sgpr_workgroup_id_z 0
		.amdhsa_system_sgpr_workgroup_info 0
		.amdhsa_system_vgpr_workitem_id 0
		.amdhsa_next_free_vgpr 16
		.amdhsa_next_free_sgpr 24
		.amdhsa_reserve_vcc 1
		.amdhsa_float_round_mode_32 0
		.amdhsa_float_round_mode_16_64 0
		.amdhsa_float_denorm_mode_32 3
		.amdhsa_float_denorm_mode_16_64 3
		.amdhsa_dx10_clamp 1
		.amdhsa_ieee_mode 1
		.amdhsa_fp16_overflow 0
		.amdhsa_workgroup_processor_mode 1
		.amdhsa_memory_ordered 1
		.amdhsa_forward_progress 0
		.amdhsa_shared_vgpr_count 0
		.amdhsa_exception_fp_ieee_invalid_op 0
		.amdhsa_exception_fp_denorm_src 0
		.amdhsa_exception_fp_ieee_div_zero 0
		.amdhsa_exception_fp_ieee_overflow 0
		.amdhsa_exception_fp_ieee_underflow 0
		.amdhsa_exception_fp_ieee_inexact 0
		.amdhsa_exception_int_div_zero 0
	.end_amdhsa_kernel
	.section	.text._ZN9rocsparseL20bsrxmvn_17_32_kernelILj28EfllfffEEvT2_20rocsparse_direction_NS_24const_host_device_scalarIT0_EES1_PKS1_PKT1_SA_S7_PKT3_PKT4_S5_PT5_21rocsparse_index_base_b,"axG",@progbits,_ZN9rocsparseL20bsrxmvn_17_32_kernelILj28EfllfffEEvT2_20rocsparse_direction_NS_24const_host_device_scalarIT0_EES1_PKS1_PKT1_SA_S7_PKT3_PKT4_S5_PT5_21rocsparse_index_base_b,comdat
.Lfunc_end139:
	.size	_ZN9rocsparseL20bsrxmvn_17_32_kernelILj28EfllfffEEvT2_20rocsparse_direction_NS_24const_host_device_scalarIT0_EES1_PKS1_PKT1_SA_S7_PKT3_PKT4_S5_PT5_21rocsparse_index_base_b, .Lfunc_end139-_ZN9rocsparseL20bsrxmvn_17_32_kernelILj28EfllfffEEvT2_20rocsparse_direction_NS_24const_host_device_scalarIT0_EES1_PKS1_PKT1_SA_S7_PKT3_PKT4_S5_PT5_21rocsparse_index_base_b
                                        ; -- End function
	.section	.AMDGPU.csdata,"",@progbits
; Kernel info:
; codeLenInByte = 1600
; NumSgprs: 26
; NumVgprs: 16
; ScratchSize: 0
; MemoryBound: 0
; FloatMode: 240
; IeeeMode: 1
; LDSByteSize: 3136 bytes/workgroup (compile time only)
; SGPRBlocks: 3
; VGPRBlocks: 1
; NumSGPRsForWavesPerEU: 26
; NumVGPRsForWavesPerEU: 16
; Occupancy: 13
; WaveLimiterHint : 1
; COMPUTE_PGM_RSRC2:SCRATCH_EN: 0
; COMPUTE_PGM_RSRC2:USER_SGPR: 15
; COMPUTE_PGM_RSRC2:TRAP_HANDLER: 0
; COMPUTE_PGM_RSRC2:TGID_X_EN: 1
; COMPUTE_PGM_RSRC2:TGID_Y_EN: 0
; COMPUTE_PGM_RSRC2:TGID_Z_EN: 0
; COMPUTE_PGM_RSRC2:TIDIG_COMP_CNT: 0
	.section	.text._ZN9rocsparseL20bsrxmvn_17_32_kernelILj29EfllfffEEvT2_20rocsparse_direction_NS_24const_host_device_scalarIT0_EES1_PKS1_PKT1_SA_S7_PKT3_PKT4_S5_PT5_21rocsparse_index_base_b,"axG",@progbits,_ZN9rocsparseL20bsrxmvn_17_32_kernelILj29EfllfffEEvT2_20rocsparse_direction_NS_24const_host_device_scalarIT0_EES1_PKS1_PKT1_SA_S7_PKT3_PKT4_S5_PT5_21rocsparse_index_base_b,comdat
	.globl	_ZN9rocsparseL20bsrxmvn_17_32_kernelILj29EfllfffEEvT2_20rocsparse_direction_NS_24const_host_device_scalarIT0_EES1_PKS1_PKT1_SA_S7_PKT3_PKT4_S5_PT5_21rocsparse_index_base_b ; -- Begin function _ZN9rocsparseL20bsrxmvn_17_32_kernelILj29EfllfffEEvT2_20rocsparse_direction_NS_24const_host_device_scalarIT0_EES1_PKS1_PKT1_SA_S7_PKT3_PKT4_S5_PT5_21rocsparse_index_base_b
	.p2align	8
	.type	_ZN9rocsparseL20bsrxmvn_17_32_kernelILj29EfllfffEEvT2_20rocsparse_direction_NS_24const_host_device_scalarIT0_EES1_PKS1_PKT1_SA_S7_PKT3_PKT4_S5_PT5_21rocsparse_index_base_b,@function
_ZN9rocsparseL20bsrxmvn_17_32_kernelILj29EfllfffEEvT2_20rocsparse_direction_NS_24const_host_device_scalarIT0_EES1_PKS1_PKT1_SA_S7_PKT3_PKT4_S5_PT5_21rocsparse_index_base_b: ; @_ZN9rocsparseL20bsrxmvn_17_32_kernelILj29EfllfffEEvT2_20rocsparse_direction_NS_24const_host_device_scalarIT0_EES1_PKS1_PKT1_SA_S7_PKT3_PKT4_S5_PT5_21rocsparse_index_base_b
; %bb.0:
	s_clause 0x2
	s_load_b64 s[16:17], s[0:1], 0x60
	s_load_b64 s[12:13], s[0:1], 0x10
	;; [unrolled: 1-line block ×3, first 2 shown]
	s_mov_b32 s10, s15
	s_waitcnt lgkmcnt(0)
	s_bitcmp1_b32 s17, 0
	s_cselect_b32 s2, -1, 0
	s_delay_alu instid0(SALU_CYCLE_1)
	s_and_b32 vcc_lo, exec_lo, s2
	s_xor_b32 s2, s2, -1
	s_cbranch_vccnz .LBB140_2
; %bb.1:
	s_load_b32 s12, s[12:13], 0x0
.LBB140_2:
	s_and_not1_b32 vcc_lo, exec_lo, s2
	s_cbranch_vccnz .LBB140_4
; %bb.3:
	s_load_b32 s8, s[8:9], 0x0
.LBB140_4:
	s_waitcnt lgkmcnt(0)
	v_cmp_neq_f32_e64 s2, s12, 0
	v_cmp_neq_f32_e64 s3, s8, 1.0
	s_mov_b32 s11, 0
	s_delay_alu instid0(VALU_DEP_1) | instskip(NEXT) | instid1(SALU_CYCLE_1)
	s_or_b32 s2, s2, s3
	s_and_not1_b32 vcc_lo, exec_lo, s2
	s_cbranch_vccnz .LBB140_42
; %bb.5:
	s_clause 0x1
	s_load_b128 s[4:7], s[0:1], 0x20
	s_load_b64 s[14:15], s[0:1], 0x30
	s_waitcnt lgkmcnt(0)
	s_cmp_eq_u64 s[4:5], 0
	s_cbranch_scc1 .LBB140_7
; %bb.6:
	s_lshl_b64 s[2:3], s[10:11], 3
	s_delay_alu instid0(SALU_CYCLE_1)
	s_add_u32 s2, s4, s2
	s_addc_u32 s3, s5, s3
	s_load_b64 s[2:3], s[2:3], 0x0
	s_waitcnt lgkmcnt(0)
	s_sub_u32 s10, s2, s16
	s_subb_u32 s11, s3, 0
.LBB140_7:
	s_load_b32 s3, s[0:1], 0x8
	v_mul_u32_u24_e32 v1, 0x8d4, v0
	v_dual_mov_b32 v2, 0 :: v_dual_lshlrev_b32 v9, 2, v0
	s_delay_alu instid0(VALU_DEP_2) | instskip(NEXT) | instid1(VALU_DEP_1)
	v_lshrrev_b32_e32 v1, 16, v1
	v_mul_lo_u16 v3, v1, 29
	s_delay_alu instid0(VALU_DEP_1)
	v_sub_nc_u16 v10, v0, v3
	s_waitcnt lgkmcnt(0)
	s_cmp_eq_u32 s3, 1
	s_cselect_b32 s2, -1, 0
	s_cmp_lg_u32 s3, 1
	s_cselect_b32 s9, -1, 0
	s_lshl_b64 s[4:5], s[10:11], 3
	s_delay_alu instid0(SALU_CYCLE_1)
	s_add_u32 s6, s6, s4
	s_addc_u32 s7, s7, s5
	s_add_u32 s3, s6, 8
	s_addc_u32 s13, s7, 0
	;; [unrolled: 2-line block ×3, first 2 shown]
	s_cmp_eq_u64 s[14:15], 0
	s_load_b64 s[14:15], s[0:1], 0x58
	s_cselect_b32 s5, s13, s5
	s_cselect_b32 s4, s3, s4
	s_load_b64 s[18:19], s[6:7], 0x0
	s_load_b64 s[20:21], s[4:5], 0x0
	s_waitcnt lgkmcnt(0)
	v_cmp_ge_i64_e64 s3, s[18:19], s[20:21]
	s_delay_alu instid0(VALU_DEP_1)
	s_and_b32 vcc_lo, exec_lo, s3
	s_cbranch_vccnz .LBB140_12
; %bb.8:
	v_dual_mov_b32 v2, 0 :: v_dual_and_b32 v1, 0xffff, v1
	v_cmp_gt_u32_e32 vcc_lo, 0x349, v0
	s_clause 0x1
	s_load_b128 s[4:7], s[0:1], 0x38
	s_load_b64 s[22:23], s[0:1], 0x48
	s_sub_u32 s0, s20, s16
	v_subrev_nc_u32_e32 v3, 29, v1
	v_and_b32_e32 v4, 0xffff, v10
	s_subb_u32 s1, s21, 0
	s_delay_alu instid0(VALU_DEP_2) | instskip(SKIP_1) | instid1(VALU_DEP_2)
	v_cndmask_b32_e32 v1, v3, v1, vcc_lo
	v_cmp_lt_u32_e32 vcc_lo, 0x348, v0
	v_cndmask_b32_e64 v1, v4, v1, s2
	v_cndmask_b32_e64 v11, 0, 1, vcc_lo
	s_sub_u32 s2, s18, s16
	s_subb_u32 s3, s19, 0
	s_mul_hi_u32 s13, s2, 0xd24
	v_lshlrev_b64 v[3:4], 2, v[1:2]
	v_add_co_u32 v1, s18, s18, v11
	s_delay_alu instid0(VALU_DEP_1) | instskip(SKIP_2) | instid1(VALU_DEP_3)
	v_add_co_ci_u32_e64 v6, null, s19, 0, s18
	s_mul_i32 s17, s3, 0xd24
	s_waitcnt lgkmcnt(0)
	v_add_co_u32 v3, vcc_lo, s22, v3
	v_add_co_ci_u32_e32 v4, vcc_lo, s23, v4, vcc_lo
	v_sub_co_u32 v5, vcc_lo, v1, s16
	v_subrev_co_ci_u32_e32 v6, vcc_lo, 0, v6, vcc_lo
	v_lshlrev_b32_e32 v1, 2, v0
	s_add_i32 s13, s13, s17
	s_mul_i32 s17, s2, 0xd24
	s_delay_alu instid0(VALU_DEP_2) | instskip(SKIP_3) | instid1(VALU_DEP_1)
	v_lshlrev_b64 v[7:8], 3, v[5:6]
	s_add_u32 s6, s6, s17
	s_addc_u32 s7, s7, s13
	v_add_co_u32 v5, s6, s6, v1
	v_add_co_ci_u32_e64 v6, null, s7, 0, s6
	s_delay_alu instid0(VALU_DEP_3)
	v_add_co_u32 v7, vcc_lo, s4, v7
	v_add_co_ci_u32_e32 v8, vcc_lo, s5, v8, vcc_lo
	s_set_inst_prefetch_distance 0x1
	s_branch .LBB140_10
	.p2align	6
.LBB140_9:                              ;   in Loop: Header=BB140_10 Depth=1
	s_or_b32 exec_lo, exec_lo, s4
	s_add_u32 s2, s2, 1
	s_addc_u32 s3, s3, 0
	v_add_co_u32 v7, vcc_lo, v7, 8
	v_cmp_lt_i64_e64 s4, s[2:3], s[0:1]
	v_add_co_ci_u32_e32 v8, vcc_lo, 0, v8, vcc_lo
	s_delay_alu instid0(VALU_DEP_2)
	s_and_b32 vcc_lo, exec_lo, s4
	s_cbranch_vccz .LBB140_12
.LBB140_10:                             ; =>This Inner Loop Header: Depth=1
	v_add_co_u32 v12, s4, v11, s2
	s_delay_alu instid0(VALU_DEP_1) | instskip(SKIP_1) | instid1(VALU_DEP_1)
	v_add_co_ci_u32_e64 v13, null, 0, s3, s4
	s_mov_b32 s4, exec_lo
	v_cmpx_gt_i64_e64 s[0:1], v[12:13]
	s_cbranch_execz .LBB140_9
; %bb.11:                               ;   in Loop: Header=BB140_10 Depth=1
	global_load_b64 v[12:13], v[7:8], off
	s_waitcnt vmcnt(0)
	v_sub_co_u32 v1, vcc_lo, v12, s16
	v_subrev_co_ci_u32_e32 v15, vcc_lo, 0, v13, vcc_lo
	s_delay_alu instid0(VALU_DEP_2) | instskip(NEXT) | instid1(VALU_DEP_1)
	v_mad_u64_u32 v[12:13], null, 0x74, v1, v[3:4]
	v_mov_b32_e32 v1, v13
	s_delay_alu instid0(VALU_DEP_1)
	v_mad_u64_u32 v[13:14], null, 0x74, v15, v[1:2]
	global_load_b32 v1, v[5:6], off
	global_load_b32 v12, v[12:13], off
	v_add_co_u32 v5, vcc_lo, 0xd24, v5
	v_add_co_ci_u32_e32 v6, vcc_lo, 0, v6, vcc_lo
	s_waitcnt vmcnt(0)
	v_fmac_f32_e32 v2, v1, v12
	s_branch .LBB140_9
.LBB140_12:
	s_set_inst_prefetch_distance 0x2
	s_and_b32 vcc_lo, exec_lo, s9
	ds_store_b32 v9, v2
	s_waitcnt lgkmcnt(0)
	s_barrier
	buffer_gl0_inv
	s_cbranch_vccz .LBB140_24
; %bb.13:
	s_mov_b32 s0, exec_lo
	v_cmpx_gt_u16_e32 13, v10
	s_cbranch_execz .LBB140_15
; %bb.14:
	ds_load_2addr_b32 v[3:4], v9 offset1:16
	s_waitcnt lgkmcnt(0)
	v_add_f32_e32 v1, v4, v3
	ds_store_b32 v9, v1
.LBB140_15:
	s_or_b32 exec_lo, exec_lo, s0
	s_delay_alu instid0(SALU_CYCLE_1)
	s_mov_b32 s0, exec_lo
	s_waitcnt lgkmcnt(0)
	s_barrier
	buffer_gl0_inv
	v_cmpx_gt_u16_e32 8, v10
	s_cbranch_execz .LBB140_17
; %bb.16:
	ds_load_2addr_b32 v[3:4], v9 offset1:8
	s_waitcnt lgkmcnt(0)
	v_add_f32_e32 v1, v4, v3
	ds_store_b32 v9, v1
.LBB140_17:
	s_or_b32 exec_lo, exec_lo, s0
	s_delay_alu instid0(SALU_CYCLE_1)
	s_mov_b32 s0, exec_lo
	s_waitcnt lgkmcnt(0)
	s_barrier
	buffer_gl0_inv
	;; [unrolled: 14-line block ×3, first 2 shown]
	v_cmpx_gt_u16_e32 2, v10
	s_cbranch_execz .LBB140_21
; %bb.20:
	ds_load_2addr_b32 v[3:4], v9 offset1:2
	s_waitcnt lgkmcnt(0)
	v_add_f32_e32 v1, v4, v3
	ds_store_b32 v9, v1
.LBB140_21:
	s_or_b32 exec_lo, exec_lo, s0
	s_mov_b32 s1, 0
	s_mov_b32 s0, 0
	s_mov_b32 s2, exec_lo
	s_waitcnt lgkmcnt(0)
	s_barrier
	buffer_gl0_inv
                                        ; implicit-def: $vgpr1
                                        ; implicit-def: $vgpr3
	v_cmpx_gt_u32_e32 29, v0
	s_xor_b32 s2, exec_lo, s2
; %bb.22:
	v_mad_u32_u24 v1, v0, 29, 1
	v_mad_u32_u24 v3, 0x70, v0, v9
	s_mov_b32 s0, exec_lo
; %bb.23:
	s_or_b32 exec_lo, exec_lo, s2
	s_delay_alu instid0(SALU_CYCLE_1)
	s_and_b32 vcc_lo, exec_lo, s1
	s_cbranch_vccnz .LBB140_25
	s_branch .LBB140_36
.LBB140_24:
	s_mov_b32 s0, 0
                                        ; implicit-def: $vgpr1
                                        ; implicit-def: $vgpr3
	s_cbranch_execz .LBB140_36
.LBB140_25:
	s_mov_b32 s1, exec_lo
	v_cmpx_gt_u32_e32 0x179, v0
	s_cbranch_execz .LBB140_27
; %bb.26:
	ds_load_b32 v1, v9 offset:1856
	ds_load_b32 v3, v9
	s_waitcnt lgkmcnt(0)
	v_add_f32_e32 v1, v1, v3
	ds_store_b32 v9, v1
.LBB140_27:
	s_or_b32 exec_lo, exec_lo, s1
	s_delay_alu instid0(SALU_CYCLE_1)
	s_mov_b32 s1, exec_lo
	s_waitcnt lgkmcnt(0)
	s_barrier
	buffer_gl0_inv
	v_cmpx_gt_u32_e32 0xe8, v0
	s_cbranch_execz .LBB140_29
; %bb.28:
	ds_load_2addr_b32 v[3:4], v9 offset1:232
	s_waitcnt lgkmcnt(0)
	v_add_f32_e32 v1, v4, v3
	ds_store_b32 v9, v1
.LBB140_29:
	s_or_b32 exec_lo, exec_lo, s1
	s_delay_alu instid0(SALU_CYCLE_1)
	s_mov_b32 s1, exec_lo
	s_waitcnt lgkmcnt(0)
	s_barrier
	buffer_gl0_inv
	v_cmpx_gt_u32_e32 0x74, v0
	s_cbranch_execz .LBB140_31
; %bb.30:
	ds_load_2addr_b32 v[3:4], v9 offset1:116
	s_waitcnt lgkmcnt(0)
	v_add_f32_e32 v1, v4, v3
	ds_store_b32 v9, v1
.LBB140_31:
	;; [unrolled: 14-line block ×3, first 2 shown]
	s_or_b32 exec_lo, exec_lo, s1
	s_delay_alu instid0(SALU_CYCLE_1)
	s_mov_b32 s1, exec_lo
	s_waitcnt lgkmcnt(0)
	buffer_gl0_inv
                                        ; implicit-def: $vgpr1
	v_cmpx_gt_u32_e32 29, v0
; %bb.34:
	v_add_nc_u32_e32 v1, 29, v0
	s_or_b32 s0, s0, exec_lo
                                        ; implicit-def: $vgpr2
; %bb.35:
	s_or_b32 exec_lo, exec_lo, s1
	v_mov_b32_e32 v3, v9
.LBB140_36:
	s_and_saveexec_b32 s1, s0
	s_cbranch_execz .LBB140_38
; %bb.37:
	v_lshlrev_b32_e32 v1, 2, v1
	ds_load_b32 v2, v3
	ds_load_b32 v1, v1
	s_waitcnt lgkmcnt(0)
	v_add_f32_e32 v2, v2, v1
.LBB140_38:
	s_or_b32 exec_lo, exec_lo, s1
	s_delay_alu instid0(SALU_CYCLE_1)
	s_mov_b32 s0, exec_lo
	v_cmpx_gt_u32_e32 29, v0
	s_cbranch_execz .LBB140_42
; %bb.39:
	v_cmp_eq_f32_e64 s1, s8, 0
	v_mul_f32_e32 v1, s12, v2
	s_mov_b32 s3, 0
	s_mul_i32 s0, s11, 0x74
	s_mul_i32 s2, s10, 0x74
	s_and_b32 vcc_lo, exec_lo, s1
	s_mul_hi_u32 s1, s10, 0x74
	s_cbranch_vccz .LBB140_43
; %bb.40:
	v_lshlrev_b32_e32 v2, 2, v0
	s_add_i32 s5, s1, s0
	s_add_u32 s4, s14, s2
	s_addc_u32 s5, s15, s5
	global_store_b32 v2, v1, s[4:5]
	s_and_not1_b32 vcc_lo, exec_lo, s3
	s_cbranch_vccnz .LBB140_42
.LBB140_41:
	v_lshlrev_b32_e32 v0, 2, v0
	s_add_i32 s1, s1, s0
	s_add_u32 s0, s14, s2
	s_addc_u32 s1, s15, s1
	global_load_b32 v2, v0, s[0:1]
	s_waitcnt vmcnt(0)
	v_fmac_f32_e32 v1, s8, v2
	global_store_b32 v0, v1, s[0:1]
.LBB140_42:
	s_nop 0
	s_sendmsg sendmsg(MSG_DEALLOC_VGPRS)
	s_endpgm
.LBB140_43:
	s_branch .LBB140_41
	.section	.rodata,"a",@progbits
	.p2align	6, 0x0
	.amdhsa_kernel _ZN9rocsparseL20bsrxmvn_17_32_kernelILj29EfllfffEEvT2_20rocsparse_direction_NS_24const_host_device_scalarIT0_EES1_PKS1_PKT1_SA_S7_PKT3_PKT4_S5_PT5_21rocsparse_index_base_b
		.amdhsa_group_segment_fixed_size 3364
		.amdhsa_private_segment_fixed_size 0
		.amdhsa_kernarg_size 104
		.amdhsa_user_sgpr_count 15
		.amdhsa_user_sgpr_dispatch_ptr 0
		.amdhsa_user_sgpr_queue_ptr 0
		.amdhsa_user_sgpr_kernarg_segment_ptr 1
		.amdhsa_user_sgpr_dispatch_id 0
		.amdhsa_user_sgpr_private_segment_size 0
		.amdhsa_wavefront_size32 1
		.amdhsa_uses_dynamic_stack 0
		.amdhsa_enable_private_segment 0
		.amdhsa_system_sgpr_workgroup_id_x 1
		.amdhsa_system_sgpr_workgroup_id_y 0
		.amdhsa_system_sgpr_workgroup_id_z 0
		.amdhsa_system_sgpr_workgroup_info 0
		.amdhsa_system_vgpr_workitem_id 0
		.amdhsa_next_free_vgpr 16
		.amdhsa_next_free_sgpr 24
		.amdhsa_reserve_vcc 1
		.amdhsa_float_round_mode_32 0
		.amdhsa_float_round_mode_16_64 0
		.amdhsa_float_denorm_mode_32 3
		.amdhsa_float_denorm_mode_16_64 3
		.amdhsa_dx10_clamp 1
		.amdhsa_ieee_mode 1
		.amdhsa_fp16_overflow 0
		.amdhsa_workgroup_processor_mode 1
		.amdhsa_memory_ordered 1
		.amdhsa_forward_progress 0
		.amdhsa_shared_vgpr_count 0
		.amdhsa_exception_fp_ieee_invalid_op 0
		.amdhsa_exception_fp_denorm_src 0
		.amdhsa_exception_fp_ieee_div_zero 0
		.amdhsa_exception_fp_ieee_overflow 0
		.amdhsa_exception_fp_ieee_underflow 0
		.amdhsa_exception_fp_ieee_inexact 0
		.amdhsa_exception_int_div_zero 0
	.end_amdhsa_kernel
	.section	.text._ZN9rocsparseL20bsrxmvn_17_32_kernelILj29EfllfffEEvT2_20rocsparse_direction_NS_24const_host_device_scalarIT0_EES1_PKS1_PKT1_SA_S7_PKT3_PKT4_S5_PT5_21rocsparse_index_base_b,"axG",@progbits,_ZN9rocsparseL20bsrxmvn_17_32_kernelILj29EfllfffEEvT2_20rocsparse_direction_NS_24const_host_device_scalarIT0_EES1_PKS1_PKT1_SA_S7_PKT3_PKT4_S5_PT5_21rocsparse_index_base_b,comdat
.Lfunc_end140:
	.size	_ZN9rocsparseL20bsrxmvn_17_32_kernelILj29EfllfffEEvT2_20rocsparse_direction_NS_24const_host_device_scalarIT0_EES1_PKS1_PKT1_SA_S7_PKT3_PKT4_S5_PT5_21rocsparse_index_base_b, .Lfunc_end140-_ZN9rocsparseL20bsrxmvn_17_32_kernelILj29EfllfffEEvT2_20rocsparse_direction_NS_24const_host_device_scalarIT0_EES1_PKS1_PKT1_SA_S7_PKT3_PKT4_S5_PT5_21rocsparse_index_base_b
                                        ; -- End function
	.section	.AMDGPU.csdata,"",@progbits
; Kernel info:
; codeLenInByte = 1604
; NumSgprs: 26
; NumVgprs: 16
; ScratchSize: 0
; MemoryBound: 0
; FloatMode: 240
; IeeeMode: 1
; LDSByteSize: 3364 bytes/workgroup (compile time only)
; SGPRBlocks: 3
; VGPRBlocks: 1
; NumSGPRsForWavesPerEU: 26
; NumVGPRsForWavesPerEU: 16
; Occupancy: 14
; WaveLimiterHint : 1
; COMPUTE_PGM_RSRC2:SCRATCH_EN: 0
; COMPUTE_PGM_RSRC2:USER_SGPR: 15
; COMPUTE_PGM_RSRC2:TRAP_HANDLER: 0
; COMPUTE_PGM_RSRC2:TGID_X_EN: 1
; COMPUTE_PGM_RSRC2:TGID_Y_EN: 0
; COMPUTE_PGM_RSRC2:TGID_Z_EN: 0
; COMPUTE_PGM_RSRC2:TIDIG_COMP_CNT: 0
	.section	.text._ZN9rocsparseL20bsrxmvn_17_32_kernelILj30EfllfffEEvT2_20rocsparse_direction_NS_24const_host_device_scalarIT0_EES1_PKS1_PKT1_SA_S7_PKT3_PKT4_S5_PT5_21rocsparse_index_base_b,"axG",@progbits,_ZN9rocsparseL20bsrxmvn_17_32_kernelILj30EfllfffEEvT2_20rocsparse_direction_NS_24const_host_device_scalarIT0_EES1_PKS1_PKT1_SA_S7_PKT3_PKT4_S5_PT5_21rocsparse_index_base_b,comdat
	.globl	_ZN9rocsparseL20bsrxmvn_17_32_kernelILj30EfllfffEEvT2_20rocsparse_direction_NS_24const_host_device_scalarIT0_EES1_PKS1_PKT1_SA_S7_PKT3_PKT4_S5_PT5_21rocsparse_index_base_b ; -- Begin function _ZN9rocsparseL20bsrxmvn_17_32_kernelILj30EfllfffEEvT2_20rocsparse_direction_NS_24const_host_device_scalarIT0_EES1_PKS1_PKT1_SA_S7_PKT3_PKT4_S5_PT5_21rocsparse_index_base_b
	.p2align	8
	.type	_ZN9rocsparseL20bsrxmvn_17_32_kernelILj30EfllfffEEvT2_20rocsparse_direction_NS_24const_host_device_scalarIT0_EES1_PKS1_PKT1_SA_S7_PKT3_PKT4_S5_PT5_21rocsparse_index_base_b,@function
_ZN9rocsparseL20bsrxmvn_17_32_kernelILj30EfllfffEEvT2_20rocsparse_direction_NS_24const_host_device_scalarIT0_EES1_PKS1_PKT1_SA_S7_PKT3_PKT4_S5_PT5_21rocsparse_index_base_b: ; @_ZN9rocsparseL20bsrxmvn_17_32_kernelILj30EfllfffEEvT2_20rocsparse_direction_NS_24const_host_device_scalarIT0_EES1_PKS1_PKT1_SA_S7_PKT3_PKT4_S5_PT5_21rocsparse_index_base_b
; %bb.0:
	s_clause 0x2
	s_load_b64 s[16:17], s[0:1], 0x60
	s_load_b64 s[12:13], s[0:1], 0x10
	;; [unrolled: 1-line block ×3, first 2 shown]
	s_mov_b32 s10, s15
	s_waitcnt lgkmcnt(0)
	s_bitcmp1_b32 s17, 0
	s_cselect_b32 s2, -1, 0
	s_delay_alu instid0(SALU_CYCLE_1)
	s_and_b32 vcc_lo, exec_lo, s2
	s_xor_b32 s2, s2, -1
	s_cbranch_vccnz .LBB141_2
; %bb.1:
	s_load_b32 s12, s[12:13], 0x0
.LBB141_2:
	s_and_not1_b32 vcc_lo, exec_lo, s2
	s_cbranch_vccnz .LBB141_4
; %bb.3:
	s_load_b32 s8, s[8:9], 0x0
.LBB141_4:
	s_waitcnt lgkmcnt(0)
	v_cmp_neq_f32_e64 s2, s12, 0
	v_cmp_neq_f32_e64 s3, s8, 1.0
	s_mov_b32 s11, 0
	s_delay_alu instid0(VALU_DEP_1) | instskip(NEXT) | instid1(SALU_CYCLE_1)
	s_or_b32 s2, s2, s3
	s_and_not1_b32 vcc_lo, exec_lo, s2
	s_cbranch_vccnz .LBB141_42
; %bb.5:
	s_clause 0x1
	s_load_b128 s[4:7], s[0:1], 0x20
	s_load_b64 s[14:15], s[0:1], 0x30
	s_waitcnt lgkmcnt(0)
	s_cmp_eq_u64 s[4:5], 0
	s_cbranch_scc1 .LBB141_7
; %bb.6:
	s_lshl_b64 s[2:3], s[10:11], 3
	s_delay_alu instid0(SALU_CYCLE_1)
	s_add_u32 s2, s4, s2
	s_addc_u32 s3, s5, s3
	s_load_b64 s[2:3], s[2:3], 0x0
	s_waitcnt lgkmcnt(0)
	s_sub_u32 s10, s2, s16
	s_subb_u32 s11, s3, 0
.LBB141_7:
	s_load_b32 s3, s[0:1], 0x8
	v_mul_u32_u24_e32 v1, 0x889, v0
	v_dual_mov_b32 v2, 0 :: v_dual_lshlrev_b32 v9, 2, v0
	s_delay_alu instid0(VALU_DEP_2) | instskip(NEXT) | instid1(VALU_DEP_1)
	v_lshrrev_b32_e32 v1, 16, v1
	v_mul_lo_u16 v3, v1, 30
	s_delay_alu instid0(VALU_DEP_1)
	v_sub_nc_u16 v10, v0, v3
	s_waitcnt lgkmcnt(0)
	s_cmp_eq_u32 s3, 1
	s_cselect_b32 s2, -1, 0
	s_cmp_lg_u32 s3, 1
	s_cselect_b32 s9, -1, 0
	s_lshl_b64 s[4:5], s[10:11], 3
	s_delay_alu instid0(SALU_CYCLE_1)
	s_add_u32 s6, s6, s4
	s_addc_u32 s7, s7, s5
	s_add_u32 s3, s6, 8
	s_addc_u32 s13, s7, 0
	;; [unrolled: 2-line block ×3, first 2 shown]
	s_cmp_eq_u64 s[14:15], 0
	s_load_b64 s[14:15], s[0:1], 0x58
	s_cselect_b32 s5, s13, s5
	s_cselect_b32 s4, s3, s4
	s_load_b64 s[18:19], s[6:7], 0x0
	s_load_b64 s[20:21], s[4:5], 0x0
	s_waitcnt lgkmcnt(0)
	v_cmp_ge_i64_e64 s3, s[18:19], s[20:21]
	s_delay_alu instid0(VALU_DEP_1)
	s_and_b32 vcc_lo, exec_lo, s3
	s_cbranch_vccnz .LBB141_12
; %bb.8:
	v_dual_mov_b32 v2, 0 :: v_dual_and_b32 v1, 0xffff, v1
	v_cmp_gt_u32_e32 vcc_lo, 0x384, v0
	s_clause 0x1
	s_load_b128 s[4:7], s[0:1], 0x38
	s_load_b64 s[22:23], s[0:1], 0x48
	s_sub_u32 s0, s20, s16
	v_subrev_nc_u32_e32 v3, 30, v1
	v_and_b32_e32 v4, 0xffff, v10
	s_subb_u32 s1, s21, 0
	s_delay_alu instid0(VALU_DEP_2) | instskip(SKIP_1) | instid1(VALU_DEP_2)
	v_cndmask_b32_e32 v1, v3, v1, vcc_lo
	v_cmp_lt_u32_e32 vcc_lo, 0x383, v0
	v_cndmask_b32_e64 v1, v4, v1, s2
	v_cndmask_b32_e64 v11, 0, 1, vcc_lo
	s_sub_u32 s2, s18, s16
	s_subb_u32 s3, s19, 0
	s_mul_hi_u32 s13, s2, 0xe10
	v_lshlrev_b64 v[3:4], 2, v[1:2]
	v_add_co_u32 v1, s18, s18, v11
	s_delay_alu instid0(VALU_DEP_1) | instskip(SKIP_2) | instid1(VALU_DEP_3)
	v_add_co_ci_u32_e64 v6, null, s19, 0, s18
	s_mul_i32 s17, s3, 0xe10
	s_waitcnt lgkmcnt(0)
	v_add_co_u32 v3, vcc_lo, s22, v3
	v_add_co_ci_u32_e32 v4, vcc_lo, s23, v4, vcc_lo
	v_sub_co_u32 v5, vcc_lo, v1, s16
	v_subrev_co_ci_u32_e32 v6, vcc_lo, 0, v6, vcc_lo
	v_lshlrev_b32_e32 v1, 2, v0
	s_add_i32 s13, s13, s17
	s_mul_i32 s17, s2, 0xe10
	s_delay_alu instid0(VALU_DEP_2) | instskip(SKIP_3) | instid1(VALU_DEP_1)
	v_lshlrev_b64 v[7:8], 3, v[5:6]
	s_add_u32 s6, s6, s17
	s_addc_u32 s7, s7, s13
	v_add_co_u32 v5, s6, s6, v1
	v_add_co_ci_u32_e64 v6, null, s7, 0, s6
	s_delay_alu instid0(VALU_DEP_3)
	v_add_co_u32 v7, vcc_lo, s4, v7
	v_add_co_ci_u32_e32 v8, vcc_lo, s5, v8, vcc_lo
	s_set_inst_prefetch_distance 0x1
	s_branch .LBB141_10
	.p2align	6
.LBB141_9:                              ;   in Loop: Header=BB141_10 Depth=1
	s_or_b32 exec_lo, exec_lo, s4
	s_add_u32 s2, s2, 1
	s_addc_u32 s3, s3, 0
	v_add_co_u32 v7, vcc_lo, v7, 8
	v_cmp_lt_i64_e64 s4, s[2:3], s[0:1]
	v_add_co_ci_u32_e32 v8, vcc_lo, 0, v8, vcc_lo
	s_delay_alu instid0(VALU_DEP_2)
	s_and_b32 vcc_lo, exec_lo, s4
	s_cbranch_vccz .LBB141_12
.LBB141_10:                             ; =>This Inner Loop Header: Depth=1
	v_add_co_u32 v12, s4, v11, s2
	s_delay_alu instid0(VALU_DEP_1) | instskip(SKIP_1) | instid1(VALU_DEP_1)
	v_add_co_ci_u32_e64 v13, null, 0, s3, s4
	s_mov_b32 s4, exec_lo
	v_cmpx_gt_i64_e64 s[0:1], v[12:13]
	s_cbranch_execz .LBB141_9
; %bb.11:                               ;   in Loop: Header=BB141_10 Depth=1
	global_load_b64 v[12:13], v[7:8], off
	s_waitcnt vmcnt(0)
	v_sub_co_u32 v1, vcc_lo, v12, s16
	v_subrev_co_ci_u32_e32 v15, vcc_lo, 0, v13, vcc_lo
	s_delay_alu instid0(VALU_DEP_2) | instskip(NEXT) | instid1(VALU_DEP_1)
	v_mad_u64_u32 v[12:13], null, 0x78, v1, v[3:4]
	v_mov_b32_e32 v1, v13
	s_delay_alu instid0(VALU_DEP_1)
	v_mad_u64_u32 v[13:14], null, 0x78, v15, v[1:2]
	global_load_b32 v1, v[5:6], off
	global_load_b32 v12, v[12:13], off
	v_add_co_u32 v5, vcc_lo, 0xe10, v5
	v_add_co_ci_u32_e32 v6, vcc_lo, 0, v6, vcc_lo
	s_waitcnt vmcnt(0)
	v_fmac_f32_e32 v2, v1, v12
	s_branch .LBB141_9
.LBB141_12:
	s_set_inst_prefetch_distance 0x2
	s_and_b32 vcc_lo, exec_lo, s9
	ds_store_b32 v9, v2
	s_waitcnt lgkmcnt(0)
	s_barrier
	buffer_gl0_inv
	s_cbranch_vccz .LBB141_24
; %bb.13:
	s_mov_b32 s0, exec_lo
	v_cmpx_gt_u16_e32 14, v10
	s_cbranch_execz .LBB141_15
; %bb.14:
	ds_load_2addr_b32 v[3:4], v9 offset1:16
	s_waitcnt lgkmcnt(0)
	v_add_f32_e32 v1, v4, v3
	ds_store_b32 v9, v1
.LBB141_15:
	s_or_b32 exec_lo, exec_lo, s0
	s_delay_alu instid0(SALU_CYCLE_1)
	s_mov_b32 s0, exec_lo
	s_waitcnt lgkmcnt(0)
	s_barrier
	buffer_gl0_inv
	v_cmpx_gt_u16_e32 8, v10
	s_cbranch_execz .LBB141_17
; %bb.16:
	ds_load_2addr_b32 v[3:4], v9 offset1:8
	s_waitcnt lgkmcnt(0)
	v_add_f32_e32 v1, v4, v3
	ds_store_b32 v9, v1
.LBB141_17:
	s_or_b32 exec_lo, exec_lo, s0
	s_delay_alu instid0(SALU_CYCLE_1)
	s_mov_b32 s0, exec_lo
	s_waitcnt lgkmcnt(0)
	s_barrier
	buffer_gl0_inv
	;; [unrolled: 14-line block ×3, first 2 shown]
	v_cmpx_gt_u16_e32 2, v10
	s_cbranch_execz .LBB141_21
; %bb.20:
	ds_load_2addr_b32 v[3:4], v9 offset1:2
	s_waitcnt lgkmcnt(0)
	v_add_f32_e32 v1, v4, v3
	ds_store_b32 v9, v1
.LBB141_21:
	s_or_b32 exec_lo, exec_lo, s0
	s_mov_b32 s1, 0
	s_mov_b32 s0, 0
	s_mov_b32 s2, exec_lo
	s_waitcnt lgkmcnt(0)
	s_barrier
	buffer_gl0_inv
                                        ; implicit-def: $vgpr1
                                        ; implicit-def: $vgpr3
	v_cmpx_gt_u32_e32 30, v0
	s_xor_b32 s2, exec_lo, s2
; %bb.22:
	v_mul_u32_u24_e32 v1, 30, v0
	v_mad_u32_u24 v3, 0x74, v0, v9
	s_mov_b32 s0, exec_lo
	s_delay_alu instid0(VALU_DEP_2)
	v_or_b32_e32 v1, 1, v1
; %bb.23:
	s_or_b32 exec_lo, exec_lo, s2
	s_delay_alu instid0(SALU_CYCLE_1)
	s_and_b32 vcc_lo, exec_lo, s1
	s_cbranch_vccnz .LBB141_25
	s_branch .LBB141_36
.LBB141_24:
	s_mov_b32 s0, 0
                                        ; implicit-def: $vgpr1
                                        ; implicit-def: $vgpr3
	s_cbranch_execz .LBB141_36
.LBB141_25:
	s_mov_b32 s1, exec_lo
	v_cmpx_gt_u32_e32 0x1a4, v0
	s_cbranch_execz .LBB141_27
; %bb.26:
	ds_load_b32 v1, v9 offset:1920
	ds_load_b32 v3, v9
	s_waitcnt lgkmcnt(0)
	v_add_f32_e32 v1, v1, v3
	ds_store_b32 v9, v1
.LBB141_27:
	s_or_b32 exec_lo, exec_lo, s1
	s_delay_alu instid0(SALU_CYCLE_1)
	s_mov_b32 s1, exec_lo
	s_waitcnt lgkmcnt(0)
	s_barrier
	buffer_gl0_inv
	v_cmpx_gt_u32_e32 0xf0, v0
	s_cbranch_execz .LBB141_29
; %bb.28:
	ds_load_2addr_b32 v[3:4], v9 offset1:240
	s_waitcnt lgkmcnt(0)
	v_add_f32_e32 v1, v4, v3
	ds_store_b32 v9, v1
.LBB141_29:
	s_or_b32 exec_lo, exec_lo, s1
	s_delay_alu instid0(SALU_CYCLE_1)
	s_mov_b32 s1, exec_lo
	s_waitcnt lgkmcnt(0)
	s_barrier
	buffer_gl0_inv
	v_cmpx_gt_u32_e32 0x78, v0
	s_cbranch_execz .LBB141_31
; %bb.30:
	ds_load_2addr_b32 v[3:4], v9 offset1:120
	s_waitcnt lgkmcnt(0)
	v_add_f32_e32 v1, v4, v3
	ds_store_b32 v9, v1
.LBB141_31:
	;; [unrolled: 14-line block ×3, first 2 shown]
	s_or_b32 exec_lo, exec_lo, s1
	s_delay_alu instid0(SALU_CYCLE_1)
	s_mov_b32 s1, exec_lo
	s_waitcnt lgkmcnt(0)
	buffer_gl0_inv
                                        ; implicit-def: $vgpr1
	v_cmpx_gt_u32_e32 30, v0
; %bb.34:
	v_add_nc_u32_e32 v1, 30, v0
	s_or_b32 s0, s0, exec_lo
                                        ; implicit-def: $vgpr2
; %bb.35:
	s_or_b32 exec_lo, exec_lo, s1
	v_mov_b32_e32 v3, v9
.LBB141_36:
	s_and_saveexec_b32 s1, s0
	s_cbranch_execz .LBB141_38
; %bb.37:
	v_lshlrev_b32_e32 v1, 2, v1
	ds_load_b32 v2, v3
	ds_load_b32 v1, v1
	s_waitcnt lgkmcnt(0)
	v_add_f32_e32 v2, v2, v1
.LBB141_38:
	s_or_b32 exec_lo, exec_lo, s1
	s_delay_alu instid0(SALU_CYCLE_1)
	s_mov_b32 s0, exec_lo
	v_cmpx_gt_u32_e32 30, v0
	s_cbranch_execz .LBB141_42
; %bb.39:
	v_cmp_eq_f32_e64 s1, s8, 0
	v_mul_f32_e32 v1, s12, v2
	s_mov_b32 s3, 0
	s_mul_i32 s0, s11, 0x78
	s_mul_i32 s2, s10, 0x78
	s_and_b32 vcc_lo, exec_lo, s1
	s_mul_hi_u32 s1, s10, 0x78
	s_cbranch_vccz .LBB141_43
; %bb.40:
	v_lshlrev_b32_e32 v2, 2, v0
	s_add_i32 s5, s1, s0
	s_add_u32 s4, s14, s2
	s_addc_u32 s5, s15, s5
	global_store_b32 v2, v1, s[4:5]
	s_and_not1_b32 vcc_lo, exec_lo, s3
	s_cbranch_vccnz .LBB141_42
.LBB141_41:
	v_lshlrev_b32_e32 v0, 2, v0
	s_add_i32 s1, s1, s0
	s_add_u32 s0, s14, s2
	s_addc_u32 s1, s15, s1
	global_load_b32 v2, v0, s[0:1]
	s_waitcnt vmcnt(0)
	v_fmac_f32_e32 v1, s8, v2
	global_store_b32 v0, v1, s[0:1]
.LBB141_42:
	s_nop 0
	s_sendmsg sendmsg(MSG_DEALLOC_VGPRS)
	s_endpgm
.LBB141_43:
	s_branch .LBB141_41
	.section	.rodata,"a",@progbits
	.p2align	6, 0x0
	.amdhsa_kernel _ZN9rocsparseL20bsrxmvn_17_32_kernelILj30EfllfffEEvT2_20rocsparse_direction_NS_24const_host_device_scalarIT0_EES1_PKS1_PKT1_SA_S7_PKT3_PKT4_S5_PT5_21rocsparse_index_base_b
		.amdhsa_group_segment_fixed_size 3600
		.amdhsa_private_segment_fixed_size 0
		.amdhsa_kernarg_size 104
		.amdhsa_user_sgpr_count 15
		.amdhsa_user_sgpr_dispatch_ptr 0
		.amdhsa_user_sgpr_queue_ptr 0
		.amdhsa_user_sgpr_kernarg_segment_ptr 1
		.amdhsa_user_sgpr_dispatch_id 0
		.amdhsa_user_sgpr_private_segment_size 0
		.amdhsa_wavefront_size32 1
		.amdhsa_uses_dynamic_stack 0
		.amdhsa_enable_private_segment 0
		.amdhsa_system_sgpr_workgroup_id_x 1
		.amdhsa_system_sgpr_workgroup_id_y 0
		.amdhsa_system_sgpr_workgroup_id_z 0
		.amdhsa_system_sgpr_workgroup_info 0
		.amdhsa_system_vgpr_workitem_id 0
		.amdhsa_next_free_vgpr 16
		.amdhsa_next_free_sgpr 24
		.amdhsa_reserve_vcc 1
		.amdhsa_float_round_mode_32 0
		.amdhsa_float_round_mode_16_64 0
		.amdhsa_float_denorm_mode_32 3
		.amdhsa_float_denorm_mode_16_64 3
		.amdhsa_dx10_clamp 1
		.amdhsa_ieee_mode 1
		.amdhsa_fp16_overflow 0
		.amdhsa_workgroup_processor_mode 1
		.amdhsa_memory_ordered 1
		.amdhsa_forward_progress 0
		.amdhsa_shared_vgpr_count 0
		.amdhsa_exception_fp_ieee_invalid_op 0
		.amdhsa_exception_fp_denorm_src 0
		.amdhsa_exception_fp_ieee_div_zero 0
		.amdhsa_exception_fp_ieee_overflow 0
		.amdhsa_exception_fp_ieee_underflow 0
		.amdhsa_exception_fp_ieee_inexact 0
		.amdhsa_exception_int_div_zero 0
	.end_amdhsa_kernel
	.section	.text._ZN9rocsparseL20bsrxmvn_17_32_kernelILj30EfllfffEEvT2_20rocsparse_direction_NS_24const_host_device_scalarIT0_EES1_PKS1_PKT1_SA_S7_PKT3_PKT4_S5_PT5_21rocsparse_index_base_b,"axG",@progbits,_ZN9rocsparseL20bsrxmvn_17_32_kernelILj30EfllfffEEvT2_20rocsparse_direction_NS_24const_host_device_scalarIT0_EES1_PKS1_PKT1_SA_S7_PKT3_PKT4_S5_PT5_21rocsparse_index_base_b,comdat
.Lfunc_end141:
	.size	_ZN9rocsparseL20bsrxmvn_17_32_kernelILj30EfllfffEEvT2_20rocsparse_direction_NS_24const_host_device_scalarIT0_EES1_PKS1_PKT1_SA_S7_PKT3_PKT4_S5_PT5_21rocsparse_index_base_b, .Lfunc_end141-_ZN9rocsparseL20bsrxmvn_17_32_kernelILj30EfllfffEEvT2_20rocsparse_direction_NS_24const_host_device_scalarIT0_EES1_PKS1_PKT1_SA_S7_PKT3_PKT4_S5_PT5_21rocsparse_index_base_b
                                        ; -- End function
	.section	.AMDGPU.csdata,"",@progbits
; Kernel info:
; codeLenInByte = 1608
; NumSgprs: 26
; NumVgprs: 16
; ScratchSize: 0
; MemoryBound: 0
; FloatMode: 240
; IeeeMode: 1
; LDSByteSize: 3600 bytes/workgroup (compile time only)
; SGPRBlocks: 3
; VGPRBlocks: 1
; NumSGPRsForWavesPerEU: 26
; NumVGPRsForWavesPerEU: 16
; Occupancy: 15
; WaveLimiterHint : 1
; COMPUTE_PGM_RSRC2:SCRATCH_EN: 0
; COMPUTE_PGM_RSRC2:USER_SGPR: 15
; COMPUTE_PGM_RSRC2:TRAP_HANDLER: 0
; COMPUTE_PGM_RSRC2:TGID_X_EN: 1
; COMPUTE_PGM_RSRC2:TGID_Y_EN: 0
; COMPUTE_PGM_RSRC2:TGID_Z_EN: 0
; COMPUTE_PGM_RSRC2:TIDIG_COMP_CNT: 0
	.section	.text._ZN9rocsparseL20bsrxmvn_17_32_kernelILj31EfllfffEEvT2_20rocsparse_direction_NS_24const_host_device_scalarIT0_EES1_PKS1_PKT1_SA_S7_PKT3_PKT4_S5_PT5_21rocsparse_index_base_b,"axG",@progbits,_ZN9rocsparseL20bsrxmvn_17_32_kernelILj31EfllfffEEvT2_20rocsparse_direction_NS_24const_host_device_scalarIT0_EES1_PKS1_PKT1_SA_S7_PKT3_PKT4_S5_PT5_21rocsparse_index_base_b,comdat
	.globl	_ZN9rocsparseL20bsrxmvn_17_32_kernelILj31EfllfffEEvT2_20rocsparse_direction_NS_24const_host_device_scalarIT0_EES1_PKS1_PKT1_SA_S7_PKT3_PKT4_S5_PT5_21rocsparse_index_base_b ; -- Begin function _ZN9rocsparseL20bsrxmvn_17_32_kernelILj31EfllfffEEvT2_20rocsparse_direction_NS_24const_host_device_scalarIT0_EES1_PKS1_PKT1_SA_S7_PKT3_PKT4_S5_PT5_21rocsparse_index_base_b
	.p2align	8
	.type	_ZN9rocsparseL20bsrxmvn_17_32_kernelILj31EfllfffEEvT2_20rocsparse_direction_NS_24const_host_device_scalarIT0_EES1_PKS1_PKT1_SA_S7_PKT3_PKT4_S5_PT5_21rocsparse_index_base_b,@function
_ZN9rocsparseL20bsrxmvn_17_32_kernelILj31EfllfffEEvT2_20rocsparse_direction_NS_24const_host_device_scalarIT0_EES1_PKS1_PKT1_SA_S7_PKT3_PKT4_S5_PT5_21rocsparse_index_base_b: ; @_ZN9rocsparseL20bsrxmvn_17_32_kernelILj31EfllfffEEvT2_20rocsparse_direction_NS_24const_host_device_scalarIT0_EES1_PKS1_PKT1_SA_S7_PKT3_PKT4_S5_PT5_21rocsparse_index_base_b
; %bb.0:
	s_clause 0x2
	s_load_b64 s[16:17], s[0:1], 0x60
	s_load_b64 s[12:13], s[0:1], 0x10
	;; [unrolled: 1-line block ×3, first 2 shown]
	s_mov_b32 s10, s15
	s_waitcnt lgkmcnt(0)
	s_bitcmp1_b32 s17, 0
	s_cselect_b32 s2, -1, 0
	s_delay_alu instid0(SALU_CYCLE_1)
	s_and_b32 vcc_lo, exec_lo, s2
	s_xor_b32 s2, s2, -1
	s_cbranch_vccnz .LBB142_2
; %bb.1:
	s_load_b32 s12, s[12:13], 0x0
.LBB142_2:
	s_and_not1_b32 vcc_lo, exec_lo, s2
	s_cbranch_vccnz .LBB142_4
; %bb.3:
	s_load_b32 s8, s[8:9], 0x0
.LBB142_4:
	s_waitcnt lgkmcnt(0)
	v_cmp_neq_f32_e64 s2, s12, 0
	v_cmp_neq_f32_e64 s3, s8, 1.0
	s_mov_b32 s11, 0
	s_delay_alu instid0(VALU_DEP_1) | instskip(NEXT) | instid1(SALU_CYCLE_1)
	s_or_b32 s2, s2, s3
	s_and_not1_b32 vcc_lo, exec_lo, s2
	s_cbranch_vccnz .LBB142_42
; %bb.5:
	s_clause 0x1
	s_load_b128 s[4:7], s[0:1], 0x20
	s_load_b64 s[14:15], s[0:1], 0x30
	s_waitcnt lgkmcnt(0)
	s_cmp_eq_u64 s[4:5], 0
	s_cbranch_scc1 .LBB142_7
; %bb.6:
	s_lshl_b64 s[2:3], s[10:11], 3
	s_delay_alu instid0(SALU_CYCLE_1)
	s_add_u32 s2, s4, s2
	s_addc_u32 s3, s5, s3
	s_load_b64 s[2:3], s[2:3], 0x0
	s_waitcnt lgkmcnt(0)
	s_sub_u32 s10, s2, s16
	s_subb_u32 s11, s3, 0
.LBB142_7:
	s_load_b32 s3, s[0:1], 0x8
	v_mul_u32_u24_e32 v1, 0x843, v0
	v_dual_mov_b32 v2, 0 :: v_dual_lshlrev_b32 v9, 2, v0
	s_delay_alu instid0(VALU_DEP_2) | instskip(NEXT) | instid1(VALU_DEP_1)
	v_lshrrev_b32_e32 v1, 16, v1
	v_mul_lo_u16 v3, v1, 31
	s_delay_alu instid0(VALU_DEP_1)
	v_sub_nc_u16 v10, v0, v3
	s_waitcnt lgkmcnt(0)
	s_cmp_eq_u32 s3, 1
	s_cselect_b32 s2, -1, 0
	s_cmp_lg_u32 s3, 1
	s_cselect_b32 s9, -1, 0
	s_lshl_b64 s[4:5], s[10:11], 3
	s_delay_alu instid0(SALU_CYCLE_1)
	s_add_u32 s6, s6, s4
	s_addc_u32 s7, s7, s5
	s_add_u32 s3, s6, 8
	s_addc_u32 s13, s7, 0
	;; [unrolled: 2-line block ×3, first 2 shown]
	s_cmp_eq_u64 s[14:15], 0
	s_load_b64 s[14:15], s[0:1], 0x58
	s_cselect_b32 s5, s13, s5
	s_cselect_b32 s4, s3, s4
	s_load_b64 s[18:19], s[6:7], 0x0
	s_load_b64 s[20:21], s[4:5], 0x0
	s_waitcnt lgkmcnt(0)
	v_cmp_ge_i64_e64 s3, s[18:19], s[20:21]
	s_delay_alu instid0(VALU_DEP_1)
	s_and_b32 vcc_lo, exec_lo, s3
	s_cbranch_vccnz .LBB142_12
; %bb.8:
	v_dual_mov_b32 v2, 0 :: v_dual_and_b32 v1, 0xffff, v1
	v_cmp_gt_u32_e32 vcc_lo, 0x3c1, v0
	s_clause 0x1
	s_load_b128 s[4:7], s[0:1], 0x38
	s_load_b64 s[22:23], s[0:1], 0x48
	s_sub_u32 s0, s20, s16
	v_subrev_nc_u32_e32 v3, 31, v1
	v_and_b32_e32 v4, 0xffff, v10
	s_subb_u32 s1, s21, 0
	s_delay_alu instid0(VALU_DEP_2) | instskip(SKIP_1) | instid1(VALU_DEP_2)
	v_cndmask_b32_e32 v1, v3, v1, vcc_lo
	v_cmp_lt_u32_e32 vcc_lo, 0x3c0, v0
	v_cndmask_b32_e64 v1, v4, v1, s2
	v_cndmask_b32_e64 v11, 0, 1, vcc_lo
	s_sub_u32 s2, s18, s16
	s_subb_u32 s3, s19, 0
	s_mul_hi_u32 s13, s2, 0xf04
	v_lshlrev_b64 v[3:4], 2, v[1:2]
	v_add_co_u32 v1, s18, s18, v11
	s_delay_alu instid0(VALU_DEP_1) | instskip(SKIP_2) | instid1(VALU_DEP_3)
	v_add_co_ci_u32_e64 v6, null, s19, 0, s18
	s_mul_i32 s17, s3, 0xf04
	s_waitcnt lgkmcnt(0)
	v_add_co_u32 v3, vcc_lo, s22, v3
	v_add_co_ci_u32_e32 v4, vcc_lo, s23, v4, vcc_lo
	v_sub_co_u32 v5, vcc_lo, v1, s16
	v_subrev_co_ci_u32_e32 v6, vcc_lo, 0, v6, vcc_lo
	v_lshlrev_b32_e32 v1, 2, v0
	s_add_i32 s13, s13, s17
	s_mul_i32 s17, s2, 0xf04
	s_delay_alu instid0(VALU_DEP_2) | instskip(SKIP_3) | instid1(VALU_DEP_1)
	v_lshlrev_b64 v[7:8], 3, v[5:6]
	s_add_u32 s6, s6, s17
	s_addc_u32 s7, s7, s13
	v_add_co_u32 v5, s6, s6, v1
	v_add_co_ci_u32_e64 v6, null, s7, 0, s6
	s_delay_alu instid0(VALU_DEP_3)
	v_add_co_u32 v7, vcc_lo, s4, v7
	v_add_co_ci_u32_e32 v8, vcc_lo, s5, v8, vcc_lo
	s_set_inst_prefetch_distance 0x1
	s_branch .LBB142_10
	.p2align	6
.LBB142_9:                              ;   in Loop: Header=BB142_10 Depth=1
	s_or_b32 exec_lo, exec_lo, s4
	s_add_u32 s2, s2, 1
	s_addc_u32 s3, s3, 0
	v_add_co_u32 v7, vcc_lo, v7, 8
	v_cmp_lt_i64_e64 s4, s[2:3], s[0:1]
	v_add_co_ci_u32_e32 v8, vcc_lo, 0, v8, vcc_lo
	s_delay_alu instid0(VALU_DEP_2)
	s_and_b32 vcc_lo, exec_lo, s4
	s_cbranch_vccz .LBB142_12
.LBB142_10:                             ; =>This Inner Loop Header: Depth=1
	v_add_co_u32 v12, s4, v11, s2
	s_delay_alu instid0(VALU_DEP_1) | instskip(SKIP_1) | instid1(VALU_DEP_1)
	v_add_co_ci_u32_e64 v13, null, 0, s3, s4
	s_mov_b32 s4, exec_lo
	v_cmpx_gt_i64_e64 s[0:1], v[12:13]
	s_cbranch_execz .LBB142_9
; %bb.11:                               ;   in Loop: Header=BB142_10 Depth=1
	global_load_b64 v[12:13], v[7:8], off
	s_waitcnt vmcnt(0)
	v_sub_co_u32 v1, vcc_lo, v12, s16
	v_subrev_co_ci_u32_e32 v15, vcc_lo, 0, v13, vcc_lo
	s_delay_alu instid0(VALU_DEP_2) | instskip(NEXT) | instid1(VALU_DEP_1)
	v_mad_u64_u32 v[12:13], null, 0x7c, v1, v[3:4]
	v_mov_b32_e32 v1, v13
	s_delay_alu instid0(VALU_DEP_1)
	v_mad_u64_u32 v[13:14], null, 0x7c, v15, v[1:2]
	global_load_b32 v1, v[5:6], off
	global_load_b32 v12, v[12:13], off
	v_add_co_u32 v5, vcc_lo, 0xf04, v5
	v_add_co_ci_u32_e32 v6, vcc_lo, 0, v6, vcc_lo
	s_waitcnt vmcnt(0)
	v_fmac_f32_e32 v2, v1, v12
	s_branch .LBB142_9
.LBB142_12:
	s_set_inst_prefetch_distance 0x2
	s_and_b32 vcc_lo, exec_lo, s9
	ds_store_b32 v9, v2
	s_waitcnt lgkmcnt(0)
	s_barrier
	buffer_gl0_inv
	s_cbranch_vccz .LBB142_24
; %bb.13:
	s_mov_b32 s0, exec_lo
	v_cmpx_gt_u16_e32 15, v10
	s_cbranch_execz .LBB142_15
; %bb.14:
	ds_load_2addr_b32 v[3:4], v9 offset1:16
	s_waitcnt lgkmcnt(0)
	v_add_f32_e32 v1, v4, v3
	ds_store_b32 v9, v1
.LBB142_15:
	s_or_b32 exec_lo, exec_lo, s0
	s_delay_alu instid0(SALU_CYCLE_1)
	s_mov_b32 s0, exec_lo
	s_waitcnt lgkmcnt(0)
	s_barrier
	buffer_gl0_inv
	v_cmpx_gt_u16_e32 8, v10
	s_cbranch_execz .LBB142_17
; %bb.16:
	ds_load_2addr_b32 v[3:4], v9 offset1:8
	s_waitcnt lgkmcnt(0)
	v_add_f32_e32 v1, v4, v3
	ds_store_b32 v9, v1
.LBB142_17:
	s_or_b32 exec_lo, exec_lo, s0
	s_delay_alu instid0(SALU_CYCLE_1)
	s_mov_b32 s0, exec_lo
	s_waitcnt lgkmcnt(0)
	s_barrier
	buffer_gl0_inv
	;; [unrolled: 14-line block ×3, first 2 shown]
	v_cmpx_gt_u16_e32 2, v10
	s_cbranch_execz .LBB142_21
; %bb.20:
	ds_load_2addr_b32 v[3:4], v9 offset1:2
	s_waitcnt lgkmcnt(0)
	v_add_f32_e32 v1, v4, v3
	ds_store_b32 v9, v1
.LBB142_21:
	s_or_b32 exec_lo, exec_lo, s0
	s_mov_b32 s1, 0
	s_mov_b32 s0, 0
	s_mov_b32 s2, exec_lo
	s_waitcnt lgkmcnt(0)
	s_barrier
	buffer_gl0_inv
                                        ; implicit-def: $vgpr1
                                        ; implicit-def: $vgpr3
	v_cmpx_gt_u32_e32 31, v0
	s_xor_b32 s2, exec_lo, s2
; %bb.22:
	v_mad_u32_u24 v1, v0, 31, 1
	v_mad_u32_u24 v3, 0x78, v0, v9
	s_mov_b32 s0, exec_lo
; %bb.23:
	s_or_b32 exec_lo, exec_lo, s2
	s_delay_alu instid0(SALU_CYCLE_1)
	s_and_b32 vcc_lo, exec_lo, s1
	s_cbranch_vccnz .LBB142_25
	s_branch .LBB142_36
.LBB142_24:
	s_mov_b32 s0, 0
                                        ; implicit-def: $vgpr1
                                        ; implicit-def: $vgpr3
	s_cbranch_execz .LBB142_36
.LBB142_25:
	s_mov_b32 s1, exec_lo
	v_cmpx_gt_u32_e32 0x1d1, v0
	s_cbranch_execz .LBB142_27
; %bb.26:
	ds_load_b32 v1, v9 offset:1984
	ds_load_b32 v3, v9
	s_waitcnt lgkmcnt(0)
	v_add_f32_e32 v1, v1, v3
	ds_store_b32 v9, v1
.LBB142_27:
	s_or_b32 exec_lo, exec_lo, s1
	s_delay_alu instid0(SALU_CYCLE_1)
	s_mov_b32 s1, exec_lo
	s_waitcnt lgkmcnt(0)
	s_barrier
	buffer_gl0_inv
	v_cmpx_gt_u32_e32 0xf8, v0
	s_cbranch_execz .LBB142_29
; %bb.28:
	ds_load_2addr_b32 v[3:4], v9 offset1:248
	s_waitcnt lgkmcnt(0)
	v_add_f32_e32 v1, v4, v3
	ds_store_b32 v9, v1
.LBB142_29:
	s_or_b32 exec_lo, exec_lo, s1
	s_delay_alu instid0(SALU_CYCLE_1)
	s_mov_b32 s1, exec_lo
	s_waitcnt lgkmcnt(0)
	s_barrier
	buffer_gl0_inv
	v_cmpx_gt_u32_e32 0x7c, v0
	s_cbranch_execz .LBB142_31
; %bb.30:
	ds_load_2addr_b32 v[3:4], v9 offset1:124
	s_waitcnt lgkmcnt(0)
	v_add_f32_e32 v1, v4, v3
	ds_store_b32 v9, v1
.LBB142_31:
	;; [unrolled: 14-line block ×3, first 2 shown]
	s_or_b32 exec_lo, exec_lo, s1
	s_delay_alu instid0(SALU_CYCLE_1)
	s_mov_b32 s1, exec_lo
	s_waitcnt lgkmcnt(0)
	buffer_gl0_inv
                                        ; implicit-def: $vgpr1
	v_cmpx_gt_u32_e32 31, v0
; %bb.34:
	v_add_nc_u32_e32 v1, 31, v0
	s_or_b32 s0, s0, exec_lo
                                        ; implicit-def: $vgpr2
; %bb.35:
	s_or_b32 exec_lo, exec_lo, s1
	v_mov_b32_e32 v3, v9
.LBB142_36:
	s_and_saveexec_b32 s1, s0
	s_cbranch_execz .LBB142_38
; %bb.37:
	v_lshlrev_b32_e32 v1, 2, v1
	ds_load_b32 v2, v3
	ds_load_b32 v1, v1
	s_waitcnt lgkmcnt(0)
	v_add_f32_e32 v2, v2, v1
.LBB142_38:
	s_or_b32 exec_lo, exec_lo, s1
	s_delay_alu instid0(SALU_CYCLE_1)
	s_mov_b32 s0, exec_lo
	v_cmpx_gt_u32_e32 31, v0
	s_cbranch_execz .LBB142_42
; %bb.39:
	v_cmp_eq_f32_e64 s1, s8, 0
	v_mul_f32_e32 v1, s12, v2
	s_mov_b32 s3, 0
	s_mul_i32 s0, s11, 0x7c
	s_mul_i32 s2, s10, 0x7c
	s_and_b32 vcc_lo, exec_lo, s1
	s_mul_hi_u32 s1, s10, 0x7c
	s_cbranch_vccz .LBB142_43
; %bb.40:
	v_lshlrev_b32_e32 v2, 2, v0
	s_add_i32 s5, s1, s0
	s_add_u32 s4, s14, s2
	s_addc_u32 s5, s15, s5
	global_store_b32 v2, v1, s[4:5]
	s_and_not1_b32 vcc_lo, exec_lo, s3
	s_cbranch_vccnz .LBB142_42
.LBB142_41:
	v_lshlrev_b32_e32 v0, 2, v0
	s_add_i32 s1, s1, s0
	s_add_u32 s0, s14, s2
	s_addc_u32 s1, s15, s1
	global_load_b32 v2, v0, s[0:1]
	s_waitcnt vmcnt(0)
	v_fmac_f32_e32 v1, s8, v2
	global_store_b32 v0, v1, s[0:1]
.LBB142_42:
	s_nop 0
	s_sendmsg sendmsg(MSG_DEALLOC_VGPRS)
	s_endpgm
.LBB142_43:
	s_branch .LBB142_41
	.section	.rodata,"a",@progbits
	.p2align	6, 0x0
	.amdhsa_kernel _ZN9rocsparseL20bsrxmvn_17_32_kernelILj31EfllfffEEvT2_20rocsparse_direction_NS_24const_host_device_scalarIT0_EES1_PKS1_PKT1_SA_S7_PKT3_PKT4_S5_PT5_21rocsparse_index_base_b
		.amdhsa_group_segment_fixed_size 3844
		.amdhsa_private_segment_fixed_size 0
		.amdhsa_kernarg_size 104
		.amdhsa_user_sgpr_count 15
		.amdhsa_user_sgpr_dispatch_ptr 0
		.amdhsa_user_sgpr_queue_ptr 0
		.amdhsa_user_sgpr_kernarg_segment_ptr 1
		.amdhsa_user_sgpr_dispatch_id 0
		.amdhsa_user_sgpr_private_segment_size 0
		.amdhsa_wavefront_size32 1
		.amdhsa_uses_dynamic_stack 0
		.amdhsa_enable_private_segment 0
		.amdhsa_system_sgpr_workgroup_id_x 1
		.amdhsa_system_sgpr_workgroup_id_y 0
		.amdhsa_system_sgpr_workgroup_id_z 0
		.amdhsa_system_sgpr_workgroup_info 0
		.amdhsa_system_vgpr_workitem_id 0
		.amdhsa_next_free_vgpr 16
		.amdhsa_next_free_sgpr 24
		.amdhsa_reserve_vcc 1
		.amdhsa_float_round_mode_32 0
		.amdhsa_float_round_mode_16_64 0
		.amdhsa_float_denorm_mode_32 3
		.amdhsa_float_denorm_mode_16_64 3
		.amdhsa_dx10_clamp 1
		.amdhsa_ieee_mode 1
		.amdhsa_fp16_overflow 0
		.amdhsa_workgroup_processor_mode 1
		.amdhsa_memory_ordered 1
		.amdhsa_forward_progress 0
		.amdhsa_shared_vgpr_count 0
		.amdhsa_exception_fp_ieee_invalid_op 0
		.amdhsa_exception_fp_denorm_src 0
		.amdhsa_exception_fp_ieee_div_zero 0
		.amdhsa_exception_fp_ieee_overflow 0
		.amdhsa_exception_fp_ieee_underflow 0
		.amdhsa_exception_fp_ieee_inexact 0
		.amdhsa_exception_int_div_zero 0
	.end_amdhsa_kernel
	.section	.text._ZN9rocsparseL20bsrxmvn_17_32_kernelILj31EfllfffEEvT2_20rocsparse_direction_NS_24const_host_device_scalarIT0_EES1_PKS1_PKT1_SA_S7_PKT3_PKT4_S5_PT5_21rocsparse_index_base_b,"axG",@progbits,_ZN9rocsparseL20bsrxmvn_17_32_kernelILj31EfllfffEEvT2_20rocsparse_direction_NS_24const_host_device_scalarIT0_EES1_PKS1_PKT1_SA_S7_PKT3_PKT4_S5_PT5_21rocsparse_index_base_b,comdat
.Lfunc_end142:
	.size	_ZN9rocsparseL20bsrxmvn_17_32_kernelILj31EfllfffEEvT2_20rocsparse_direction_NS_24const_host_device_scalarIT0_EES1_PKS1_PKT1_SA_S7_PKT3_PKT4_S5_PT5_21rocsparse_index_base_b, .Lfunc_end142-_ZN9rocsparseL20bsrxmvn_17_32_kernelILj31EfllfffEEvT2_20rocsparse_direction_NS_24const_host_device_scalarIT0_EES1_PKS1_PKT1_SA_S7_PKT3_PKT4_S5_PT5_21rocsparse_index_base_b
                                        ; -- End function
	.section	.AMDGPU.csdata,"",@progbits
; Kernel info:
; codeLenInByte = 1604
; NumSgprs: 26
; NumVgprs: 16
; ScratchSize: 0
; MemoryBound: 0
; FloatMode: 240
; IeeeMode: 1
; LDSByteSize: 3844 bytes/workgroup (compile time only)
; SGPRBlocks: 3
; VGPRBlocks: 1
; NumSGPRsForWavesPerEU: 26
; NumVGPRsForWavesPerEU: 16
; Occupancy: 16
; WaveLimiterHint : 1
; COMPUTE_PGM_RSRC2:SCRATCH_EN: 0
; COMPUTE_PGM_RSRC2:USER_SGPR: 15
; COMPUTE_PGM_RSRC2:TRAP_HANDLER: 0
; COMPUTE_PGM_RSRC2:TGID_X_EN: 1
; COMPUTE_PGM_RSRC2:TGID_Y_EN: 0
; COMPUTE_PGM_RSRC2:TGID_Z_EN: 0
; COMPUTE_PGM_RSRC2:TIDIG_COMP_CNT: 0
	.section	.text._ZN9rocsparseL20bsrxmvn_17_32_kernelILj32EfllfffEEvT2_20rocsparse_direction_NS_24const_host_device_scalarIT0_EES1_PKS1_PKT1_SA_S7_PKT3_PKT4_S5_PT5_21rocsparse_index_base_b,"axG",@progbits,_ZN9rocsparseL20bsrxmvn_17_32_kernelILj32EfllfffEEvT2_20rocsparse_direction_NS_24const_host_device_scalarIT0_EES1_PKS1_PKT1_SA_S7_PKT3_PKT4_S5_PT5_21rocsparse_index_base_b,comdat
	.globl	_ZN9rocsparseL20bsrxmvn_17_32_kernelILj32EfllfffEEvT2_20rocsparse_direction_NS_24const_host_device_scalarIT0_EES1_PKS1_PKT1_SA_S7_PKT3_PKT4_S5_PT5_21rocsparse_index_base_b ; -- Begin function _ZN9rocsparseL20bsrxmvn_17_32_kernelILj32EfllfffEEvT2_20rocsparse_direction_NS_24const_host_device_scalarIT0_EES1_PKS1_PKT1_SA_S7_PKT3_PKT4_S5_PT5_21rocsparse_index_base_b
	.p2align	8
	.type	_ZN9rocsparseL20bsrxmvn_17_32_kernelILj32EfllfffEEvT2_20rocsparse_direction_NS_24const_host_device_scalarIT0_EES1_PKS1_PKT1_SA_S7_PKT3_PKT4_S5_PT5_21rocsparse_index_base_b,@function
_ZN9rocsparseL20bsrxmvn_17_32_kernelILj32EfllfffEEvT2_20rocsparse_direction_NS_24const_host_device_scalarIT0_EES1_PKS1_PKT1_SA_S7_PKT3_PKT4_S5_PT5_21rocsparse_index_base_b: ; @_ZN9rocsparseL20bsrxmvn_17_32_kernelILj32EfllfffEEvT2_20rocsparse_direction_NS_24const_host_device_scalarIT0_EES1_PKS1_PKT1_SA_S7_PKT3_PKT4_S5_PT5_21rocsparse_index_base_b
; %bb.0:
	s_mov_b32 s10, s15
	s_clause 0x2
	s_load_b64 s[14:15], s[0:1], 0x60
	s_load_b64 s[12:13], s[0:1], 0x10
	;; [unrolled: 1-line block ×3, first 2 shown]
	s_waitcnt lgkmcnt(0)
	s_bitcmp1_b32 s15, 0
	s_cselect_b32 s2, -1, 0
	s_delay_alu instid0(SALU_CYCLE_1)
	s_and_b32 vcc_lo, exec_lo, s2
	s_xor_b32 s2, s2, -1
	s_cbranch_vccnz .LBB143_2
; %bb.1:
	s_load_b32 s12, s[12:13], 0x0
.LBB143_2:
	s_and_not1_b32 vcc_lo, exec_lo, s2
	s_cbranch_vccnz .LBB143_4
; %bb.3:
	s_load_b32 s8, s[8:9], 0x0
.LBB143_4:
	s_waitcnt lgkmcnt(0)
	v_cmp_neq_f32_e64 s2, s12, 0
	v_cmp_neq_f32_e64 s3, s8, 1.0
	s_mov_b32 s11, 0
	s_delay_alu instid0(VALU_DEP_1) | instskip(NEXT) | instid1(SALU_CYCLE_1)
	s_or_b32 s2, s2, s3
	s_and_not1_b32 vcc_lo, exec_lo, s2
	s_cbranch_vccnz .LBB143_40
; %bb.5:
	s_clause 0x1
	s_load_b128 s[4:7], s[0:1], 0x20
	s_load_b64 s[16:17], s[0:1], 0x30
	s_mov_b32 s15, s11
	s_waitcnt lgkmcnt(0)
	s_cmp_eq_u64 s[4:5], 0
	s_cbranch_scc1 .LBB143_7
; %bb.6:
	s_lshl_b64 s[2:3], s[10:11], 3
	s_delay_alu instid0(SALU_CYCLE_1)
	s_add_u32 s2, s4, s2
	s_addc_u32 s3, s5, s3
	s_load_b64 s[2:3], s[2:3], 0x0
	s_waitcnt lgkmcnt(0)
	s_sub_u32 s10, s2, s14
	s_subb_u32 s11, s3, 0
.LBB143_7:
	s_load_b32 s3, s[0:1], 0x8
	v_dual_mov_b32 v3, 0 :: v_dual_and_b32 v4, 31, v0
	s_waitcnt lgkmcnt(0)
	s_cmp_eq_u32 s3, 1
	s_cselect_b32 s2, -1, 0
	s_cmp_lg_u32 s3, 1
	s_cselect_b32 s9, -1, 0
	s_lshl_b64 s[4:5], s[10:11], 3
	s_delay_alu instid0(SALU_CYCLE_1)
	s_add_u32 s6, s6, s4
	s_addc_u32 s7, s7, s5
	s_add_u32 s3, s6, 8
	s_addc_u32 s13, s7, 0
	;; [unrolled: 2-line block ×3, first 2 shown]
	s_cmp_eq_u64 s[16:17], 0
	s_cselect_b32 s5, s13, s5
	s_cselect_b32 s4, s3, s4
	s_load_b64 s[6:7], s[6:7], 0x0
	s_load_b64 s[16:17], s[4:5], 0x0
	;; [unrolled: 1-line block ×3, first 2 shown]
	s_waitcnt lgkmcnt(0)
	v_cmp_ge_i64_e64 s3, s[6:7], s[16:17]
	s_delay_alu instid0(VALU_DEP_1)
	s_and_b32 vcc_lo, exec_lo, s3
	s_cbranch_vccnz .LBB143_10
; %bb.8:
	s_clause 0x1
	s_load_b64 s[18:19], s[0:1], 0x48
	s_load_b128 s[20:23], s[0:1], 0x38
	v_lshrrev_b32_e32 v1, 5, v0
	s_sub_u32 s0, s16, s14
	s_subb_u32 s1, s17, 0
	v_mov_b32_e32 v3, 0
	s_delay_alu instid0(VALU_DEP_2)
	v_cndmask_b32_e64 v1, v4, v1, s2
	s_sub_u32 s2, s6, s14
	s_subb_u32 s3, s7, 0
	s_lshl_b64 s[6:7], s[6:7], 3
	s_lshl_b64 s[16:17], s[2:3], 12
	v_lshlrev_b32_e32 v1, 2, v1
	v_lshl_or_b32 v2, v0, 2, s16
	v_mov_b32_e32 v7, s17
	s_lshl_b64 s[24:25], s[14:15], 3
	s_delay_alu instid0(SALU_CYCLE_1)
	s_sub_u32 s6, s6, s24
	s_subb_u32 s7, s7, s25
	s_waitcnt lgkmcnt(0)
	v_add_co_u32 v5, s13, s18, v1
	v_add_co_u32 v1, vcc_lo, s22, v2
	v_add_co_ci_u32_e64 v6, null, s19, 0, s13
	v_add_co_ci_u32_e32 v2, vcc_lo, s23, v7, vcc_lo
	s_add_u32 s6, s20, s6
	s_addc_u32 s7, s21, s7
	.p2align	6
.LBB143_9:                              ; =>This Inner Loop Header: Depth=1
	s_load_b64 s[16:17], s[6:7], 0x0
	s_waitcnt lgkmcnt(0)
	s_sub_u32 s16, s16, s14
	s_subb_u32 s17, s17, 0
	s_delay_alu instid0(SALU_CYCLE_1)
	s_lshl_b64 s[16:17], s[16:17], 7
	s_add_u32 s2, s2, 1
	v_add_co_u32 v7, vcc_lo, v5, s16
	v_add_co_ci_u32_e32 v8, vcc_lo, s17, v6, vcc_lo
	s_addc_u32 s3, s3, 0
	s_add_u32 s6, s6, 8
	global_load_b32 v9, v[1:2], off
	global_load_b32 v7, v[7:8], off
	v_cmp_lt_i64_e64 s13, s[2:3], s[0:1]
	v_add_co_u32 v1, vcc_lo, 0x1000, v1
	v_add_co_ci_u32_e32 v2, vcc_lo, 0, v2, vcc_lo
	s_addc_u32 s7, s7, 0
	s_delay_alu instid0(VALU_DEP_3)
	s_and_b32 vcc_lo, exec_lo, s13
	s_waitcnt vmcnt(0)
	v_fmac_f32_e32 v3, v9, v7
	s_cbranch_vccnz .LBB143_9
.LBB143_10:
	v_lshlrev_b32_e32 v1, 2, v0
	s_and_b32 vcc_lo, exec_lo, s9
	ds_store_b32 v1, v3
	s_waitcnt lgkmcnt(0)
	s_barrier
	buffer_gl0_inv
	s_cbranch_vccz .LBB143_22
; %bb.11:
	s_mov_b32 s0, exec_lo
	v_cmpx_gt_u32_e32 16, v4
	s_cbranch_execz .LBB143_13
; %bb.12:
	ds_load_2addr_b32 v[5:6], v1 offset1:16
	s_waitcnt lgkmcnt(0)
	v_add_f32_e32 v2, v6, v5
	ds_store_b32 v1, v2
.LBB143_13:
	s_or_b32 exec_lo, exec_lo, s0
	s_delay_alu instid0(SALU_CYCLE_1)
	s_mov_b32 s0, exec_lo
	s_waitcnt lgkmcnt(0)
	s_barrier
	buffer_gl0_inv
	v_cmpx_gt_u32_e32 8, v4
	s_cbranch_execz .LBB143_15
; %bb.14:
	ds_load_2addr_b32 v[5:6], v1 offset1:8
	s_waitcnt lgkmcnt(0)
	v_add_f32_e32 v2, v6, v5
	ds_store_b32 v1, v2
.LBB143_15:
	s_or_b32 exec_lo, exec_lo, s0
	s_delay_alu instid0(SALU_CYCLE_1)
	s_mov_b32 s0, exec_lo
	s_waitcnt lgkmcnt(0)
	s_barrier
	buffer_gl0_inv
	;; [unrolled: 14-line block ×3, first 2 shown]
	v_cmpx_gt_u32_e32 2, v4
	s_cbranch_execz .LBB143_19
; %bb.18:
	ds_load_2addr_b32 v[4:5], v1 offset1:2
	s_waitcnt lgkmcnt(0)
	v_add_f32_e32 v2, v5, v4
	ds_store_b32 v1, v2
.LBB143_19:
	s_or_b32 exec_lo, exec_lo, s0
	s_mov_b32 s1, 0
	s_mov_b32 s0, 0
	s_mov_b32 s2, exec_lo
	s_waitcnt lgkmcnt(0)
	s_barrier
	buffer_gl0_inv
                                        ; implicit-def: $vgpr2
                                        ; implicit-def: $vgpr4
	v_cmpx_gt_u32_e32 32, v0
	s_xor_b32 s2, exec_lo, s2
; %bb.20:
	v_lshl_or_b32 v2, v0, 5, 1
	v_mad_u32_u24 v4, 0x7c, v0, v1
	s_mov_b32 s0, exec_lo
; %bb.21:
	s_or_b32 exec_lo, exec_lo, s2
	s_delay_alu instid0(SALU_CYCLE_1)
	s_and_b32 vcc_lo, exec_lo, s1
	s_cbranch_vccnz .LBB143_23
	s_branch .LBB143_34
.LBB143_22:
	s_mov_b32 s0, 0
                                        ; implicit-def: $vgpr2
                                        ; implicit-def: $vgpr4
	s_cbranch_execz .LBB143_34
.LBB143_23:
	s_mov_b32 s1, exec_lo
	v_cmpx_gt_u32_e32 0x200, v0
	s_cbranch_execz .LBB143_25
; %bb.24:
	ds_load_2addr_stride64_b32 v[4:5], v1 offset1:8
	s_waitcnt lgkmcnt(0)
	v_add_f32_e32 v2, v5, v4
	ds_store_b32 v1, v2
.LBB143_25:
	s_or_b32 exec_lo, exec_lo, s1
	s_delay_alu instid0(SALU_CYCLE_1)
	s_mov_b32 s1, exec_lo
	s_waitcnt lgkmcnt(0)
	s_barrier
	buffer_gl0_inv
	v_cmpx_gt_u32_e32 0x100, v0
	s_cbranch_execz .LBB143_27
; %bb.26:
	ds_load_2addr_stride64_b32 v[4:5], v1 offset1:4
	s_waitcnt lgkmcnt(0)
	v_add_f32_e32 v2, v5, v4
	ds_store_b32 v1, v2
.LBB143_27:
	s_or_b32 exec_lo, exec_lo, s1
	s_delay_alu instid0(SALU_CYCLE_1)
	s_mov_b32 s1, exec_lo
	s_waitcnt lgkmcnt(0)
	s_barrier
	buffer_gl0_inv
	;; [unrolled: 14-line block ×3, first 2 shown]
	v_cmpx_gt_u32_e32 64, v0
	s_cbranch_execz .LBB143_31
; %bb.30:
	ds_load_2addr_stride64_b32 v[4:5], v1 offset1:1
	s_waitcnt lgkmcnt(0)
	v_add_f32_e32 v2, v5, v4
	ds_store_b32 v1, v2
.LBB143_31:
	s_or_b32 exec_lo, exec_lo, s1
	s_delay_alu instid0(SALU_CYCLE_1)
	s_mov_b32 s1, exec_lo
	s_waitcnt lgkmcnt(0)
	buffer_gl0_inv
                                        ; implicit-def: $vgpr2
	v_cmpx_gt_u32_e32 32, v0
; %bb.32:
	v_or_b32_e32 v2, 32, v0
	s_or_b32 s0, s0, exec_lo
                                        ; implicit-def: $vgpr3
; %bb.33:
	s_or_b32 exec_lo, exec_lo, s1
	v_mov_b32_e32 v4, v1
.LBB143_34:
	s_and_saveexec_b32 s1, s0
	s_cbranch_execz .LBB143_36
; %bb.35:
	v_lshlrev_b32_e32 v1, 2, v2
	ds_load_b32 v2, v4
	ds_load_b32 v1, v1
	s_waitcnt lgkmcnt(0)
	v_add_f32_e32 v3, v2, v1
.LBB143_36:
	s_or_b32 exec_lo, exec_lo, s1
	s_delay_alu instid0(SALU_CYCLE_1)
	s_mov_b32 s0, exec_lo
	v_cmpx_gt_u32_e32 32, v0
	s_cbranch_execz .LBB143_40
; %bb.37:
	v_cmp_eq_f32_e64 s0, s8, 0
	v_mul_f32_e32 v1, s12, v3
	s_delay_alu instid0(VALU_DEP_2)
	s_and_b32 vcc_lo, exec_lo, s0
	s_mov_b32 s0, 0
	s_cbranch_vccz .LBB143_41
; %bb.38:
	s_lshl_b64 s[2:3], s[10:11], 7
	v_lshlrev_b32_e32 v2, 2, v0
	s_add_u32 s2, s4, s2
	s_addc_u32 s3, s5, s3
	global_store_b32 v2, v1, s[2:3]
	s_and_not1_b32 vcc_lo, exec_lo, s0
	s_cbranch_vccnz .LBB143_40
.LBB143_39:
	s_lshl_b64 s[0:1], s[10:11], 7
	v_lshlrev_b32_e32 v0, 2, v0
	s_add_u32 s0, s4, s0
	s_addc_u32 s1, s5, s1
	global_load_b32 v2, v0, s[0:1]
	s_waitcnt vmcnt(0)
	v_fmac_f32_e32 v1, s8, v2
	global_store_b32 v0, v1, s[0:1]
.LBB143_40:
	s_nop 0
	s_sendmsg sendmsg(MSG_DEALLOC_VGPRS)
	s_endpgm
.LBB143_41:
	s_branch .LBB143_39
	.section	.rodata,"a",@progbits
	.p2align	6, 0x0
	.amdhsa_kernel _ZN9rocsparseL20bsrxmvn_17_32_kernelILj32EfllfffEEvT2_20rocsparse_direction_NS_24const_host_device_scalarIT0_EES1_PKS1_PKT1_SA_S7_PKT3_PKT4_S5_PT5_21rocsparse_index_base_b
		.amdhsa_group_segment_fixed_size 4096
		.amdhsa_private_segment_fixed_size 0
		.amdhsa_kernarg_size 104
		.amdhsa_user_sgpr_count 15
		.amdhsa_user_sgpr_dispatch_ptr 0
		.amdhsa_user_sgpr_queue_ptr 0
		.amdhsa_user_sgpr_kernarg_segment_ptr 1
		.amdhsa_user_sgpr_dispatch_id 0
		.amdhsa_user_sgpr_private_segment_size 0
		.amdhsa_wavefront_size32 1
		.amdhsa_uses_dynamic_stack 0
		.amdhsa_enable_private_segment 0
		.amdhsa_system_sgpr_workgroup_id_x 1
		.amdhsa_system_sgpr_workgroup_id_y 0
		.amdhsa_system_sgpr_workgroup_id_z 0
		.amdhsa_system_sgpr_workgroup_info 0
		.amdhsa_system_vgpr_workitem_id 0
		.amdhsa_next_free_vgpr 10
		.amdhsa_next_free_sgpr 26
		.amdhsa_reserve_vcc 1
		.amdhsa_float_round_mode_32 0
		.amdhsa_float_round_mode_16_64 0
		.amdhsa_float_denorm_mode_32 3
		.amdhsa_float_denorm_mode_16_64 3
		.amdhsa_dx10_clamp 1
		.amdhsa_ieee_mode 1
		.amdhsa_fp16_overflow 0
		.amdhsa_workgroup_processor_mode 1
		.amdhsa_memory_ordered 1
		.amdhsa_forward_progress 0
		.amdhsa_shared_vgpr_count 0
		.amdhsa_exception_fp_ieee_invalid_op 0
		.amdhsa_exception_fp_denorm_src 0
		.amdhsa_exception_fp_ieee_div_zero 0
		.amdhsa_exception_fp_ieee_overflow 0
		.amdhsa_exception_fp_ieee_underflow 0
		.amdhsa_exception_fp_ieee_inexact 0
		.amdhsa_exception_int_div_zero 0
	.end_amdhsa_kernel
	.section	.text._ZN9rocsparseL20bsrxmvn_17_32_kernelILj32EfllfffEEvT2_20rocsparse_direction_NS_24const_host_device_scalarIT0_EES1_PKS1_PKT1_SA_S7_PKT3_PKT4_S5_PT5_21rocsparse_index_base_b,"axG",@progbits,_ZN9rocsparseL20bsrxmvn_17_32_kernelILj32EfllfffEEvT2_20rocsparse_direction_NS_24const_host_device_scalarIT0_EES1_PKS1_PKT1_SA_S7_PKT3_PKT4_S5_PT5_21rocsparse_index_base_b,comdat
.Lfunc_end143:
	.size	_ZN9rocsparseL20bsrxmvn_17_32_kernelILj32EfllfffEEvT2_20rocsparse_direction_NS_24const_host_device_scalarIT0_EES1_PKS1_PKT1_SA_S7_PKT3_PKT4_S5_PT5_21rocsparse_index_base_b, .Lfunc_end143-_ZN9rocsparseL20bsrxmvn_17_32_kernelILj32EfllfffEEvT2_20rocsparse_direction_NS_24const_host_device_scalarIT0_EES1_PKS1_PKT1_SA_S7_PKT3_PKT4_S5_PT5_21rocsparse_index_base_b
                                        ; -- End function
	.section	.AMDGPU.csdata,"",@progbits
; Kernel info:
; codeLenInByte = 1364
; NumSgprs: 28
; NumVgprs: 10
; ScratchSize: 0
; MemoryBound: 0
; FloatMode: 240
; IeeeMode: 1
; LDSByteSize: 4096 bytes/workgroup (compile time only)
; SGPRBlocks: 3
; VGPRBlocks: 1
; NumSGPRsForWavesPerEU: 28
; NumVGPRsForWavesPerEU: 10
; Occupancy: 16
; WaveLimiterHint : 1
; COMPUTE_PGM_RSRC2:SCRATCH_EN: 0
; COMPUTE_PGM_RSRC2:USER_SGPR: 15
; COMPUTE_PGM_RSRC2:TRAP_HANDLER: 0
; COMPUTE_PGM_RSRC2:TGID_X_EN: 1
; COMPUTE_PGM_RSRC2:TGID_Y_EN: 0
; COMPUTE_PGM_RSRC2:TGID_Z_EN: 0
; COMPUTE_PGM_RSRC2:TIDIG_COMP_CNT: 0
	.section	.text._ZN9rocsparseL20bsrxmvn_17_32_kernelILj17EdlldddEEvT2_20rocsparse_direction_NS_24const_host_device_scalarIT0_EES1_PKS1_PKT1_SA_S7_PKT3_PKT4_S5_PT5_21rocsparse_index_base_b,"axG",@progbits,_ZN9rocsparseL20bsrxmvn_17_32_kernelILj17EdlldddEEvT2_20rocsparse_direction_NS_24const_host_device_scalarIT0_EES1_PKS1_PKT1_SA_S7_PKT3_PKT4_S5_PT5_21rocsparse_index_base_b,comdat
	.globl	_ZN9rocsparseL20bsrxmvn_17_32_kernelILj17EdlldddEEvT2_20rocsparse_direction_NS_24const_host_device_scalarIT0_EES1_PKS1_PKT1_SA_S7_PKT3_PKT4_S5_PT5_21rocsparse_index_base_b ; -- Begin function _ZN9rocsparseL20bsrxmvn_17_32_kernelILj17EdlldddEEvT2_20rocsparse_direction_NS_24const_host_device_scalarIT0_EES1_PKS1_PKT1_SA_S7_PKT3_PKT4_S5_PT5_21rocsparse_index_base_b
	.p2align	8
	.type	_ZN9rocsparseL20bsrxmvn_17_32_kernelILj17EdlldddEEvT2_20rocsparse_direction_NS_24const_host_device_scalarIT0_EES1_PKS1_PKT1_SA_S7_PKT3_PKT4_S5_PT5_21rocsparse_index_base_b,@function
_ZN9rocsparseL20bsrxmvn_17_32_kernelILj17EdlldddEEvT2_20rocsparse_direction_NS_24const_host_device_scalarIT0_EES1_PKS1_PKT1_SA_S7_PKT3_PKT4_S5_PT5_21rocsparse_index_base_b: ; @_ZN9rocsparseL20bsrxmvn_17_32_kernelILj17EdlldddEEvT2_20rocsparse_direction_NS_24const_host_device_scalarIT0_EES1_PKS1_PKT1_SA_S7_PKT3_PKT4_S5_PT5_21rocsparse_index_base_b
; %bb.0:
	s_clause 0x2
	s_load_b64 s[12:13], s[0:1], 0x60
	s_load_b64 s[4:5], s[0:1], 0x10
	;; [unrolled: 1-line block ×3, first 2 shown]
	s_mov_b32 s8, s15
	s_waitcnt lgkmcnt(0)
	s_bitcmp1_b32 s13, 0
	v_dual_mov_b32 v3, s4 :: v_dual_mov_b32 v4, s5
	s_cselect_b32 s6, -1, 0
	s_delay_alu instid0(SALU_CYCLE_1)
	s_and_b32 vcc_lo, exec_lo, s6
	s_xor_b32 s6, s6, -1
	s_cbranch_vccnz .LBB144_2
; %bb.1:
	v_dual_mov_b32 v1, s4 :: v_dual_mov_b32 v2, s5
	flat_load_b64 v[3:4], v[1:2]
.LBB144_2:
	v_dual_mov_b32 v1, s2 :: v_dual_mov_b32 v2, s3
	s_and_not1_b32 vcc_lo, exec_lo, s6
	s_cbranch_vccnz .LBB144_4
; %bb.3:
	v_dual_mov_b32 v1, s2 :: v_dual_mov_b32 v2, s3
	flat_load_b64 v[1:2], v[1:2]
.LBB144_4:
	s_waitcnt vmcnt(0) lgkmcnt(0)
	v_cmp_neq_f64_e32 vcc_lo, 0, v[3:4]
	v_cmp_neq_f64_e64 s2, 1.0, v[1:2]
	s_delay_alu instid0(VALU_DEP_1) | instskip(NEXT) | instid1(SALU_CYCLE_1)
	s_or_b32 s2, vcc_lo, s2
	s_and_saveexec_b32 s3, s2
	s_cbranch_execz .LBB144_38
; %bb.5:
	s_clause 0x1
	s_load_b128 s[4:7], s[0:1], 0x20
	s_load_b64 s[10:11], s[0:1], 0x30
	s_mov_b32 s9, 0
	s_waitcnt lgkmcnt(0)
	s_cmp_eq_u64 s[4:5], 0
	s_cbranch_scc1 .LBB144_7
; %bb.6:
	s_lshl_b64 s[2:3], s[8:9], 3
	s_delay_alu instid0(SALU_CYCLE_1)
	s_add_u32 s2, s4, s2
	s_addc_u32 s3, s5, s3
	s_load_b64 s[2:3], s[2:3], 0x0
	s_waitcnt lgkmcnt(0)
	s_sub_u32 s8, s2, s12
	s_subb_u32 s9, s3, 0
.LBB144_7:
	s_load_b32 s3, s[0:1], 0x8
	v_mul_u32_u24_e32 v5, 0xf10, v0
	v_lshlrev_b32_e32 v13, 3, v0
	s_delay_alu instid0(VALU_DEP_2) | instskip(SKIP_2) | instid1(VALU_DEP_3)
	v_lshrrev_b32_e32 v7, 16, v5
	v_mov_b32_e32 v5, 0
	v_mov_b32_e32 v6, 0
	v_mul_lo_u16 v8, v7, 17
	s_delay_alu instid0(VALU_DEP_1)
	v_sub_nc_u16 v14, v0, v8
	s_waitcnt lgkmcnt(0)
	s_cmp_eq_u32 s3, 1
	s_cselect_b32 s2, -1, 0
	s_cmp_lg_u32 s3, 1
	s_cselect_b32 s3, -1, 0
	s_lshl_b64 s[4:5], s[8:9], 3
	s_delay_alu instid0(SALU_CYCLE_1)
	s_add_u32 s6, s6, s4
	s_addc_u32 s7, s7, s5
	s_add_u32 s13, s6, 8
	s_addc_u32 s14, s7, 0
	;; [unrolled: 2-line block ×3, first 2 shown]
	s_cmp_eq_u64 s[10:11], 0
	s_load_b64 s[10:11], s[0:1], 0x58
	s_cselect_b32 s5, s14, s5
	s_cselect_b32 s4, s13, s4
	s_load_b64 s[16:17], s[6:7], 0x0
	s_load_b64 s[14:15], s[4:5], 0x0
	s_waitcnt lgkmcnt(0)
	v_cmp_ge_i64_e64 s4, s[16:17], s[14:15]
	s_delay_alu instid0(VALU_DEP_1)
	s_and_b32 vcc_lo, exec_lo, s4
	s_cbranch_vccnz .LBB144_12
; %bb.8:
	v_mul_lo_u16 v5, v7, 31
	v_and_b32_e32 v8, 0xffff, v0
	v_and_b32_e32 v6, 0xffff, v14
	s_clause 0x1
	s_load_b128 s[4:7], s[0:1], 0x38
	s_load_b64 s[18:19], s[0:1], 0x48
	s_sub_u32 s0, s14, s12
	v_lshrrev_b16 v5, 9, v5
	s_subb_u32 s1, s15, 0
	s_sub_u32 s14, s16, s12
	s_subb_u32 s15, s17, 0
	v_lshlrev_b32_e32 v9, 3, v0
	v_mul_lo_u16 v5, v5, 17
	s_mul_hi_u32 s13, s14, 0x908
	s_mul_i32 s20, s15, 0x908
	s_mul_i32 s21, s14, 0x908
	s_add_i32 s13, s13, s20
	v_sub_nc_u16 v5, v7, v5
	v_mul_u32_u24_e32 v7, 0xe3, v8
	s_delay_alu instid0(VALU_DEP_2) | instskip(NEXT) | instid1(VALU_DEP_2)
	v_and_b32_e32 v5, 0xff, v5
	v_lshrrev_b32_e32 v15, 16, v7
	s_delay_alu instid0(VALU_DEP_2) | instskip(NEXT) | instid1(VALU_DEP_2)
	v_cndmask_b32_e64 v5, v6, v5, s2
	v_add_co_u32 v6, s2, s16, v15
	s_delay_alu instid0(VALU_DEP_1) | instskip(NEXT) | instid1(VALU_DEP_3)
	v_add_co_ci_u32_e64 v7, null, s17, 0, s2
	v_lshlrev_b32_e32 v8, 3, v5
	s_delay_alu instid0(VALU_DEP_3) | instskip(NEXT) | instid1(VALU_DEP_3)
	v_sub_co_u32 v5, vcc_lo, v6, s12
	v_subrev_co_ci_u32_e32 v6, vcc_lo, 0, v7, vcc_lo
	s_waitcnt lgkmcnt(0)
	s_add_u32 s2, s6, s21
	s_addc_u32 s6, s7, s13
	v_add_co_u32 v7, s7, s18, v8
	v_lshlrev_b64 v[11:12], 3, v[5:6]
	v_mov_b32_e32 v5, 0
	v_mov_b32_e32 v6, 0
	v_add_co_u32 v9, s2, s2, v9
	v_add_co_ci_u32_e64 v8, null, s19, 0, s7
	v_add_co_u32 v11, vcc_lo, s4, v11
	v_add_co_ci_u32_e64 v10, null, s6, 0, s2
	v_add_co_ci_u32_e32 v12, vcc_lo, s5, v12, vcc_lo
	s_set_inst_prefetch_distance 0x1
	s_branch .LBB144_10
	.p2align	6
.LBB144_9:                              ;   in Loop: Header=BB144_10 Depth=1
	s_or_b32 exec_lo, exec_lo, s2
	s_add_u32 s14, s14, 1
	s_addc_u32 s15, s15, 0
	v_add_co_u32 v11, vcc_lo, v11, 8
	v_cmp_lt_i64_e64 s2, s[14:15], s[0:1]
	v_add_co_ci_u32_e32 v12, vcc_lo, 0, v12, vcc_lo
	s_delay_alu instid0(VALU_DEP_2)
	s_and_b32 vcc_lo, exec_lo, s2
	s_cbranch_vccz .LBB144_12
.LBB144_10:                             ; =>This Inner Loop Header: Depth=1
	v_add_co_u32 v16, s2, v15, s14
	s_delay_alu instid0(VALU_DEP_1) | instskip(SKIP_1) | instid1(VALU_DEP_1)
	v_add_co_ci_u32_e64 v17, null, 0, s15, s2
	s_mov_b32 s2, exec_lo
	v_cmpx_gt_i64_e64 s[0:1], v[16:17]
	s_cbranch_execz .LBB144_9
; %bb.11:                               ;   in Loop: Header=BB144_10 Depth=1
	global_load_b64 v[16:17], v[11:12], off
	s_waitcnt vmcnt(0)
	v_sub_co_u32 v18, vcc_lo, v16, s12
	v_subrev_co_ci_u32_e32 v20, vcc_lo, 0, v17, vcc_lo
	s_delay_alu instid0(VALU_DEP_2) | instskip(NEXT) | instid1(VALU_DEP_1)
	v_mad_u64_u32 v[16:17], null, 0x88, v18, v[7:8]
	v_mad_u64_u32 v[18:19], null, 0x88, v20, v[17:18]
	s_delay_alu instid0(VALU_DEP_1)
	v_mov_b32_e32 v17, v18
	global_load_b64 v[18:19], v[9:10], off
	global_load_b64 v[16:17], v[16:17], off
	v_add_co_u32 v9, vcc_lo, 0x908, v9
	v_add_co_ci_u32_e32 v10, vcc_lo, 0, v10, vcc_lo
	s_waitcnt vmcnt(0)
	v_fma_f64 v[5:6], v[18:19], v[16:17], v[5:6]
	s_branch .LBB144_9
.LBB144_12:
	s_set_inst_prefetch_distance 0x2
	s_and_b32 vcc_lo, exec_lo, s3
	ds_store_b64 v13, v[5:6]
	s_waitcnt lgkmcnt(0)
	s_barrier
	buffer_gl0_inv
	s_cbranch_vccz .LBB144_24
; %bb.13:
	s_mov_b32 s0, exec_lo
	v_cmpx_eq_u16_e32 0, v14
	s_cbranch_execz .LBB144_15
; %bb.14:
	ds_load_2addr_b64 v[7:10], v13 offset1:16
	s_waitcnt lgkmcnt(0)
	v_add_f64 v[7:8], v[9:10], v[7:8]
	ds_store_b64 v13, v[7:8]
.LBB144_15:
	s_or_b32 exec_lo, exec_lo, s0
	s_delay_alu instid0(SALU_CYCLE_1)
	s_mov_b32 s0, exec_lo
	s_waitcnt lgkmcnt(0)
	s_barrier
	buffer_gl0_inv
	v_cmpx_gt_u16_e32 8, v14
	s_cbranch_execz .LBB144_17
; %bb.16:
	ds_load_2addr_b64 v[7:10], v13 offset1:8
	s_waitcnt lgkmcnt(0)
	v_add_f64 v[7:8], v[9:10], v[7:8]
	ds_store_b64 v13, v[7:8]
.LBB144_17:
	s_or_b32 exec_lo, exec_lo, s0
	s_delay_alu instid0(SALU_CYCLE_1)
	s_mov_b32 s0, exec_lo
	s_waitcnt lgkmcnt(0)
	s_barrier
	buffer_gl0_inv
	v_cmpx_gt_u16_e32 4, v14
	;; [unrolled: 14-line block ×3, first 2 shown]
	s_cbranch_execz .LBB144_21
; %bb.20:
	ds_load_2addr_b64 v[7:10], v13 offset1:2
	s_waitcnt lgkmcnt(0)
	v_add_f64 v[7:8], v[9:10], v[7:8]
	ds_store_b64 v13, v[7:8]
.LBB144_21:
	s_or_b32 exec_lo, exec_lo, s0
	s_mov_b32 s0, 0
	s_mov_b32 s1, 0
	s_mov_b32 s2, exec_lo
	s_waitcnt lgkmcnt(0)
	s_barrier
	buffer_gl0_inv
                                        ; implicit-def: $vgpr7
                                        ; implicit-def: $vgpr8
	v_cmpx_gt_u32_e32 17, v0
	s_xor_b32 s2, exec_lo, s2
; %bb.22:
	v_mad_u32_u24 v7, v0, 17, 1
	v_lshl_add_u32 v8, v0, 7, v13
	s_mov_b32 s1, exec_lo
; %bb.23:
	s_or_b32 exec_lo, exec_lo, s2
	s_delay_alu instid0(SALU_CYCLE_1)
	s_and_b32 vcc_lo, exec_lo, s0
	v_cmp_gt_u32_e64 s0, 17, v0
	s_cbranch_vccnz .LBB144_25
	s_branch .LBB144_36
.LBB144_24:
	s_mov_b32 s1, 0
                                        ; implicit-def: $vgpr7
                                        ; implicit-def: $vgpr8
	v_cmp_gt_u32_e64 s0, 17, v0
	s_cbranch_execz .LBB144_36
.LBB144_25:
	s_delay_alu instid0(VALU_DEP_1)
	s_and_saveexec_b32 s2, s0
	s_cbranch_execz .LBB144_27
; %bb.26:
	ds_load_b64 v[7:8], v13 offset:2176
	ds_load_b64 v[9:10], v13
	s_waitcnt lgkmcnt(0)
	v_add_f64 v[7:8], v[7:8], v[9:10]
	ds_store_b64 v13, v[7:8]
.LBB144_27:
	s_or_b32 exec_lo, exec_lo, s2
	s_delay_alu instid0(SALU_CYCLE_1)
	s_mov_b32 s2, exec_lo
	s_waitcnt lgkmcnt(0)
	s_barrier
	buffer_gl0_inv
	v_cmpx_gt_u32_e32 0x88, v0
	s_cbranch_execz .LBB144_29
; %bb.28:
	ds_load_2addr_b64 v[7:10], v13 offset1:136
	s_waitcnt lgkmcnt(0)
	v_add_f64 v[7:8], v[9:10], v[7:8]
	ds_store_b64 v13, v[7:8]
.LBB144_29:
	s_or_b32 exec_lo, exec_lo, s2
	s_delay_alu instid0(SALU_CYCLE_1)
	s_mov_b32 s2, exec_lo
	s_waitcnt lgkmcnt(0)
	s_barrier
	buffer_gl0_inv
	v_cmpx_gt_u32_e32 0x44, v0
	s_cbranch_execz .LBB144_31
; %bb.30:
	ds_load_2addr_b64 v[7:10], v13 offset1:68
	s_waitcnt lgkmcnt(0)
	v_add_f64 v[7:8], v[9:10], v[7:8]
	ds_store_b64 v13, v[7:8]
.LBB144_31:
	;; [unrolled: 14-line block ×3, first 2 shown]
	s_or_b32 exec_lo, exec_lo, s2
	s_waitcnt lgkmcnt(0)
	buffer_gl0_inv
                                        ; implicit-def: $vgpr7
	s_and_saveexec_b32 s2, s0
; %bb.34:
	v_add_nc_u32_e32 v7, 17, v0
	s_or_b32 s1, s1, exec_lo
                                        ; implicit-def: $vgpr5_vgpr6
; %bb.35:
	s_or_b32 exec_lo, exec_lo, s2
	v_mov_b32_e32 v8, v13
.LBB144_36:
	s_and_saveexec_b32 s0, s1
	s_cbranch_execnz .LBB144_39
; %bb.37:
	s_or_b32 exec_lo, exec_lo, s0
	v_cmp_gt_u32_e32 vcc_lo, 17, v0
	s_and_b32 exec_lo, exec_lo, vcc_lo
	s_cbranch_execnz .LBB144_40
.LBB144_38:
	s_nop 0
	s_sendmsg sendmsg(MSG_DEALLOC_VGPRS)
	s_endpgm
.LBB144_39:
	v_lshlrev_b32_e32 v7, 3, v7
	ds_load_b64 v[5:6], v8
	ds_load_b64 v[7:8], v7
	s_waitcnt lgkmcnt(0)
	v_add_f64 v[5:6], v[5:6], v[7:8]
	s_or_b32 exec_lo, exec_lo, s0
	v_cmp_gt_u32_e32 vcc_lo, 17, v0
	s_and_b32 exec_lo, exec_lo, vcc_lo
	s_cbranch_execz .LBB144_38
.LBB144_40:
	s_delay_alu instid0(VALU_DEP_2)
	v_mul_f64 v[3:4], v[3:4], v[5:6]
	s_mul_i32 s0, s9, 0x88
	s_mul_hi_u32 s1, s8, 0x88
	s_mul_i32 s2, s8, 0x88
	s_mov_b32 s3, exec_lo
	v_cmpx_eq_f64_e32 0, v[1:2]
	s_xor_b32 s3, exec_lo, s3
	s_cbranch_execz .LBB144_42
; %bb.41:
	v_lshlrev_b32_e32 v0, 3, v0
	s_add_i32 s5, s1, s0
	s_add_u32 s4, s10, s2
	s_addc_u32 s5, s11, s5
                                        ; implicit-def: $vgpr1_vgpr2
	global_store_b64 v0, v[3:4], s[4:5]
                                        ; implicit-def: $vgpr0
                                        ; implicit-def: $vgpr3_vgpr4
.LBB144_42:
	s_and_not1_saveexec_b32 s3, s3
	s_cbranch_execz .LBB144_38
; %bb.43:
	v_lshlrev_b32_e32 v7, 3, v0
	s_add_i32 s1, s1, s0
	s_add_u32 s0, s10, s2
	s_addc_u32 s1, s11, s1
	global_load_b64 v[5:6], v7, s[0:1]
	s_waitcnt vmcnt(0)
	v_fma_f64 v[0:1], v[1:2], v[5:6], v[3:4]
	global_store_b64 v7, v[0:1], s[0:1]
	s_nop 0
	s_sendmsg sendmsg(MSG_DEALLOC_VGPRS)
	s_endpgm
	.section	.rodata,"a",@progbits
	.p2align	6, 0x0
	.amdhsa_kernel _ZN9rocsparseL20bsrxmvn_17_32_kernelILj17EdlldddEEvT2_20rocsparse_direction_NS_24const_host_device_scalarIT0_EES1_PKS1_PKT1_SA_S7_PKT3_PKT4_S5_PT5_21rocsparse_index_base_b
		.amdhsa_group_segment_fixed_size 2312
		.amdhsa_private_segment_fixed_size 0
		.amdhsa_kernarg_size 104
		.amdhsa_user_sgpr_count 15
		.amdhsa_user_sgpr_dispatch_ptr 0
		.amdhsa_user_sgpr_queue_ptr 0
		.amdhsa_user_sgpr_kernarg_segment_ptr 1
		.amdhsa_user_sgpr_dispatch_id 0
		.amdhsa_user_sgpr_private_segment_size 0
		.amdhsa_wavefront_size32 1
		.amdhsa_uses_dynamic_stack 0
		.amdhsa_enable_private_segment 0
		.amdhsa_system_sgpr_workgroup_id_x 1
		.amdhsa_system_sgpr_workgroup_id_y 0
		.amdhsa_system_sgpr_workgroup_id_z 0
		.amdhsa_system_sgpr_workgroup_info 0
		.amdhsa_system_vgpr_workitem_id 0
		.amdhsa_next_free_vgpr 21
		.amdhsa_next_free_sgpr 22
		.amdhsa_reserve_vcc 1
		.amdhsa_float_round_mode_32 0
		.amdhsa_float_round_mode_16_64 0
		.amdhsa_float_denorm_mode_32 3
		.amdhsa_float_denorm_mode_16_64 3
		.amdhsa_dx10_clamp 1
		.amdhsa_ieee_mode 1
		.amdhsa_fp16_overflow 0
		.amdhsa_workgroup_processor_mode 1
		.amdhsa_memory_ordered 1
		.amdhsa_forward_progress 0
		.amdhsa_shared_vgpr_count 0
		.amdhsa_exception_fp_ieee_invalid_op 0
		.amdhsa_exception_fp_denorm_src 0
		.amdhsa_exception_fp_ieee_div_zero 0
		.amdhsa_exception_fp_ieee_overflow 0
		.amdhsa_exception_fp_ieee_underflow 0
		.amdhsa_exception_fp_ieee_inexact 0
		.amdhsa_exception_int_div_zero 0
	.end_amdhsa_kernel
	.section	.text._ZN9rocsparseL20bsrxmvn_17_32_kernelILj17EdlldddEEvT2_20rocsparse_direction_NS_24const_host_device_scalarIT0_EES1_PKS1_PKT1_SA_S7_PKT3_PKT4_S5_PT5_21rocsparse_index_base_b,"axG",@progbits,_ZN9rocsparseL20bsrxmvn_17_32_kernelILj17EdlldddEEvT2_20rocsparse_direction_NS_24const_host_device_scalarIT0_EES1_PKS1_PKT1_SA_S7_PKT3_PKT4_S5_PT5_21rocsparse_index_base_b,comdat
.Lfunc_end144:
	.size	_ZN9rocsparseL20bsrxmvn_17_32_kernelILj17EdlldddEEvT2_20rocsparse_direction_NS_24const_host_device_scalarIT0_EES1_PKS1_PKT1_SA_S7_PKT3_PKT4_S5_PT5_21rocsparse_index_base_b, .Lfunc_end144-_ZN9rocsparseL20bsrxmvn_17_32_kernelILj17EdlldddEEvT2_20rocsparse_direction_NS_24const_host_device_scalarIT0_EES1_PKS1_PKT1_SA_S7_PKT3_PKT4_S5_PT5_21rocsparse_index_base_b
                                        ; -- End function
	.section	.AMDGPU.csdata,"",@progbits
; Kernel info:
; codeLenInByte = 1728
; NumSgprs: 24
; NumVgprs: 21
; ScratchSize: 0
; MemoryBound: 1
; FloatMode: 240
; IeeeMode: 1
; LDSByteSize: 2312 bytes/workgroup (compile time only)
; SGPRBlocks: 2
; VGPRBlocks: 2
; NumSGPRsForWavesPerEU: 24
; NumVGPRsForWavesPerEU: 21
; Occupancy: 15
; WaveLimiterHint : 1
; COMPUTE_PGM_RSRC2:SCRATCH_EN: 0
; COMPUTE_PGM_RSRC2:USER_SGPR: 15
; COMPUTE_PGM_RSRC2:TRAP_HANDLER: 0
; COMPUTE_PGM_RSRC2:TGID_X_EN: 1
; COMPUTE_PGM_RSRC2:TGID_Y_EN: 0
; COMPUTE_PGM_RSRC2:TGID_Z_EN: 0
; COMPUTE_PGM_RSRC2:TIDIG_COMP_CNT: 0
	.section	.text._ZN9rocsparseL20bsrxmvn_17_32_kernelILj18EdlldddEEvT2_20rocsparse_direction_NS_24const_host_device_scalarIT0_EES1_PKS1_PKT1_SA_S7_PKT3_PKT4_S5_PT5_21rocsparse_index_base_b,"axG",@progbits,_ZN9rocsparseL20bsrxmvn_17_32_kernelILj18EdlldddEEvT2_20rocsparse_direction_NS_24const_host_device_scalarIT0_EES1_PKS1_PKT1_SA_S7_PKT3_PKT4_S5_PT5_21rocsparse_index_base_b,comdat
	.globl	_ZN9rocsparseL20bsrxmvn_17_32_kernelILj18EdlldddEEvT2_20rocsparse_direction_NS_24const_host_device_scalarIT0_EES1_PKS1_PKT1_SA_S7_PKT3_PKT4_S5_PT5_21rocsparse_index_base_b ; -- Begin function _ZN9rocsparseL20bsrxmvn_17_32_kernelILj18EdlldddEEvT2_20rocsparse_direction_NS_24const_host_device_scalarIT0_EES1_PKS1_PKT1_SA_S7_PKT3_PKT4_S5_PT5_21rocsparse_index_base_b
	.p2align	8
	.type	_ZN9rocsparseL20bsrxmvn_17_32_kernelILj18EdlldddEEvT2_20rocsparse_direction_NS_24const_host_device_scalarIT0_EES1_PKS1_PKT1_SA_S7_PKT3_PKT4_S5_PT5_21rocsparse_index_base_b,@function
_ZN9rocsparseL20bsrxmvn_17_32_kernelILj18EdlldddEEvT2_20rocsparse_direction_NS_24const_host_device_scalarIT0_EES1_PKS1_PKT1_SA_S7_PKT3_PKT4_S5_PT5_21rocsparse_index_base_b: ; @_ZN9rocsparseL20bsrxmvn_17_32_kernelILj18EdlldddEEvT2_20rocsparse_direction_NS_24const_host_device_scalarIT0_EES1_PKS1_PKT1_SA_S7_PKT3_PKT4_S5_PT5_21rocsparse_index_base_b
; %bb.0:
	s_clause 0x2
	s_load_b64 s[12:13], s[0:1], 0x60
	s_load_b64 s[4:5], s[0:1], 0x10
	;; [unrolled: 1-line block ×3, first 2 shown]
	s_mov_b32 s8, s15
	s_waitcnt lgkmcnt(0)
	s_bitcmp1_b32 s13, 0
	v_dual_mov_b32 v3, s4 :: v_dual_mov_b32 v4, s5
	s_cselect_b32 s6, -1, 0
	s_delay_alu instid0(SALU_CYCLE_1)
	s_and_b32 vcc_lo, exec_lo, s6
	s_xor_b32 s6, s6, -1
	s_cbranch_vccnz .LBB145_2
; %bb.1:
	v_dual_mov_b32 v1, s4 :: v_dual_mov_b32 v2, s5
	flat_load_b64 v[3:4], v[1:2]
.LBB145_2:
	v_dual_mov_b32 v1, s2 :: v_dual_mov_b32 v2, s3
	s_and_not1_b32 vcc_lo, exec_lo, s6
	s_cbranch_vccnz .LBB145_4
; %bb.3:
	v_dual_mov_b32 v1, s2 :: v_dual_mov_b32 v2, s3
	flat_load_b64 v[1:2], v[1:2]
.LBB145_4:
	s_waitcnt vmcnt(0) lgkmcnt(0)
	v_cmp_neq_f64_e32 vcc_lo, 0, v[3:4]
	v_cmp_neq_f64_e64 s2, 1.0, v[1:2]
	s_delay_alu instid0(VALU_DEP_1) | instskip(NEXT) | instid1(SALU_CYCLE_1)
	s_or_b32 s2, vcc_lo, s2
	s_and_saveexec_b32 s3, s2
	s_cbranch_execz .LBB145_38
; %bb.5:
	s_clause 0x1
	s_load_b128 s[4:7], s[0:1], 0x20
	s_load_b64 s[10:11], s[0:1], 0x30
	s_mov_b32 s9, 0
	s_waitcnt lgkmcnt(0)
	s_cmp_eq_u64 s[4:5], 0
	s_cbranch_scc1 .LBB145_7
; %bb.6:
	s_lshl_b64 s[2:3], s[8:9], 3
	s_delay_alu instid0(SALU_CYCLE_1)
	s_add_u32 s2, s4, s2
	s_addc_u32 s3, s5, s3
	s_load_b64 s[2:3], s[2:3], 0x0
	s_waitcnt lgkmcnt(0)
	s_sub_u32 s8, s2, s12
	s_subb_u32 s9, s3, 0
.LBB145_7:
	s_load_b32 s3, s[0:1], 0x8
	v_mul_u32_u24_e32 v5, 0xe39, v0
	v_lshlrev_b32_e32 v13, 3, v0
	s_delay_alu instid0(VALU_DEP_2) | instskip(SKIP_2) | instid1(VALU_DEP_3)
	v_lshrrev_b32_e32 v7, 16, v5
	v_mov_b32_e32 v5, 0
	v_mov_b32_e32 v6, 0
	v_mul_lo_u16 v8, v7, 18
	s_delay_alu instid0(VALU_DEP_1)
	v_sub_nc_u16 v14, v0, v8
	s_waitcnt lgkmcnt(0)
	s_cmp_eq_u32 s3, 1
	s_cselect_b32 s2, -1, 0
	s_cmp_lg_u32 s3, 1
	s_cselect_b32 s3, -1, 0
	s_lshl_b64 s[4:5], s[8:9], 3
	s_delay_alu instid0(SALU_CYCLE_1)
	s_add_u32 s6, s6, s4
	s_addc_u32 s7, s7, s5
	s_add_u32 s13, s6, 8
	s_addc_u32 s14, s7, 0
	;; [unrolled: 2-line block ×3, first 2 shown]
	s_cmp_eq_u64 s[10:11], 0
	s_load_b64 s[10:11], s[0:1], 0x58
	s_cselect_b32 s5, s14, s5
	s_cselect_b32 s4, s13, s4
	s_load_b64 s[16:17], s[6:7], 0x0
	s_load_b64 s[14:15], s[4:5], 0x0
	s_waitcnt lgkmcnt(0)
	v_cmp_ge_i64_e64 s4, s[16:17], s[14:15]
	s_delay_alu instid0(VALU_DEP_1)
	s_and_b32 vcc_lo, exec_lo, s4
	s_cbranch_vccnz .LBB145_12
; %bb.8:
	v_mul_lo_u16 v5, v7, 15
	v_and_b32_e32 v8, 0xffff, v0
	v_and_b32_e32 v6, 0xffff, v14
	s_clause 0x1
	s_load_b128 s[4:7], s[0:1], 0x38
	s_load_b64 s[18:19], s[0:1], 0x48
	s_sub_u32 s0, s14, s12
	v_lshrrev_b16 v5, 8, v5
	s_subb_u32 s1, s15, 0
	s_sub_u32 s14, s16, s12
	s_subb_u32 s15, s17, 0
	v_lshlrev_b32_e32 v9, 3, v0
	v_mul_lo_u16 v5, v5, 18
	s_mul_hi_u32 s13, s14, 0xa20
	s_mul_i32 s20, s15, 0xa20
	s_mul_i32 s21, s14, 0xa20
	s_add_i32 s13, s13, s20
	v_sub_nc_u16 v5, v7, v5
	v_mul_u32_u24_e32 v7, 0x195, v8
	s_delay_alu instid0(VALU_DEP_2) | instskip(NEXT) | instid1(VALU_DEP_2)
	v_and_b32_e32 v5, 0xff, v5
	v_lshrrev_b32_e32 v15, 17, v7
	s_delay_alu instid0(VALU_DEP_2) | instskip(NEXT) | instid1(VALU_DEP_2)
	v_cndmask_b32_e64 v5, v6, v5, s2
	v_add_co_u32 v6, s2, s16, v15
	s_delay_alu instid0(VALU_DEP_1) | instskip(NEXT) | instid1(VALU_DEP_3)
	v_add_co_ci_u32_e64 v7, null, s17, 0, s2
	v_lshlrev_b32_e32 v8, 3, v5
	s_delay_alu instid0(VALU_DEP_3) | instskip(NEXT) | instid1(VALU_DEP_3)
	v_sub_co_u32 v5, vcc_lo, v6, s12
	v_subrev_co_ci_u32_e32 v6, vcc_lo, 0, v7, vcc_lo
	s_waitcnt lgkmcnt(0)
	s_add_u32 s2, s6, s21
	s_addc_u32 s6, s7, s13
	v_add_co_u32 v7, s7, s18, v8
	v_lshlrev_b64 v[11:12], 3, v[5:6]
	v_mov_b32_e32 v5, 0
	v_mov_b32_e32 v6, 0
	v_add_co_u32 v9, s2, s2, v9
	v_add_co_ci_u32_e64 v8, null, s19, 0, s7
	v_add_co_u32 v11, vcc_lo, s4, v11
	v_add_co_ci_u32_e64 v10, null, s6, 0, s2
	v_add_co_ci_u32_e32 v12, vcc_lo, s5, v12, vcc_lo
	s_set_inst_prefetch_distance 0x1
	s_branch .LBB145_10
	.p2align	6
.LBB145_9:                              ;   in Loop: Header=BB145_10 Depth=1
	s_or_b32 exec_lo, exec_lo, s2
	s_add_u32 s14, s14, 1
	s_addc_u32 s15, s15, 0
	v_add_co_u32 v11, vcc_lo, v11, 8
	v_cmp_lt_i64_e64 s2, s[14:15], s[0:1]
	v_add_co_ci_u32_e32 v12, vcc_lo, 0, v12, vcc_lo
	s_delay_alu instid0(VALU_DEP_2)
	s_and_b32 vcc_lo, exec_lo, s2
	s_cbranch_vccz .LBB145_12
.LBB145_10:                             ; =>This Inner Loop Header: Depth=1
	v_add_co_u32 v16, s2, v15, s14
	s_delay_alu instid0(VALU_DEP_1) | instskip(SKIP_1) | instid1(VALU_DEP_1)
	v_add_co_ci_u32_e64 v17, null, 0, s15, s2
	s_mov_b32 s2, exec_lo
	v_cmpx_gt_i64_e64 s[0:1], v[16:17]
	s_cbranch_execz .LBB145_9
; %bb.11:                               ;   in Loop: Header=BB145_10 Depth=1
	global_load_b64 v[16:17], v[11:12], off
	s_waitcnt vmcnt(0)
	v_sub_co_u32 v18, vcc_lo, v16, s12
	v_subrev_co_ci_u32_e32 v20, vcc_lo, 0, v17, vcc_lo
	s_delay_alu instid0(VALU_DEP_2) | instskip(NEXT) | instid1(VALU_DEP_1)
	v_mad_u64_u32 v[16:17], null, 0x90, v18, v[7:8]
	v_mad_u64_u32 v[18:19], null, 0x90, v20, v[17:18]
	s_delay_alu instid0(VALU_DEP_1)
	v_mov_b32_e32 v17, v18
	global_load_b64 v[18:19], v[9:10], off
	global_load_b64 v[16:17], v[16:17], off
	v_add_co_u32 v9, vcc_lo, 0xa20, v9
	v_add_co_ci_u32_e32 v10, vcc_lo, 0, v10, vcc_lo
	s_waitcnt vmcnt(0)
	v_fma_f64 v[5:6], v[18:19], v[16:17], v[5:6]
	s_branch .LBB145_9
.LBB145_12:
	s_set_inst_prefetch_distance 0x2
	s_and_b32 vcc_lo, exec_lo, s3
	ds_store_b64 v13, v[5:6]
	s_waitcnt lgkmcnt(0)
	s_barrier
	buffer_gl0_inv
	s_cbranch_vccz .LBB145_24
; %bb.13:
	v_cmp_gt_u16_e32 vcc_lo, 2, v14
	s_and_saveexec_b32 s0, vcc_lo
	s_cbranch_execz .LBB145_15
; %bb.14:
	ds_load_2addr_b64 v[7:10], v13 offset1:16
	s_waitcnt lgkmcnt(0)
	v_add_f64 v[7:8], v[9:10], v[7:8]
	ds_store_b64 v13, v[7:8]
.LBB145_15:
	s_or_b32 exec_lo, exec_lo, s0
	s_delay_alu instid0(SALU_CYCLE_1)
	s_mov_b32 s1, exec_lo
	s_waitcnt lgkmcnt(0)
	s_barrier
	buffer_gl0_inv
	v_cmpx_gt_u16_e32 8, v14
	s_cbranch_execz .LBB145_17
; %bb.16:
	ds_load_2addr_b64 v[7:10], v13 offset1:8
	s_waitcnt lgkmcnt(0)
	v_add_f64 v[7:8], v[9:10], v[7:8]
	ds_store_b64 v13, v[7:8]
.LBB145_17:
	s_or_b32 exec_lo, exec_lo, s1
	s_delay_alu instid0(SALU_CYCLE_1)
	s_mov_b32 s1, exec_lo
	s_waitcnt lgkmcnt(0)
	s_barrier
	buffer_gl0_inv
	v_cmpx_gt_u16_e32 4, v14
	s_cbranch_execz .LBB145_19
; %bb.18:
	ds_load_2addr_b64 v[7:10], v13 offset1:4
	s_waitcnt lgkmcnt(0)
	v_add_f64 v[7:8], v[9:10], v[7:8]
	ds_store_b64 v13, v[7:8]
.LBB145_19:
	s_or_b32 exec_lo, exec_lo, s1
	s_waitcnt lgkmcnt(0)
	s_barrier
	buffer_gl0_inv
	s_and_saveexec_b32 s0, vcc_lo
	s_cbranch_execz .LBB145_21
; %bb.20:
	ds_load_2addr_b64 v[7:10], v13 offset1:2
	s_waitcnt lgkmcnt(0)
	v_add_f64 v[7:8], v[9:10], v[7:8]
	ds_store_b64 v13, v[7:8]
.LBB145_21:
	s_or_b32 exec_lo, exec_lo, s0
	s_mov_b32 s0, 0
	s_mov_b32 s1, 0
	s_mov_b32 s2, exec_lo
	s_waitcnt lgkmcnt(0)
	s_barrier
	buffer_gl0_inv
                                        ; implicit-def: $vgpr7
                                        ; implicit-def: $vgpr8
	v_cmpx_gt_u32_e32 18, v0
	s_xor_b32 s2, exec_lo, s2
; %bb.22:
	v_mul_u32_u24_e32 v7, 18, v0
	v_mad_u32_u24 v8, 0x88, v0, v13
	s_mov_b32 s1, exec_lo
	s_delay_alu instid0(VALU_DEP_2)
	v_or_b32_e32 v7, 1, v7
; %bb.23:
	s_or_b32 exec_lo, exec_lo, s2
	s_delay_alu instid0(SALU_CYCLE_1)
	s_and_b32 vcc_lo, exec_lo, s0
	s_cbranch_vccnz .LBB145_25
	s_branch .LBB145_36
.LBB145_24:
	s_mov_b32 s1, 0
                                        ; implicit-def: $vgpr7
                                        ; implicit-def: $vgpr8
	s_cbranch_execz .LBB145_36
.LBB145_25:
	v_cmp_gt_u32_e32 vcc_lo, 36, v0
	s_and_saveexec_b32 s0, vcc_lo
	s_cbranch_execz .LBB145_27
; %bb.26:
	ds_load_b64 v[7:8], v13 offset:2304
	ds_load_b64 v[9:10], v13
	s_waitcnt lgkmcnt(0)
	v_add_f64 v[7:8], v[7:8], v[9:10]
	ds_store_b64 v13, v[7:8]
.LBB145_27:
	s_or_b32 exec_lo, exec_lo, s0
	s_delay_alu instid0(SALU_CYCLE_1)
	s_mov_b32 s2, exec_lo
	s_waitcnt lgkmcnt(0)
	s_barrier
	buffer_gl0_inv
	v_cmpx_gt_u32_e32 0x90, v0
	s_cbranch_execz .LBB145_29
; %bb.28:
	ds_load_2addr_b64 v[7:10], v13 offset1:144
	s_waitcnt lgkmcnt(0)
	v_add_f64 v[7:8], v[9:10], v[7:8]
	ds_store_b64 v13, v[7:8]
.LBB145_29:
	s_or_b32 exec_lo, exec_lo, s2
	s_delay_alu instid0(SALU_CYCLE_1)
	s_mov_b32 s2, exec_lo
	s_waitcnt lgkmcnt(0)
	s_barrier
	buffer_gl0_inv
	v_cmpx_gt_u32_e32 0x48, v0
	s_cbranch_execz .LBB145_31
; %bb.30:
	ds_load_2addr_b64 v[7:10], v13 offset1:72
	s_waitcnt lgkmcnt(0)
	v_add_f64 v[7:8], v[9:10], v[7:8]
	ds_store_b64 v13, v[7:8]
.LBB145_31:
	s_or_b32 exec_lo, exec_lo, s2
	s_waitcnt lgkmcnt(0)
	s_barrier
	buffer_gl0_inv
	s_and_saveexec_b32 s0, vcc_lo
	s_cbranch_execz .LBB145_33
; %bb.32:
	ds_load_2addr_b64 v[7:10], v13 offset1:36
	s_waitcnt lgkmcnt(0)
	v_add_f64 v[7:8], v[9:10], v[7:8]
	ds_store_b64 v13, v[7:8]
.LBB145_33:
	s_or_b32 exec_lo, exec_lo, s0
	s_delay_alu instid0(SALU_CYCLE_1)
	s_mov_b32 s0, exec_lo
	s_waitcnt lgkmcnt(0)
	buffer_gl0_inv
                                        ; implicit-def: $vgpr7
	v_cmpx_gt_u32_e32 18, v0
; %bb.34:
	v_add_nc_u32_e32 v7, 18, v0
	s_or_b32 s1, s1, exec_lo
                                        ; implicit-def: $vgpr5_vgpr6
; %bb.35:
	s_or_b32 exec_lo, exec_lo, s0
	v_mov_b32_e32 v8, v13
.LBB145_36:
	s_and_saveexec_b32 s0, s1
	s_cbranch_execnz .LBB145_39
; %bb.37:
	s_or_b32 exec_lo, exec_lo, s0
	v_cmp_gt_u32_e32 vcc_lo, 18, v0
	s_and_b32 exec_lo, exec_lo, vcc_lo
	s_cbranch_execnz .LBB145_40
.LBB145_38:
	s_nop 0
	s_sendmsg sendmsg(MSG_DEALLOC_VGPRS)
	s_endpgm
.LBB145_39:
	v_lshlrev_b32_e32 v7, 3, v7
	ds_load_b64 v[5:6], v8
	ds_load_b64 v[7:8], v7
	s_waitcnt lgkmcnt(0)
	v_add_f64 v[5:6], v[5:6], v[7:8]
	s_or_b32 exec_lo, exec_lo, s0
	v_cmp_gt_u32_e32 vcc_lo, 18, v0
	s_and_b32 exec_lo, exec_lo, vcc_lo
	s_cbranch_execz .LBB145_38
.LBB145_40:
	s_delay_alu instid0(VALU_DEP_2)
	v_mul_f64 v[3:4], v[3:4], v[5:6]
	s_mul_i32 s0, s9, 0x90
	s_mul_hi_u32 s1, s8, 0x90
	s_mul_i32 s2, s8, 0x90
	s_mov_b32 s3, exec_lo
	v_cmpx_eq_f64_e32 0, v[1:2]
	s_xor_b32 s3, exec_lo, s3
	s_cbranch_execz .LBB145_42
; %bb.41:
	v_lshlrev_b32_e32 v0, 3, v0
	s_add_i32 s5, s1, s0
	s_add_u32 s4, s10, s2
	s_addc_u32 s5, s11, s5
                                        ; implicit-def: $vgpr1_vgpr2
	global_store_b64 v0, v[3:4], s[4:5]
                                        ; implicit-def: $vgpr0
                                        ; implicit-def: $vgpr3_vgpr4
.LBB145_42:
	s_and_not1_saveexec_b32 s3, s3
	s_cbranch_execz .LBB145_38
; %bb.43:
	v_lshlrev_b32_e32 v7, 3, v0
	s_add_i32 s1, s1, s0
	s_add_u32 s0, s10, s2
	s_addc_u32 s1, s11, s1
	global_load_b64 v[5:6], v7, s[0:1]
	s_waitcnt vmcnt(0)
	v_fma_f64 v[0:1], v[1:2], v[5:6], v[3:4]
	global_store_b64 v7, v[0:1], s[0:1]
	s_nop 0
	s_sendmsg sendmsg(MSG_DEALLOC_VGPRS)
	s_endpgm
	.section	.rodata,"a",@progbits
	.p2align	6, 0x0
	.amdhsa_kernel _ZN9rocsparseL20bsrxmvn_17_32_kernelILj18EdlldddEEvT2_20rocsparse_direction_NS_24const_host_device_scalarIT0_EES1_PKS1_PKT1_SA_S7_PKT3_PKT4_S5_PT5_21rocsparse_index_base_b
		.amdhsa_group_segment_fixed_size 2592
		.amdhsa_private_segment_fixed_size 0
		.amdhsa_kernarg_size 104
		.amdhsa_user_sgpr_count 15
		.amdhsa_user_sgpr_dispatch_ptr 0
		.amdhsa_user_sgpr_queue_ptr 0
		.amdhsa_user_sgpr_kernarg_segment_ptr 1
		.amdhsa_user_sgpr_dispatch_id 0
		.amdhsa_user_sgpr_private_segment_size 0
		.amdhsa_wavefront_size32 1
		.amdhsa_uses_dynamic_stack 0
		.amdhsa_enable_private_segment 0
		.amdhsa_system_sgpr_workgroup_id_x 1
		.amdhsa_system_sgpr_workgroup_id_y 0
		.amdhsa_system_sgpr_workgroup_id_z 0
		.amdhsa_system_sgpr_workgroup_info 0
		.amdhsa_system_vgpr_workitem_id 0
		.amdhsa_next_free_vgpr 21
		.amdhsa_next_free_sgpr 22
		.amdhsa_reserve_vcc 1
		.amdhsa_float_round_mode_32 0
		.amdhsa_float_round_mode_16_64 0
		.amdhsa_float_denorm_mode_32 3
		.amdhsa_float_denorm_mode_16_64 3
		.amdhsa_dx10_clamp 1
		.amdhsa_ieee_mode 1
		.amdhsa_fp16_overflow 0
		.amdhsa_workgroup_processor_mode 1
		.amdhsa_memory_ordered 1
		.amdhsa_forward_progress 0
		.amdhsa_shared_vgpr_count 0
		.amdhsa_exception_fp_ieee_invalid_op 0
		.amdhsa_exception_fp_denorm_src 0
		.amdhsa_exception_fp_ieee_div_zero 0
		.amdhsa_exception_fp_ieee_overflow 0
		.amdhsa_exception_fp_ieee_underflow 0
		.amdhsa_exception_fp_ieee_inexact 0
		.amdhsa_exception_int_div_zero 0
	.end_amdhsa_kernel
	.section	.text._ZN9rocsparseL20bsrxmvn_17_32_kernelILj18EdlldddEEvT2_20rocsparse_direction_NS_24const_host_device_scalarIT0_EES1_PKS1_PKT1_SA_S7_PKT3_PKT4_S5_PT5_21rocsparse_index_base_b,"axG",@progbits,_ZN9rocsparseL20bsrxmvn_17_32_kernelILj18EdlldddEEvT2_20rocsparse_direction_NS_24const_host_device_scalarIT0_EES1_PKS1_PKT1_SA_S7_PKT3_PKT4_S5_PT5_21rocsparse_index_base_b,comdat
.Lfunc_end145:
	.size	_ZN9rocsparseL20bsrxmvn_17_32_kernelILj18EdlldddEEvT2_20rocsparse_direction_NS_24const_host_device_scalarIT0_EES1_PKS1_PKT1_SA_S7_PKT3_PKT4_S5_PT5_21rocsparse_index_base_b, .Lfunc_end145-_ZN9rocsparseL20bsrxmvn_17_32_kernelILj18EdlldddEEvT2_20rocsparse_direction_NS_24const_host_device_scalarIT0_EES1_PKS1_PKT1_SA_S7_PKT3_PKT4_S5_PT5_21rocsparse_index_base_b
                                        ; -- End function
	.section	.AMDGPU.csdata,"",@progbits
; Kernel info:
; codeLenInByte = 1712
; NumSgprs: 24
; NumVgprs: 21
; ScratchSize: 0
; MemoryBound: 1
; FloatMode: 240
; IeeeMode: 1
; LDSByteSize: 2592 bytes/workgroup (compile time only)
; SGPRBlocks: 2
; VGPRBlocks: 2
; NumSGPRsForWavesPerEU: 24
; NumVGPRsForWavesPerEU: 21
; Occupancy: 14
; WaveLimiterHint : 1
; COMPUTE_PGM_RSRC2:SCRATCH_EN: 0
; COMPUTE_PGM_RSRC2:USER_SGPR: 15
; COMPUTE_PGM_RSRC2:TRAP_HANDLER: 0
; COMPUTE_PGM_RSRC2:TGID_X_EN: 1
; COMPUTE_PGM_RSRC2:TGID_Y_EN: 0
; COMPUTE_PGM_RSRC2:TGID_Z_EN: 0
; COMPUTE_PGM_RSRC2:TIDIG_COMP_CNT: 0
	.section	.text._ZN9rocsparseL20bsrxmvn_17_32_kernelILj19EdlldddEEvT2_20rocsparse_direction_NS_24const_host_device_scalarIT0_EES1_PKS1_PKT1_SA_S7_PKT3_PKT4_S5_PT5_21rocsparse_index_base_b,"axG",@progbits,_ZN9rocsparseL20bsrxmvn_17_32_kernelILj19EdlldddEEvT2_20rocsparse_direction_NS_24const_host_device_scalarIT0_EES1_PKS1_PKT1_SA_S7_PKT3_PKT4_S5_PT5_21rocsparse_index_base_b,comdat
	.globl	_ZN9rocsparseL20bsrxmvn_17_32_kernelILj19EdlldddEEvT2_20rocsparse_direction_NS_24const_host_device_scalarIT0_EES1_PKS1_PKT1_SA_S7_PKT3_PKT4_S5_PT5_21rocsparse_index_base_b ; -- Begin function _ZN9rocsparseL20bsrxmvn_17_32_kernelILj19EdlldddEEvT2_20rocsparse_direction_NS_24const_host_device_scalarIT0_EES1_PKS1_PKT1_SA_S7_PKT3_PKT4_S5_PT5_21rocsparse_index_base_b
	.p2align	8
	.type	_ZN9rocsparseL20bsrxmvn_17_32_kernelILj19EdlldddEEvT2_20rocsparse_direction_NS_24const_host_device_scalarIT0_EES1_PKS1_PKT1_SA_S7_PKT3_PKT4_S5_PT5_21rocsparse_index_base_b,@function
_ZN9rocsparseL20bsrxmvn_17_32_kernelILj19EdlldddEEvT2_20rocsparse_direction_NS_24const_host_device_scalarIT0_EES1_PKS1_PKT1_SA_S7_PKT3_PKT4_S5_PT5_21rocsparse_index_base_b: ; @_ZN9rocsparseL20bsrxmvn_17_32_kernelILj19EdlldddEEvT2_20rocsparse_direction_NS_24const_host_device_scalarIT0_EES1_PKS1_PKT1_SA_S7_PKT3_PKT4_S5_PT5_21rocsparse_index_base_b
; %bb.0:
	s_clause 0x2
	s_load_b64 s[12:13], s[0:1], 0x60
	s_load_b64 s[4:5], s[0:1], 0x10
	;; [unrolled: 1-line block ×3, first 2 shown]
	s_mov_b32 s8, s15
	s_waitcnt lgkmcnt(0)
	s_bitcmp1_b32 s13, 0
	v_dual_mov_b32 v3, s4 :: v_dual_mov_b32 v4, s5
	s_cselect_b32 s6, -1, 0
	s_delay_alu instid0(SALU_CYCLE_1)
	s_and_b32 vcc_lo, exec_lo, s6
	s_xor_b32 s6, s6, -1
	s_cbranch_vccnz .LBB146_2
; %bb.1:
	v_dual_mov_b32 v1, s4 :: v_dual_mov_b32 v2, s5
	flat_load_b64 v[3:4], v[1:2]
.LBB146_2:
	v_dual_mov_b32 v1, s2 :: v_dual_mov_b32 v2, s3
	s_and_not1_b32 vcc_lo, exec_lo, s6
	s_cbranch_vccnz .LBB146_4
; %bb.3:
	v_dual_mov_b32 v1, s2 :: v_dual_mov_b32 v2, s3
	flat_load_b64 v[1:2], v[1:2]
.LBB146_4:
	s_waitcnt vmcnt(0) lgkmcnt(0)
	v_cmp_neq_f64_e32 vcc_lo, 0, v[3:4]
	v_cmp_neq_f64_e64 s2, 1.0, v[1:2]
	s_delay_alu instid0(VALU_DEP_1) | instskip(NEXT) | instid1(SALU_CYCLE_1)
	s_or_b32 s2, vcc_lo, s2
	s_and_saveexec_b32 s3, s2
	s_cbranch_execz .LBB146_38
; %bb.5:
	s_clause 0x1
	s_load_b128 s[4:7], s[0:1], 0x20
	s_load_b64 s[10:11], s[0:1], 0x30
	s_mov_b32 s9, 0
	s_waitcnt lgkmcnt(0)
	s_cmp_eq_u64 s[4:5], 0
	s_cbranch_scc1 .LBB146_7
; %bb.6:
	s_lshl_b64 s[2:3], s[8:9], 3
	s_delay_alu instid0(SALU_CYCLE_1)
	s_add_u32 s2, s4, s2
	s_addc_u32 s3, s5, s3
	s_load_b64 s[2:3], s[2:3], 0x0
	s_waitcnt lgkmcnt(0)
	s_sub_u32 s8, s2, s12
	s_subb_u32 s9, s3, 0
.LBB146_7:
	s_load_b32 s3, s[0:1], 0x8
	v_mul_u32_u24_e32 v5, 0xd7a, v0
	v_lshlrev_b32_e32 v13, 3, v0
	s_delay_alu instid0(VALU_DEP_2) | instskip(SKIP_2) | instid1(VALU_DEP_3)
	v_lshrrev_b32_e32 v7, 16, v5
	v_mov_b32_e32 v5, 0
	v_mov_b32_e32 v6, 0
	v_mul_lo_u16 v8, v7, 19
	s_delay_alu instid0(VALU_DEP_1)
	v_sub_nc_u16 v14, v0, v8
	s_waitcnt lgkmcnt(0)
	s_cmp_eq_u32 s3, 1
	s_cselect_b32 s2, -1, 0
	s_cmp_lg_u32 s3, 1
	s_cselect_b32 s3, -1, 0
	s_lshl_b64 s[4:5], s[8:9], 3
	s_delay_alu instid0(SALU_CYCLE_1)
	s_add_u32 s6, s6, s4
	s_addc_u32 s7, s7, s5
	s_add_u32 s13, s6, 8
	s_addc_u32 s14, s7, 0
	s_add_u32 s4, s10, s4
	s_addc_u32 s5, s11, s5
	s_cmp_eq_u64 s[10:11], 0
	s_load_b64 s[10:11], s[0:1], 0x58
	s_cselect_b32 s5, s14, s5
	s_cselect_b32 s4, s13, s4
	s_load_b64 s[16:17], s[6:7], 0x0
	s_load_b64 s[14:15], s[4:5], 0x0
	s_waitcnt lgkmcnt(0)
	v_cmp_ge_i64_e64 s4, s[16:17], s[14:15]
	s_delay_alu instid0(VALU_DEP_1)
	s_and_b32 vcc_lo, exec_lo, s4
	s_cbranch_vccnz .LBB146_12
; %bb.8:
	v_mul_lo_u16 v5, v7, 14
	v_and_b32_e32 v8, 0xffff, v0
	v_and_b32_e32 v6, 0xffff, v14
	s_clause 0x1
	s_load_b128 s[4:7], s[0:1], 0x38
	s_load_b64 s[18:19], s[0:1], 0x48
	s_sub_u32 s0, s14, s12
	v_lshrrev_b16 v5, 8, v5
	s_subb_u32 s1, s15, 0
	s_sub_u32 s14, s16, s12
	s_subb_u32 s15, s17, 0
	v_lshlrev_b32_e32 v9, 3, v0
	v_mul_lo_u16 v5, v5, 19
	s_mul_hi_u32 s13, s14, 0xb48
	s_mul_i32 s20, s15, 0xb48
	s_mul_i32 s21, s14, 0xb48
	s_add_i32 s13, s13, s20
	v_sub_nc_u16 v5, v7, v5
	v_mul_u32_u24_e32 v7, 0xb6, v8
	s_delay_alu instid0(VALU_DEP_2) | instskip(NEXT) | instid1(VALU_DEP_2)
	v_and_b32_e32 v5, 0xff, v5
	v_lshrrev_b32_e32 v15, 16, v7
	s_delay_alu instid0(VALU_DEP_2) | instskip(NEXT) | instid1(VALU_DEP_2)
	v_cndmask_b32_e64 v5, v6, v5, s2
	v_add_co_u32 v6, s2, s16, v15
	s_delay_alu instid0(VALU_DEP_1) | instskip(NEXT) | instid1(VALU_DEP_3)
	v_add_co_ci_u32_e64 v7, null, s17, 0, s2
	v_lshlrev_b32_e32 v8, 3, v5
	s_delay_alu instid0(VALU_DEP_3) | instskip(NEXT) | instid1(VALU_DEP_3)
	v_sub_co_u32 v5, vcc_lo, v6, s12
	v_subrev_co_ci_u32_e32 v6, vcc_lo, 0, v7, vcc_lo
	s_waitcnt lgkmcnt(0)
	s_add_u32 s2, s6, s21
	s_addc_u32 s6, s7, s13
	v_add_co_u32 v7, s7, s18, v8
	v_lshlrev_b64 v[11:12], 3, v[5:6]
	v_mov_b32_e32 v5, 0
	v_mov_b32_e32 v6, 0
	v_add_co_u32 v9, s2, s2, v9
	v_add_co_ci_u32_e64 v8, null, s19, 0, s7
	v_add_co_u32 v11, vcc_lo, s4, v11
	v_add_co_ci_u32_e64 v10, null, s6, 0, s2
	v_add_co_ci_u32_e32 v12, vcc_lo, s5, v12, vcc_lo
	s_set_inst_prefetch_distance 0x1
	s_branch .LBB146_10
	.p2align	6
.LBB146_9:                              ;   in Loop: Header=BB146_10 Depth=1
	s_or_b32 exec_lo, exec_lo, s2
	s_add_u32 s14, s14, 1
	s_addc_u32 s15, s15, 0
	v_add_co_u32 v11, vcc_lo, v11, 8
	v_cmp_lt_i64_e64 s2, s[14:15], s[0:1]
	v_add_co_ci_u32_e32 v12, vcc_lo, 0, v12, vcc_lo
	s_delay_alu instid0(VALU_DEP_2)
	s_and_b32 vcc_lo, exec_lo, s2
	s_cbranch_vccz .LBB146_12
.LBB146_10:                             ; =>This Inner Loop Header: Depth=1
	v_add_co_u32 v16, s2, v15, s14
	s_delay_alu instid0(VALU_DEP_1) | instskip(SKIP_1) | instid1(VALU_DEP_1)
	v_add_co_ci_u32_e64 v17, null, 0, s15, s2
	s_mov_b32 s2, exec_lo
	v_cmpx_gt_i64_e64 s[0:1], v[16:17]
	s_cbranch_execz .LBB146_9
; %bb.11:                               ;   in Loop: Header=BB146_10 Depth=1
	global_load_b64 v[16:17], v[11:12], off
	s_waitcnt vmcnt(0)
	v_sub_co_u32 v18, vcc_lo, v16, s12
	v_subrev_co_ci_u32_e32 v20, vcc_lo, 0, v17, vcc_lo
	s_delay_alu instid0(VALU_DEP_2) | instskip(NEXT) | instid1(VALU_DEP_1)
	v_mad_u64_u32 v[16:17], null, 0x98, v18, v[7:8]
	v_mad_u64_u32 v[18:19], null, 0x98, v20, v[17:18]
	s_delay_alu instid0(VALU_DEP_1)
	v_mov_b32_e32 v17, v18
	global_load_b64 v[18:19], v[9:10], off
	global_load_b64 v[16:17], v[16:17], off
	v_add_co_u32 v9, vcc_lo, 0xb48, v9
	v_add_co_ci_u32_e32 v10, vcc_lo, 0, v10, vcc_lo
	s_waitcnt vmcnt(0)
	v_fma_f64 v[5:6], v[18:19], v[16:17], v[5:6]
	s_branch .LBB146_9
.LBB146_12:
	s_set_inst_prefetch_distance 0x2
	s_and_b32 vcc_lo, exec_lo, s3
	ds_store_b64 v13, v[5:6]
	s_waitcnt lgkmcnt(0)
	s_barrier
	buffer_gl0_inv
	s_cbranch_vccz .LBB146_24
; %bb.13:
	s_mov_b32 s0, exec_lo
	v_cmpx_gt_u16_e32 3, v14
	s_cbranch_execz .LBB146_15
; %bb.14:
	ds_load_2addr_b64 v[7:10], v13 offset1:16
	s_waitcnt lgkmcnt(0)
	v_add_f64 v[7:8], v[9:10], v[7:8]
	ds_store_b64 v13, v[7:8]
.LBB146_15:
	s_or_b32 exec_lo, exec_lo, s0
	s_delay_alu instid0(SALU_CYCLE_1)
	s_mov_b32 s0, exec_lo
	s_waitcnt lgkmcnt(0)
	s_barrier
	buffer_gl0_inv
	v_cmpx_gt_u16_e32 8, v14
	s_cbranch_execz .LBB146_17
; %bb.16:
	ds_load_2addr_b64 v[7:10], v13 offset1:8
	s_waitcnt lgkmcnt(0)
	v_add_f64 v[7:8], v[9:10], v[7:8]
	ds_store_b64 v13, v[7:8]
.LBB146_17:
	s_or_b32 exec_lo, exec_lo, s0
	s_delay_alu instid0(SALU_CYCLE_1)
	s_mov_b32 s0, exec_lo
	s_waitcnt lgkmcnt(0)
	s_barrier
	buffer_gl0_inv
	;; [unrolled: 14-line block ×3, first 2 shown]
	v_cmpx_gt_u16_e32 2, v14
	s_cbranch_execz .LBB146_21
; %bb.20:
	ds_load_2addr_b64 v[7:10], v13 offset1:2
	s_waitcnt lgkmcnt(0)
	v_add_f64 v[7:8], v[9:10], v[7:8]
	ds_store_b64 v13, v[7:8]
.LBB146_21:
	s_or_b32 exec_lo, exec_lo, s0
	s_mov_b32 s1, 0
	s_mov_b32 s0, 0
	s_mov_b32 s2, exec_lo
	s_waitcnt lgkmcnt(0)
	s_barrier
	buffer_gl0_inv
                                        ; implicit-def: $vgpr7
                                        ; implicit-def: $vgpr8
	v_cmpx_gt_u32_e32 19, v0
	s_xor_b32 s2, exec_lo, s2
; %bb.22:
	v_mad_u32_u24 v7, v0, 19, 1
	v_mad_u32_u24 v8, 0x90, v0, v13
	s_mov_b32 s0, exec_lo
; %bb.23:
	s_or_b32 exec_lo, exec_lo, s2
	s_delay_alu instid0(SALU_CYCLE_1)
	s_and_b32 vcc_lo, exec_lo, s1
	s_cbranch_vccnz .LBB146_25
	s_branch .LBB146_36
.LBB146_24:
	s_mov_b32 s0, 0
                                        ; implicit-def: $vgpr7
                                        ; implicit-def: $vgpr8
	s_cbranch_execz .LBB146_36
.LBB146_25:
	s_mov_b32 s1, exec_lo
	v_cmpx_gt_u32_e32 57, v0
	s_cbranch_execz .LBB146_27
; %bb.26:
	ds_load_b64 v[7:8], v13 offset:2432
	ds_load_b64 v[9:10], v13
	s_waitcnt lgkmcnt(0)
	v_add_f64 v[7:8], v[7:8], v[9:10]
	ds_store_b64 v13, v[7:8]
.LBB146_27:
	s_or_b32 exec_lo, exec_lo, s1
	s_delay_alu instid0(SALU_CYCLE_1)
	s_mov_b32 s1, exec_lo
	s_waitcnt lgkmcnt(0)
	s_barrier
	buffer_gl0_inv
	v_cmpx_gt_u32_e32 0x98, v0
	s_cbranch_execz .LBB146_29
; %bb.28:
	ds_load_2addr_b64 v[7:10], v13 offset1:152
	s_waitcnt lgkmcnt(0)
	v_add_f64 v[7:8], v[9:10], v[7:8]
	ds_store_b64 v13, v[7:8]
.LBB146_29:
	s_or_b32 exec_lo, exec_lo, s1
	s_delay_alu instid0(SALU_CYCLE_1)
	s_mov_b32 s1, exec_lo
	s_waitcnt lgkmcnt(0)
	s_barrier
	buffer_gl0_inv
	v_cmpx_gt_u32_e32 0x4c, v0
	s_cbranch_execz .LBB146_31
; %bb.30:
	ds_load_2addr_b64 v[7:10], v13 offset1:76
	s_waitcnt lgkmcnt(0)
	v_add_f64 v[7:8], v[9:10], v[7:8]
	ds_store_b64 v13, v[7:8]
.LBB146_31:
	;; [unrolled: 14-line block ×3, first 2 shown]
	s_or_b32 exec_lo, exec_lo, s1
	s_delay_alu instid0(SALU_CYCLE_1)
	s_mov_b32 s1, exec_lo
	s_waitcnt lgkmcnt(0)
	buffer_gl0_inv
                                        ; implicit-def: $vgpr7
	v_cmpx_gt_u32_e32 19, v0
; %bb.34:
	v_add_nc_u32_e32 v7, 19, v0
	s_or_b32 s0, s0, exec_lo
                                        ; implicit-def: $vgpr5_vgpr6
; %bb.35:
	s_or_b32 exec_lo, exec_lo, s1
	v_mov_b32_e32 v8, v13
.LBB146_36:
	s_and_saveexec_b32 s1, s0
	s_cbranch_execnz .LBB146_39
; %bb.37:
	s_or_b32 exec_lo, exec_lo, s1
	v_cmp_gt_u32_e32 vcc_lo, 19, v0
	s_and_b32 exec_lo, exec_lo, vcc_lo
	s_cbranch_execnz .LBB146_40
.LBB146_38:
	s_nop 0
	s_sendmsg sendmsg(MSG_DEALLOC_VGPRS)
	s_endpgm
.LBB146_39:
	v_lshlrev_b32_e32 v7, 3, v7
	ds_load_b64 v[5:6], v8
	ds_load_b64 v[7:8], v7
	s_waitcnt lgkmcnt(0)
	v_add_f64 v[5:6], v[5:6], v[7:8]
	s_or_b32 exec_lo, exec_lo, s1
	v_cmp_gt_u32_e32 vcc_lo, 19, v0
	s_and_b32 exec_lo, exec_lo, vcc_lo
	s_cbranch_execz .LBB146_38
.LBB146_40:
	s_delay_alu instid0(VALU_DEP_2)
	v_mul_f64 v[3:4], v[3:4], v[5:6]
	s_mul_i32 s0, s9, 0x98
	s_mul_hi_u32 s1, s8, 0x98
	s_mul_i32 s2, s8, 0x98
	s_mov_b32 s3, exec_lo
	v_cmpx_eq_f64_e32 0, v[1:2]
	s_xor_b32 s3, exec_lo, s3
	s_cbranch_execz .LBB146_42
; %bb.41:
	v_lshlrev_b32_e32 v0, 3, v0
	s_add_i32 s5, s1, s0
	s_add_u32 s4, s10, s2
	s_addc_u32 s5, s11, s5
                                        ; implicit-def: $vgpr1_vgpr2
	global_store_b64 v0, v[3:4], s[4:5]
                                        ; implicit-def: $vgpr0
                                        ; implicit-def: $vgpr3_vgpr4
.LBB146_42:
	s_and_not1_saveexec_b32 s3, s3
	s_cbranch_execz .LBB146_38
; %bb.43:
	v_lshlrev_b32_e32 v7, 3, v0
	s_add_i32 s1, s1, s0
	s_add_u32 s0, s10, s2
	s_addc_u32 s1, s11, s1
	global_load_b64 v[5:6], v7, s[0:1]
	s_waitcnt vmcnt(0)
	v_fma_f64 v[0:1], v[1:2], v[5:6], v[3:4]
	global_store_b64 v7, v[0:1], s[0:1]
	s_nop 0
	s_sendmsg sendmsg(MSG_DEALLOC_VGPRS)
	s_endpgm
	.section	.rodata,"a",@progbits
	.p2align	6, 0x0
	.amdhsa_kernel _ZN9rocsparseL20bsrxmvn_17_32_kernelILj19EdlldddEEvT2_20rocsparse_direction_NS_24const_host_device_scalarIT0_EES1_PKS1_PKT1_SA_S7_PKT3_PKT4_S5_PT5_21rocsparse_index_base_b
		.amdhsa_group_segment_fixed_size 2888
		.amdhsa_private_segment_fixed_size 0
		.amdhsa_kernarg_size 104
		.amdhsa_user_sgpr_count 15
		.amdhsa_user_sgpr_dispatch_ptr 0
		.amdhsa_user_sgpr_queue_ptr 0
		.amdhsa_user_sgpr_kernarg_segment_ptr 1
		.amdhsa_user_sgpr_dispatch_id 0
		.amdhsa_user_sgpr_private_segment_size 0
		.amdhsa_wavefront_size32 1
		.amdhsa_uses_dynamic_stack 0
		.amdhsa_enable_private_segment 0
		.amdhsa_system_sgpr_workgroup_id_x 1
		.amdhsa_system_sgpr_workgroup_id_y 0
		.amdhsa_system_sgpr_workgroup_id_z 0
		.amdhsa_system_sgpr_workgroup_info 0
		.amdhsa_system_vgpr_workitem_id 0
		.amdhsa_next_free_vgpr 21
		.amdhsa_next_free_sgpr 22
		.amdhsa_reserve_vcc 1
		.amdhsa_float_round_mode_32 0
		.amdhsa_float_round_mode_16_64 0
		.amdhsa_float_denorm_mode_32 3
		.amdhsa_float_denorm_mode_16_64 3
		.amdhsa_dx10_clamp 1
		.amdhsa_ieee_mode 1
		.amdhsa_fp16_overflow 0
		.amdhsa_workgroup_processor_mode 1
		.amdhsa_memory_ordered 1
		.amdhsa_forward_progress 0
		.amdhsa_shared_vgpr_count 0
		.amdhsa_exception_fp_ieee_invalid_op 0
		.amdhsa_exception_fp_denorm_src 0
		.amdhsa_exception_fp_ieee_div_zero 0
		.amdhsa_exception_fp_ieee_overflow 0
		.amdhsa_exception_fp_ieee_underflow 0
		.amdhsa_exception_fp_ieee_inexact 0
		.amdhsa_exception_int_div_zero 0
	.end_amdhsa_kernel
	.section	.text._ZN9rocsparseL20bsrxmvn_17_32_kernelILj19EdlldddEEvT2_20rocsparse_direction_NS_24const_host_device_scalarIT0_EES1_PKS1_PKT1_SA_S7_PKT3_PKT4_S5_PT5_21rocsparse_index_base_b,"axG",@progbits,_ZN9rocsparseL20bsrxmvn_17_32_kernelILj19EdlldddEEvT2_20rocsparse_direction_NS_24const_host_device_scalarIT0_EES1_PKS1_PKT1_SA_S7_PKT3_PKT4_S5_PT5_21rocsparse_index_base_b,comdat
.Lfunc_end146:
	.size	_ZN9rocsparseL20bsrxmvn_17_32_kernelILj19EdlldddEEvT2_20rocsparse_direction_NS_24const_host_device_scalarIT0_EES1_PKS1_PKT1_SA_S7_PKT3_PKT4_S5_PT5_21rocsparse_index_base_b, .Lfunc_end146-_ZN9rocsparseL20bsrxmvn_17_32_kernelILj19EdlldddEEvT2_20rocsparse_direction_NS_24const_host_device_scalarIT0_EES1_PKS1_PKT1_SA_S7_PKT3_PKT4_S5_PT5_21rocsparse_index_base_b
                                        ; -- End function
	.section	.AMDGPU.csdata,"",@progbits
; Kernel info:
; codeLenInByte = 1724
; NumSgprs: 24
; NumVgprs: 21
; ScratchSize: 0
; MemoryBound: 1
; FloatMode: 240
; IeeeMode: 1
; LDSByteSize: 2888 bytes/workgroup (compile time only)
; SGPRBlocks: 2
; VGPRBlocks: 2
; NumSGPRsForWavesPerEU: 24
; NumVGPRsForWavesPerEU: 21
; Occupancy: 15
; WaveLimiterHint : 1
; COMPUTE_PGM_RSRC2:SCRATCH_EN: 0
; COMPUTE_PGM_RSRC2:USER_SGPR: 15
; COMPUTE_PGM_RSRC2:TRAP_HANDLER: 0
; COMPUTE_PGM_RSRC2:TGID_X_EN: 1
; COMPUTE_PGM_RSRC2:TGID_Y_EN: 0
; COMPUTE_PGM_RSRC2:TGID_Z_EN: 0
; COMPUTE_PGM_RSRC2:TIDIG_COMP_CNT: 0
	.section	.text._ZN9rocsparseL20bsrxmvn_17_32_kernelILj20EdlldddEEvT2_20rocsparse_direction_NS_24const_host_device_scalarIT0_EES1_PKS1_PKT1_SA_S7_PKT3_PKT4_S5_PT5_21rocsparse_index_base_b,"axG",@progbits,_ZN9rocsparseL20bsrxmvn_17_32_kernelILj20EdlldddEEvT2_20rocsparse_direction_NS_24const_host_device_scalarIT0_EES1_PKS1_PKT1_SA_S7_PKT3_PKT4_S5_PT5_21rocsparse_index_base_b,comdat
	.globl	_ZN9rocsparseL20bsrxmvn_17_32_kernelILj20EdlldddEEvT2_20rocsparse_direction_NS_24const_host_device_scalarIT0_EES1_PKS1_PKT1_SA_S7_PKT3_PKT4_S5_PT5_21rocsparse_index_base_b ; -- Begin function _ZN9rocsparseL20bsrxmvn_17_32_kernelILj20EdlldddEEvT2_20rocsparse_direction_NS_24const_host_device_scalarIT0_EES1_PKS1_PKT1_SA_S7_PKT3_PKT4_S5_PT5_21rocsparse_index_base_b
	.p2align	8
	.type	_ZN9rocsparseL20bsrxmvn_17_32_kernelILj20EdlldddEEvT2_20rocsparse_direction_NS_24const_host_device_scalarIT0_EES1_PKS1_PKT1_SA_S7_PKT3_PKT4_S5_PT5_21rocsparse_index_base_b,@function
_ZN9rocsparseL20bsrxmvn_17_32_kernelILj20EdlldddEEvT2_20rocsparse_direction_NS_24const_host_device_scalarIT0_EES1_PKS1_PKT1_SA_S7_PKT3_PKT4_S5_PT5_21rocsparse_index_base_b: ; @_ZN9rocsparseL20bsrxmvn_17_32_kernelILj20EdlldddEEvT2_20rocsparse_direction_NS_24const_host_device_scalarIT0_EES1_PKS1_PKT1_SA_S7_PKT3_PKT4_S5_PT5_21rocsparse_index_base_b
; %bb.0:
	s_clause 0x2
	s_load_b64 s[12:13], s[0:1], 0x60
	s_load_b64 s[4:5], s[0:1], 0x10
	;; [unrolled: 1-line block ×3, first 2 shown]
	s_mov_b32 s8, s15
	s_waitcnt lgkmcnt(0)
	s_bitcmp1_b32 s13, 0
	v_dual_mov_b32 v3, s4 :: v_dual_mov_b32 v4, s5
	s_cselect_b32 s6, -1, 0
	s_delay_alu instid0(SALU_CYCLE_1)
	s_and_b32 vcc_lo, exec_lo, s6
	s_xor_b32 s6, s6, -1
	s_cbranch_vccnz .LBB147_2
; %bb.1:
	v_dual_mov_b32 v1, s4 :: v_dual_mov_b32 v2, s5
	flat_load_b64 v[3:4], v[1:2]
.LBB147_2:
	v_dual_mov_b32 v1, s2 :: v_dual_mov_b32 v2, s3
	s_and_not1_b32 vcc_lo, exec_lo, s6
	s_cbranch_vccnz .LBB147_4
; %bb.3:
	v_dual_mov_b32 v1, s2 :: v_dual_mov_b32 v2, s3
	flat_load_b64 v[1:2], v[1:2]
.LBB147_4:
	s_waitcnt vmcnt(0) lgkmcnt(0)
	v_cmp_neq_f64_e32 vcc_lo, 0, v[3:4]
	v_cmp_neq_f64_e64 s2, 1.0, v[1:2]
	s_delay_alu instid0(VALU_DEP_1) | instskip(NEXT) | instid1(SALU_CYCLE_1)
	s_or_b32 s2, vcc_lo, s2
	s_and_saveexec_b32 s3, s2
	s_cbranch_execz .LBB147_38
; %bb.5:
	s_clause 0x1
	s_load_b128 s[4:7], s[0:1], 0x20
	s_load_b64 s[10:11], s[0:1], 0x30
	s_mov_b32 s9, 0
	s_waitcnt lgkmcnt(0)
	s_cmp_eq_u64 s[4:5], 0
	s_cbranch_scc1 .LBB147_7
; %bb.6:
	s_lshl_b64 s[2:3], s[8:9], 3
	s_delay_alu instid0(SALU_CYCLE_1)
	s_add_u32 s2, s4, s2
	s_addc_u32 s3, s5, s3
	s_load_b64 s[2:3], s[2:3], 0x0
	s_waitcnt lgkmcnt(0)
	s_sub_u32 s8, s2, s12
	s_subb_u32 s9, s3, 0
.LBB147_7:
	s_load_b32 s3, s[0:1], 0x8
	v_mul_u32_u24_e32 v5, 0xccd, v0
	v_lshlrev_b32_e32 v13, 3, v0
	s_delay_alu instid0(VALU_DEP_2) | instskip(SKIP_2) | instid1(VALU_DEP_3)
	v_lshrrev_b32_e32 v7, 16, v5
	v_mov_b32_e32 v5, 0
	v_mov_b32_e32 v6, 0
	v_mul_lo_u16 v8, v7, 20
	s_delay_alu instid0(VALU_DEP_1)
	v_sub_nc_u16 v14, v0, v8
	s_waitcnt lgkmcnt(0)
	s_cmp_eq_u32 s3, 1
	s_cselect_b32 s2, -1, 0
	s_cmp_lg_u32 s3, 1
	s_cselect_b32 s3, -1, 0
	s_lshl_b64 s[4:5], s[8:9], 3
	s_delay_alu instid0(SALU_CYCLE_1)
	s_add_u32 s6, s6, s4
	s_addc_u32 s7, s7, s5
	s_add_u32 s13, s6, 8
	s_addc_u32 s14, s7, 0
	;; [unrolled: 2-line block ×3, first 2 shown]
	s_cmp_eq_u64 s[10:11], 0
	s_load_b64 s[10:11], s[0:1], 0x58
	s_cselect_b32 s5, s14, s5
	s_cselect_b32 s4, s13, s4
	s_load_b64 s[16:17], s[6:7], 0x0
	s_load_b64 s[14:15], s[4:5], 0x0
	s_waitcnt lgkmcnt(0)
	v_cmp_ge_i64_e64 s4, s[16:17], s[14:15]
	s_delay_alu instid0(VALU_DEP_1)
	s_and_b32 vcc_lo, exec_lo, s4
	s_cbranch_vccnz .LBB147_12
; %bb.8:
	v_mul_lo_u16 v5, v7, 13
	v_and_b32_e32 v8, 0xffff, v0
	v_and_b32_e32 v6, 0xffff, v14
	s_clause 0x1
	s_load_b128 s[4:7], s[0:1], 0x38
	s_load_b64 s[18:19], s[0:1], 0x48
	s_sub_u32 s0, s14, s12
	v_lshrrev_b16 v5, 8, v5
	s_subb_u32 s1, s15, 0
	s_sub_u32 s14, s16, s12
	s_subb_u32 s15, s17, 0
	v_lshlrev_b32_e32 v9, 3, v0
	v_mul_lo_u16 v5, v5, 20
	s_mul_hi_u32 s13, s14, 0xc80
	s_mul_i32 s20, s15, 0xc80
	s_mul_i32 s21, s14, 0xc80
	s_add_i32 s13, s13, s20
	v_sub_nc_u16 v5, v7, v5
	v_mul_u32_u24_e32 v7, 0xa4, v8
	s_delay_alu instid0(VALU_DEP_2) | instskip(NEXT) | instid1(VALU_DEP_2)
	v_and_b32_e32 v5, 0xff, v5
	v_lshrrev_b32_e32 v15, 16, v7
	s_delay_alu instid0(VALU_DEP_2) | instskip(NEXT) | instid1(VALU_DEP_2)
	v_cndmask_b32_e64 v5, v6, v5, s2
	v_add_co_u32 v6, s2, s16, v15
	s_delay_alu instid0(VALU_DEP_1) | instskip(NEXT) | instid1(VALU_DEP_3)
	v_add_co_ci_u32_e64 v7, null, s17, 0, s2
	v_lshlrev_b32_e32 v8, 3, v5
	s_delay_alu instid0(VALU_DEP_3) | instskip(NEXT) | instid1(VALU_DEP_3)
	v_sub_co_u32 v5, vcc_lo, v6, s12
	v_subrev_co_ci_u32_e32 v6, vcc_lo, 0, v7, vcc_lo
	s_waitcnt lgkmcnt(0)
	s_add_u32 s2, s6, s21
	s_addc_u32 s6, s7, s13
	v_add_co_u32 v7, s7, s18, v8
	v_lshlrev_b64 v[11:12], 3, v[5:6]
	v_mov_b32_e32 v5, 0
	v_mov_b32_e32 v6, 0
	v_add_co_u32 v9, s2, s2, v9
	v_add_co_ci_u32_e64 v8, null, s19, 0, s7
	v_add_co_u32 v11, vcc_lo, s4, v11
	v_add_co_ci_u32_e64 v10, null, s6, 0, s2
	v_add_co_ci_u32_e32 v12, vcc_lo, s5, v12, vcc_lo
	s_set_inst_prefetch_distance 0x1
	s_branch .LBB147_10
	.p2align	6
.LBB147_9:                              ;   in Loop: Header=BB147_10 Depth=1
	s_or_b32 exec_lo, exec_lo, s2
	s_add_u32 s14, s14, 1
	s_addc_u32 s15, s15, 0
	v_add_co_u32 v11, vcc_lo, v11, 8
	v_cmp_lt_i64_e64 s2, s[14:15], s[0:1]
	v_add_co_ci_u32_e32 v12, vcc_lo, 0, v12, vcc_lo
	s_delay_alu instid0(VALU_DEP_2)
	s_and_b32 vcc_lo, exec_lo, s2
	s_cbranch_vccz .LBB147_12
.LBB147_10:                             ; =>This Inner Loop Header: Depth=1
	v_add_co_u32 v16, s2, v15, s14
	s_delay_alu instid0(VALU_DEP_1) | instskip(SKIP_1) | instid1(VALU_DEP_1)
	v_add_co_ci_u32_e64 v17, null, 0, s15, s2
	s_mov_b32 s2, exec_lo
	v_cmpx_gt_i64_e64 s[0:1], v[16:17]
	s_cbranch_execz .LBB147_9
; %bb.11:                               ;   in Loop: Header=BB147_10 Depth=1
	global_load_b64 v[16:17], v[11:12], off
	s_waitcnt vmcnt(0)
	v_sub_co_u32 v18, vcc_lo, v16, s12
	v_subrev_co_ci_u32_e32 v20, vcc_lo, 0, v17, vcc_lo
	s_delay_alu instid0(VALU_DEP_2) | instskip(NEXT) | instid1(VALU_DEP_1)
	v_mad_u64_u32 v[16:17], null, 0xa0, v18, v[7:8]
	v_mad_u64_u32 v[18:19], null, 0xa0, v20, v[17:18]
	s_delay_alu instid0(VALU_DEP_1)
	v_mov_b32_e32 v17, v18
	global_load_b64 v[18:19], v[9:10], off
	global_load_b64 v[16:17], v[16:17], off
	v_add_co_u32 v9, vcc_lo, 0xc80, v9
	v_add_co_ci_u32_e32 v10, vcc_lo, 0, v10, vcc_lo
	s_waitcnt vmcnt(0)
	v_fma_f64 v[5:6], v[18:19], v[16:17], v[5:6]
	s_branch .LBB147_9
.LBB147_12:
	s_set_inst_prefetch_distance 0x2
	s_and_b32 vcc_lo, exec_lo, s3
	ds_store_b64 v13, v[5:6]
	s_waitcnt lgkmcnt(0)
	s_barrier
	buffer_gl0_inv
	s_cbranch_vccz .LBB147_24
; %bb.13:
	v_cmp_gt_u16_e32 vcc_lo, 4, v14
	s_and_saveexec_b32 s0, vcc_lo
	s_cbranch_execz .LBB147_15
; %bb.14:
	ds_load_2addr_b64 v[7:10], v13 offset1:16
	s_waitcnt lgkmcnt(0)
	v_add_f64 v[7:8], v[9:10], v[7:8]
	ds_store_b64 v13, v[7:8]
.LBB147_15:
	s_or_b32 exec_lo, exec_lo, s0
	s_delay_alu instid0(SALU_CYCLE_1)
	s_mov_b32 s1, exec_lo
	s_waitcnt lgkmcnt(0)
	s_barrier
	buffer_gl0_inv
	v_cmpx_gt_u16_e32 8, v14
	s_cbranch_execz .LBB147_17
; %bb.16:
	ds_load_2addr_b64 v[7:10], v13 offset1:8
	s_waitcnt lgkmcnt(0)
	v_add_f64 v[7:8], v[9:10], v[7:8]
	ds_store_b64 v13, v[7:8]
.LBB147_17:
	s_or_b32 exec_lo, exec_lo, s1
	s_waitcnt lgkmcnt(0)
	s_barrier
	buffer_gl0_inv
	s_and_saveexec_b32 s0, vcc_lo
	s_cbranch_execz .LBB147_19
; %bb.18:
	ds_load_2addr_b64 v[7:10], v13 offset1:4
	s_waitcnt lgkmcnt(0)
	v_add_f64 v[7:8], v[9:10], v[7:8]
	ds_store_b64 v13, v[7:8]
.LBB147_19:
	s_or_b32 exec_lo, exec_lo, s0
	s_delay_alu instid0(SALU_CYCLE_1)
	s_mov_b32 s0, exec_lo
	s_waitcnt lgkmcnt(0)
	s_barrier
	buffer_gl0_inv
	v_cmpx_gt_u16_e32 2, v14
	s_cbranch_execz .LBB147_21
; %bb.20:
	ds_load_2addr_b64 v[7:10], v13 offset1:2
	s_waitcnt lgkmcnt(0)
	v_add_f64 v[7:8], v[9:10], v[7:8]
	ds_store_b64 v13, v[7:8]
.LBB147_21:
	s_or_b32 exec_lo, exec_lo, s0
	s_mov_b32 s0, 0
	s_mov_b32 s1, 0
	s_mov_b32 s2, exec_lo
	s_waitcnt lgkmcnt(0)
	s_barrier
	buffer_gl0_inv
                                        ; implicit-def: $vgpr7
                                        ; implicit-def: $vgpr8
	v_cmpx_gt_u32_e32 20, v0
	s_xor_b32 s2, exec_lo, s2
; %bb.22:
	v_mul_u32_u24_e32 v7, 20, v0
	v_mad_u32_u24 v8, 0x98, v0, v13
	s_mov_b32 s1, exec_lo
	s_delay_alu instid0(VALU_DEP_2)
	v_or_b32_e32 v7, 1, v7
; %bb.23:
	s_or_b32 exec_lo, exec_lo, s2
	s_delay_alu instid0(SALU_CYCLE_1)
	s_and_b32 vcc_lo, exec_lo, s0
	s_cbranch_vccnz .LBB147_25
	s_branch .LBB147_36
.LBB147_24:
	s_mov_b32 s1, 0
                                        ; implicit-def: $vgpr7
                                        ; implicit-def: $vgpr8
	s_cbranch_execz .LBB147_36
.LBB147_25:
	v_cmp_gt_u32_e32 vcc_lo, 0x50, v0
	s_and_saveexec_b32 s0, vcc_lo
	s_cbranch_execz .LBB147_27
; %bb.26:
	ds_load_2addr_stride64_b64 v[7:10], v13 offset1:5
	s_waitcnt lgkmcnt(0)
	v_add_f64 v[7:8], v[9:10], v[7:8]
	ds_store_b64 v13, v[7:8]
.LBB147_27:
	s_or_b32 exec_lo, exec_lo, s0
	s_delay_alu instid0(SALU_CYCLE_1)
	s_mov_b32 s2, exec_lo
	s_waitcnt lgkmcnt(0)
	s_barrier
	buffer_gl0_inv
	v_cmpx_gt_u32_e32 0xa0, v0
	s_cbranch_execz .LBB147_29
; %bb.28:
	ds_load_2addr_b64 v[7:10], v13 offset1:160
	s_waitcnt lgkmcnt(0)
	v_add_f64 v[7:8], v[9:10], v[7:8]
	ds_store_b64 v13, v[7:8]
.LBB147_29:
	s_or_b32 exec_lo, exec_lo, s2
	s_waitcnt lgkmcnt(0)
	s_barrier
	buffer_gl0_inv
	s_and_saveexec_b32 s0, vcc_lo
	s_cbranch_execz .LBB147_31
; %bb.30:
	ds_load_2addr_b64 v[7:10], v13 offset1:80
	s_waitcnt lgkmcnt(0)
	v_add_f64 v[7:8], v[9:10], v[7:8]
	ds_store_b64 v13, v[7:8]
.LBB147_31:
	s_or_b32 exec_lo, exec_lo, s0
	s_delay_alu instid0(SALU_CYCLE_1)
	s_mov_b32 s0, exec_lo
	s_waitcnt lgkmcnt(0)
	s_barrier
	buffer_gl0_inv
	v_cmpx_gt_u32_e32 40, v0
	s_cbranch_execz .LBB147_33
; %bb.32:
	ds_load_2addr_b64 v[7:10], v13 offset1:40
	s_waitcnt lgkmcnt(0)
	v_add_f64 v[7:8], v[9:10], v[7:8]
	ds_store_b64 v13, v[7:8]
.LBB147_33:
	s_or_b32 exec_lo, exec_lo, s0
	s_delay_alu instid0(SALU_CYCLE_1)
	s_mov_b32 s0, exec_lo
	s_waitcnt lgkmcnt(0)
	buffer_gl0_inv
                                        ; implicit-def: $vgpr7
	v_cmpx_gt_u32_e32 20, v0
; %bb.34:
	v_add_nc_u32_e32 v7, 20, v0
	s_or_b32 s1, s1, exec_lo
                                        ; implicit-def: $vgpr5_vgpr6
; %bb.35:
	s_or_b32 exec_lo, exec_lo, s0
	v_mov_b32_e32 v8, v13
.LBB147_36:
	s_and_saveexec_b32 s0, s1
	s_cbranch_execnz .LBB147_39
; %bb.37:
	s_or_b32 exec_lo, exec_lo, s0
	v_cmp_gt_u32_e32 vcc_lo, 20, v0
	s_and_b32 exec_lo, exec_lo, vcc_lo
	s_cbranch_execnz .LBB147_40
.LBB147_38:
	s_nop 0
	s_sendmsg sendmsg(MSG_DEALLOC_VGPRS)
	s_endpgm
.LBB147_39:
	v_lshlrev_b32_e32 v7, 3, v7
	ds_load_b64 v[5:6], v8
	ds_load_b64 v[7:8], v7
	s_waitcnt lgkmcnt(0)
	v_add_f64 v[5:6], v[5:6], v[7:8]
	s_or_b32 exec_lo, exec_lo, s0
	v_cmp_gt_u32_e32 vcc_lo, 20, v0
	s_and_b32 exec_lo, exec_lo, vcc_lo
	s_cbranch_execz .LBB147_38
.LBB147_40:
	s_delay_alu instid0(VALU_DEP_2)
	v_mul_f64 v[3:4], v[3:4], v[5:6]
	s_mul_i32 s0, s9, 0xa0
	s_mul_hi_u32 s1, s8, 0xa0
	s_mul_i32 s2, s8, 0xa0
	s_mov_b32 s3, exec_lo
	v_cmpx_eq_f64_e32 0, v[1:2]
	s_xor_b32 s3, exec_lo, s3
	s_cbranch_execz .LBB147_42
; %bb.41:
	v_lshlrev_b32_e32 v0, 3, v0
	s_add_i32 s5, s1, s0
	s_add_u32 s4, s10, s2
	s_addc_u32 s5, s11, s5
                                        ; implicit-def: $vgpr1_vgpr2
	global_store_b64 v0, v[3:4], s[4:5]
                                        ; implicit-def: $vgpr0
                                        ; implicit-def: $vgpr3_vgpr4
.LBB147_42:
	s_and_not1_saveexec_b32 s3, s3
	s_cbranch_execz .LBB147_38
; %bb.43:
	v_lshlrev_b32_e32 v7, 3, v0
	s_add_i32 s1, s1, s0
	s_add_u32 s0, s10, s2
	s_addc_u32 s1, s11, s1
	global_load_b64 v[5:6], v7, s[0:1]
	s_waitcnt vmcnt(0)
	v_fma_f64 v[0:1], v[1:2], v[5:6], v[3:4]
	global_store_b64 v7, v[0:1], s[0:1]
	s_nop 0
	s_sendmsg sendmsg(MSG_DEALLOC_VGPRS)
	s_endpgm
	.section	.rodata,"a",@progbits
	.p2align	6, 0x0
	.amdhsa_kernel _ZN9rocsparseL20bsrxmvn_17_32_kernelILj20EdlldddEEvT2_20rocsparse_direction_NS_24const_host_device_scalarIT0_EES1_PKS1_PKT1_SA_S7_PKT3_PKT4_S5_PT5_21rocsparse_index_base_b
		.amdhsa_group_segment_fixed_size 3200
		.amdhsa_private_segment_fixed_size 0
		.amdhsa_kernarg_size 104
		.amdhsa_user_sgpr_count 15
		.amdhsa_user_sgpr_dispatch_ptr 0
		.amdhsa_user_sgpr_queue_ptr 0
		.amdhsa_user_sgpr_kernarg_segment_ptr 1
		.amdhsa_user_sgpr_dispatch_id 0
		.amdhsa_user_sgpr_private_segment_size 0
		.amdhsa_wavefront_size32 1
		.amdhsa_uses_dynamic_stack 0
		.amdhsa_enable_private_segment 0
		.amdhsa_system_sgpr_workgroup_id_x 1
		.amdhsa_system_sgpr_workgroup_id_y 0
		.amdhsa_system_sgpr_workgroup_id_z 0
		.amdhsa_system_sgpr_workgroup_info 0
		.amdhsa_system_vgpr_workitem_id 0
		.amdhsa_next_free_vgpr 21
		.amdhsa_next_free_sgpr 22
		.amdhsa_reserve_vcc 1
		.amdhsa_float_round_mode_32 0
		.amdhsa_float_round_mode_16_64 0
		.amdhsa_float_denorm_mode_32 3
		.amdhsa_float_denorm_mode_16_64 3
		.amdhsa_dx10_clamp 1
		.amdhsa_ieee_mode 1
		.amdhsa_fp16_overflow 0
		.amdhsa_workgroup_processor_mode 1
		.amdhsa_memory_ordered 1
		.amdhsa_forward_progress 0
		.amdhsa_shared_vgpr_count 0
		.amdhsa_exception_fp_ieee_invalid_op 0
		.amdhsa_exception_fp_denorm_src 0
		.amdhsa_exception_fp_ieee_div_zero 0
		.amdhsa_exception_fp_ieee_overflow 0
		.amdhsa_exception_fp_ieee_underflow 0
		.amdhsa_exception_fp_ieee_inexact 0
		.amdhsa_exception_int_div_zero 0
	.end_amdhsa_kernel
	.section	.text._ZN9rocsparseL20bsrxmvn_17_32_kernelILj20EdlldddEEvT2_20rocsparse_direction_NS_24const_host_device_scalarIT0_EES1_PKS1_PKT1_SA_S7_PKT3_PKT4_S5_PT5_21rocsparse_index_base_b,"axG",@progbits,_ZN9rocsparseL20bsrxmvn_17_32_kernelILj20EdlldddEEvT2_20rocsparse_direction_NS_24const_host_device_scalarIT0_EES1_PKS1_PKT1_SA_S7_PKT3_PKT4_S5_PT5_21rocsparse_index_base_b,comdat
.Lfunc_end147:
	.size	_ZN9rocsparseL20bsrxmvn_17_32_kernelILj20EdlldddEEvT2_20rocsparse_direction_NS_24const_host_device_scalarIT0_EES1_PKS1_PKT1_SA_S7_PKT3_PKT4_S5_PT5_21rocsparse_index_base_b, .Lfunc_end147-_ZN9rocsparseL20bsrxmvn_17_32_kernelILj20EdlldddEEvT2_20rocsparse_direction_NS_24const_host_device_scalarIT0_EES1_PKS1_PKT1_SA_S7_PKT3_PKT4_S5_PT5_21rocsparse_index_base_b
                                        ; -- End function
	.section	.AMDGPU.csdata,"",@progbits
; Kernel info:
; codeLenInByte = 1704
; NumSgprs: 24
; NumVgprs: 21
; ScratchSize: 0
; MemoryBound: 1
; FloatMode: 240
; IeeeMode: 1
; LDSByteSize: 3200 bytes/workgroup (compile time only)
; SGPRBlocks: 2
; VGPRBlocks: 2
; NumSGPRsForWavesPerEU: 24
; NumVGPRsForWavesPerEU: 21
; Occupancy: 13
; WaveLimiterHint : 1
; COMPUTE_PGM_RSRC2:SCRATCH_EN: 0
; COMPUTE_PGM_RSRC2:USER_SGPR: 15
; COMPUTE_PGM_RSRC2:TRAP_HANDLER: 0
; COMPUTE_PGM_RSRC2:TGID_X_EN: 1
; COMPUTE_PGM_RSRC2:TGID_Y_EN: 0
; COMPUTE_PGM_RSRC2:TGID_Z_EN: 0
; COMPUTE_PGM_RSRC2:TIDIG_COMP_CNT: 0
	.section	.text._ZN9rocsparseL20bsrxmvn_17_32_kernelILj21EdlldddEEvT2_20rocsparse_direction_NS_24const_host_device_scalarIT0_EES1_PKS1_PKT1_SA_S7_PKT3_PKT4_S5_PT5_21rocsparse_index_base_b,"axG",@progbits,_ZN9rocsparseL20bsrxmvn_17_32_kernelILj21EdlldddEEvT2_20rocsparse_direction_NS_24const_host_device_scalarIT0_EES1_PKS1_PKT1_SA_S7_PKT3_PKT4_S5_PT5_21rocsparse_index_base_b,comdat
	.globl	_ZN9rocsparseL20bsrxmvn_17_32_kernelILj21EdlldddEEvT2_20rocsparse_direction_NS_24const_host_device_scalarIT0_EES1_PKS1_PKT1_SA_S7_PKT3_PKT4_S5_PT5_21rocsparse_index_base_b ; -- Begin function _ZN9rocsparseL20bsrxmvn_17_32_kernelILj21EdlldddEEvT2_20rocsparse_direction_NS_24const_host_device_scalarIT0_EES1_PKS1_PKT1_SA_S7_PKT3_PKT4_S5_PT5_21rocsparse_index_base_b
	.p2align	8
	.type	_ZN9rocsparseL20bsrxmvn_17_32_kernelILj21EdlldddEEvT2_20rocsparse_direction_NS_24const_host_device_scalarIT0_EES1_PKS1_PKT1_SA_S7_PKT3_PKT4_S5_PT5_21rocsparse_index_base_b,@function
_ZN9rocsparseL20bsrxmvn_17_32_kernelILj21EdlldddEEvT2_20rocsparse_direction_NS_24const_host_device_scalarIT0_EES1_PKS1_PKT1_SA_S7_PKT3_PKT4_S5_PT5_21rocsparse_index_base_b: ; @_ZN9rocsparseL20bsrxmvn_17_32_kernelILj21EdlldddEEvT2_20rocsparse_direction_NS_24const_host_device_scalarIT0_EES1_PKS1_PKT1_SA_S7_PKT3_PKT4_S5_PT5_21rocsparse_index_base_b
; %bb.0:
	s_clause 0x2
	s_load_b64 s[12:13], s[0:1], 0x60
	s_load_b64 s[4:5], s[0:1], 0x10
	;; [unrolled: 1-line block ×3, first 2 shown]
	s_mov_b32 s8, s15
	s_waitcnt lgkmcnt(0)
	s_bitcmp1_b32 s13, 0
	v_dual_mov_b32 v3, s4 :: v_dual_mov_b32 v4, s5
	s_cselect_b32 s6, -1, 0
	s_delay_alu instid0(SALU_CYCLE_1)
	s_and_b32 vcc_lo, exec_lo, s6
	s_xor_b32 s6, s6, -1
	s_cbranch_vccnz .LBB148_2
; %bb.1:
	v_dual_mov_b32 v1, s4 :: v_dual_mov_b32 v2, s5
	flat_load_b64 v[3:4], v[1:2]
.LBB148_2:
	v_dual_mov_b32 v1, s2 :: v_dual_mov_b32 v2, s3
	s_and_not1_b32 vcc_lo, exec_lo, s6
	s_cbranch_vccnz .LBB148_4
; %bb.3:
	v_dual_mov_b32 v1, s2 :: v_dual_mov_b32 v2, s3
	flat_load_b64 v[1:2], v[1:2]
.LBB148_4:
	s_waitcnt vmcnt(0) lgkmcnt(0)
	v_cmp_neq_f64_e32 vcc_lo, 0, v[3:4]
	v_cmp_neq_f64_e64 s2, 1.0, v[1:2]
	s_delay_alu instid0(VALU_DEP_1) | instskip(NEXT) | instid1(SALU_CYCLE_1)
	s_or_b32 s2, vcc_lo, s2
	s_and_saveexec_b32 s3, s2
	s_cbranch_execz .LBB148_38
; %bb.5:
	s_clause 0x1
	s_load_b128 s[4:7], s[0:1], 0x20
	s_load_b64 s[10:11], s[0:1], 0x30
	s_mov_b32 s9, 0
	s_waitcnt lgkmcnt(0)
	s_cmp_eq_u64 s[4:5], 0
	s_cbranch_scc1 .LBB148_7
; %bb.6:
	s_lshl_b64 s[2:3], s[8:9], 3
	s_delay_alu instid0(SALU_CYCLE_1)
	s_add_u32 s2, s4, s2
	s_addc_u32 s3, s5, s3
	s_load_b64 s[2:3], s[2:3], 0x0
	s_waitcnt lgkmcnt(0)
	s_sub_u32 s8, s2, s12
	s_subb_u32 s9, s3, 0
.LBB148_7:
	s_load_b32 s3, s[0:1], 0x8
	v_mul_u32_u24_e32 v5, 0xc31, v0
	v_lshlrev_b32_e32 v13, 3, v0
	s_delay_alu instid0(VALU_DEP_2) | instskip(SKIP_2) | instid1(VALU_DEP_3)
	v_lshrrev_b32_e32 v7, 16, v5
	v_mov_b32_e32 v5, 0
	v_mov_b32_e32 v6, 0
	v_mul_lo_u16 v8, v7, 21
	s_delay_alu instid0(VALU_DEP_1)
	v_sub_nc_u16 v14, v0, v8
	s_waitcnt lgkmcnt(0)
	s_cmp_eq_u32 s3, 1
	s_cselect_b32 s2, -1, 0
	s_cmp_lg_u32 s3, 1
	s_cselect_b32 s3, -1, 0
	s_lshl_b64 s[4:5], s[8:9], 3
	s_delay_alu instid0(SALU_CYCLE_1)
	s_add_u32 s6, s6, s4
	s_addc_u32 s7, s7, s5
	s_add_u32 s13, s6, 8
	s_addc_u32 s14, s7, 0
	;; [unrolled: 2-line block ×3, first 2 shown]
	s_cmp_eq_u64 s[10:11], 0
	s_load_b64 s[10:11], s[0:1], 0x58
	s_cselect_b32 s5, s14, s5
	s_cselect_b32 s4, s13, s4
	s_load_b64 s[16:17], s[6:7], 0x0
	s_load_b64 s[14:15], s[4:5], 0x0
	s_waitcnt lgkmcnt(0)
	v_cmp_ge_i64_e64 s4, s[16:17], s[14:15]
	s_delay_alu instid0(VALU_DEP_1)
	s_and_b32 vcc_lo, exec_lo, s4
	s_cbranch_vccnz .LBB148_12
; %bb.8:
	v_mul_lo_u16 v5, v7, 25
	v_and_b32_e32 v8, 0xffff, v0
	v_and_b32_e32 v6, 0xffff, v14
	s_clause 0x1
	s_load_b128 s[4:7], s[0:1], 0x38
	s_load_b64 s[18:19], s[0:1], 0x48
	s_sub_u32 s0, s14, s12
	v_lshrrev_b16 v5, 9, v5
	s_subb_u32 s1, s15, 0
	s_sub_u32 s14, s16, s12
	s_subb_u32 s15, s17, 0
	v_lshlrev_b32_e32 v9, 3, v0
	v_mul_lo_u16 v5, v5, 21
	s_mul_hi_u32 s13, s14, 0xdc8
	s_mul_i32 s20, s15, 0xdc8
	s_mul_i32 s21, s14, 0xdc8
	s_add_i32 s13, s13, s20
	v_sub_nc_u16 v5, v7, v5
	v_mul_u32_u24_e32 v7, 0x253, v8
	s_delay_alu instid0(VALU_DEP_2) | instskip(NEXT) | instid1(VALU_DEP_2)
	v_and_b32_e32 v5, 0xff, v5
	v_lshrrev_b32_e32 v15, 18, v7
	s_delay_alu instid0(VALU_DEP_2) | instskip(NEXT) | instid1(VALU_DEP_2)
	v_cndmask_b32_e64 v5, v6, v5, s2
	v_add_co_u32 v6, s2, s16, v15
	s_delay_alu instid0(VALU_DEP_1) | instskip(NEXT) | instid1(VALU_DEP_3)
	v_add_co_ci_u32_e64 v7, null, s17, 0, s2
	v_lshlrev_b32_e32 v8, 3, v5
	s_delay_alu instid0(VALU_DEP_3) | instskip(NEXT) | instid1(VALU_DEP_3)
	v_sub_co_u32 v5, vcc_lo, v6, s12
	v_subrev_co_ci_u32_e32 v6, vcc_lo, 0, v7, vcc_lo
	s_waitcnt lgkmcnt(0)
	s_add_u32 s2, s6, s21
	s_addc_u32 s6, s7, s13
	v_add_co_u32 v7, s7, s18, v8
	v_lshlrev_b64 v[11:12], 3, v[5:6]
	v_mov_b32_e32 v5, 0
	v_mov_b32_e32 v6, 0
	v_add_co_u32 v9, s2, s2, v9
	v_add_co_ci_u32_e64 v8, null, s19, 0, s7
	v_add_co_u32 v11, vcc_lo, s4, v11
	v_add_co_ci_u32_e64 v10, null, s6, 0, s2
	v_add_co_ci_u32_e32 v12, vcc_lo, s5, v12, vcc_lo
	s_set_inst_prefetch_distance 0x1
	s_branch .LBB148_10
	.p2align	6
.LBB148_9:                              ;   in Loop: Header=BB148_10 Depth=1
	s_or_b32 exec_lo, exec_lo, s2
	s_add_u32 s14, s14, 1
	s_addc_u32 s15, s15, 0
	v_add_co_u32 v11, vcc_lo, v11, 8
	v_cmp_lt_i64_e64 s2, s[14:15], s[0:1]
	v_add_co_ci_u32_e32 v12, vcc_lo, 0, v12, vcc_lo
	s_delay_alu instid0(VALU_DEP_2)
	s_and_b32 vcc_lo, exec_lo, s2
	s_cbranch_vccz .LBB148_12
.LBB148_10:                             ; =>This Inner Loop Header: Depth=1
	v_add_co_u32 v16, s2, v15, s14
	s_delay_alu instid0(VALU_DEP_1) | instskip(SKIP_1) | instid1(VALU_DEP_1)
	v_add_co_ci_u32_e64 v17, null, 0, s15, s2
	s_mov_b32 s2, exec_lo
	v_cmpx_gt_i64_e64 s[0:1], v[16:17]
	s_cbranch_execz .LBB148_9
; %bb.11:                               ;   in Loop: Header=BB148_10 Depth=1
	global_load_b64 v[16:17], v[11:12], off
	s_waitcnt vmcnt(0)
	v_sub_co_u32 v18, vcc_lo, v16, s12
	v_subrev_co_ci_u32_e32 v20, vcc_lo, 0, v17, vcc_lo
	s_delay_alu instid0(VALU_DEP_2) | instskip(NEXT) | instid1(VALU_DEP_1)
	v_mad_u64_u32 v[16:17], null, 0xa8, v18, v[7:8]
	v_mad_u64_u32 v[18:19], null, 0xa8, v20, v[17:18]
	s_delay_alu instid0(VALU_DEP_1)
	v_mov_b32_e32 v17, v18
	global_load_b64 v[18:19], v[9:10], off
	global_load_b64 v[16:17], v[16:17], off
	v_add_co_u32 v9, vcc_lo, 0xdc8, v9
	v_add_co_ci_u32_e32 v10, vcc_lo, 0, v10, vcc_lo
	s_waitcnt vmcnt(0)
	v_fma_f64 v[5:6], v[18:19], v[16:17], v[5:6]
	s_branch .LBB148_9
.LBB148_12:
	s_set_inst_prefetch_distance 0x2
	s_and_b32 vcc_lo, exec_lo, s3
	ds_store_b64 v13, v[5:6]
	s_waitcnt lgkmcnt(0)
	s_barrier
	buffer_gl0_inv
	s_cbranch_vccz .LBB148_24
; %bb.13:
	s_mov_b32 s0, exec_lo
	v_cmpx_gt_u16_e32 5, v14
	s_cbranch_execz .LBB148_15
; %bb.14:
	ds_load_2addr_b64 v[7:10], v13 offset1:16
	s_waitcnt lgkmcnt(0)
	v_add_f64 v[7:8], v[9:10], v[7:8]
	ds_store_b64 v13, v[7:8]
.LBB148_15:
	s_or_b32 exec_lo, exec_lo, s0
	s_delay_alu instid0(SALU_CYCLE_1)
	s_mov_b32 s0, exec_lo
	s_waitcnt lgkmcnt(0)
	s_barrier
	buffer_gl0_inv
	v_cmpx_gt_u16_e32 8, v14
	s_cbranch_execz .LBB148_17
; %bb.16:
	ds_load_2addr_b64 v[7:10], v13 offset1:8
	s_waitcnt lgkmcnt(0)
	v_add_f64 v[7:8], v[9:10], v[7:8]
	ds_store_b64 v13, v[7:8]
.LBB148_17:
	s_or_b32 exec_lo, exec_lo, s0
	s_delay_alu instid0(SALU_CYCLE_1)
	s_mov_b32 s0, exec_lo
	s_waitcnt lgkmcnt(0)
	s_barrier
	buffer_gl0_inv
	;; [unrolled: 14-line block ×3, first 2 shown]
	v_cmpx_gt_u16_e32 2, v14
	s_cbranch_execz .LBB148_21
; %bb.20:
	ds_load_2addr_b64 v[7:10], v13 offset1:2
	s_waitcnt lgkmcnt(0)
	v_add_f64 v[7:8], v[9:10], v[7:8]
	ds_store_b64 v13, v[7:8]
.LBB148_21:
	s_or_b32 exec_lo, exec_lo, s0
	s_mov_b32 s1, 0
	s_mov_b32 s0, 0
	s_mov_b32 s2, exec_lo
	s_waitcnt lgkmcnt(0)
	s_barrier
	buffer_gl0_inv
                                        ; implicit-def: $vgpr7
                                        ; implicit-def: $vgpr8
	v_cmpx_gt_u32_e32 21, v0
	s_xor_b32 s2, exec_lo, s2
; %bb.22:
	v_mad_u32_u24 v7, v0, 21, 1
	v_mad_u32_u24 v8, 0xa0, v0, v13
	s_mov_b32 s0, exec_lo
; %bb.23:
	s_or_b32 exec_lo, exec_lo, s2
	s_delay_alu instid0(SALU_CYCLE_1)
	s_and_b32 vcc_lo, exec_lo, s1
	s_cbranch_vccnz .LBB148_25
	s_branch .LBB148_36
.LBB148_24:
	s_mov_b32 s0, 0
                                        ; implicit-def: $vgpr7
                                        ; implicit-def: $vgpr8
	s_cbranch_execz .LBB148_36
.LBB148_25:
	s_mov_b32 s1, exec_lo
	v_cmpx_gt_u32_e32 0x69, v0
	s_cbranch_execz .LBB148_27
; %bb.26:
	ds_load_b64 v[7:8], v13 offset:2688
	ds_load_b64 v[9:10], v13
	s_waitcnt lgkmcnt(0)
	v_add_f64 v[7:8], v[7:8], v[9:10]
	ds_store_b64 v13, v[7:8]
.LBB148_27:
	s_or_b32 exec_lo, exec_lo, s1
	s_delay_alu instid0(SALU_CYCLE_1)
	s_mov_b32 s1, exec_lo
	s_waitcnt lgkmcnt(0)
	s_barrier
	buffer_gl0_inv
	v_cmpx_gt_u32_e32 0xa8, v0
	s_cbranch_execz .LBB148_29
; %bb.28:
	ds_load_2addr_b64 v[7:10], v13 offset1:168
	s_waitcnt lgkmcnt(0)
	v_add_f64 v[7:8], v[9:10], v[7:8]
	ds_store_b64 v13, v[7:8]
.LBB148_29:
	s_or_b32 exec_lo, exec_lo, s1
	s_delay_alu instid0(SALU_CYCLE_1)
	s_mov_b32 s1, exec_lo
	s_waitcnt lgkmcnt(0)
	s_barrier
	buffer_gl0_inv
	v_cmpx_gt_u32_e32 0x54, v0
	s_cbranch_execz .LBB148_31
; %bb.30:
	ds_load_2addr_b64 v[7:10], v13 offset1:84
	s_waitcnt lgkmcnt(0)
	v_add_f64 v[7:8], v[9:10], v[7:8]
	ds_store_b64 v13, v[7:8]
.LBB148_31:
	;; [unrolled: 14-line block ×3, first 2 shown]
	s_or_b32 exec_lo, exec_lo, s1
	s_delay_alu instid0(SALU_CYCLE_1)
	s_mov_b32 s1, exec_lo
	s_waitcnt lgkmcnt(0)
	buffer_gl0_inv
                                        ; implicit-def: $vgpr7
	v_cmpx_gt_u32_e32 21, v0
; %bb.34:
	v_add_nc_u32_e32 v7, 21, v0
	s_or_b32 s0, s0, exec_lo
                                        ; implicit-def: $vgpr5_vgpr6
; %bb.35:
	s_or_b32 exec_lo, exec_lo, s1
	v_mov_b32_e32 v8, v13
.LBB148_36:
	s_and_saveexec_b32 s1, s0
	s_cbranch_execnz .LBB148_39
; %bb.37:
	s_or_b32 exec_lo, exec_lo, s1
	v_cmp_gt_u32_e32 vcc_lo, 21, v0
	s_and_b32 exec_lo, exec_lo, vcc_lo
	s_cbranch_execnz .LBB148_40
.LBB148_38:
	s_nop 0
	s_sendmsg sendmsg(MSG_DEALLOC_VGPRS)
	s_endpgm
.LBB148_39:
	v_lshlrev_b32_e32 v7, 3, v7
	ds_load_b64 v[5:6], v8
	ds_load_b64 v[7:8], v7
	s_waitcnt lgkmcnt(0)
	v_add_f64 v[5:6], v[5:6], v[7:8]
	s_or_b32 exec_lo, exec_lo, s1
	v_cmp_gt_u32_e32 vcc_lo, 21, v0
	s_and_b32 exec_lo, exec_lo, vcc_lo
	s_cbranch_execz .LBB148_38
.LBB148_40:
	s_delay_alu instid0(VALU_DEP_2)
	v_mul_f64 v[3:4], v[3:4], v[5:6]
	s_mul_i32 s0, s9, 0xa8
	s_mul_hi_u32 s1, s8, 0xa8
	s_mul_i32 s2, s8, 0xa8
	s_mov_b32 s3, exec_lo
	v_cmpx_eq_f64_e32 0, v[1:2]
	s_xor_b32 s3, exec_lo, s3
	s_cbranch_execz .LBB148_42
; %bb.41:
	v_lshlrev_b32_e32 v0, 3, v0
	s_add_i32 s5, s1, s0
	s_add_u32 s4, s10, s2
	s_addc_u32 s5, s11, s5
                                        ; implicit-def: $vgpr1_vgpr2
	global_store_b64 v0, v[3:4], s[4:5]
                                        ; implicit-def: $vgpr0
                                        ; implicit-def: $vgpr3_vgpr4
.LBB148_42:
	s_and_not1_saveexec_b32 s3, s3
	s_cbranch_execz .LBB148_38
; %bb.43:
	v_lshlrev_b32_e32 v7, 3, v0
	s_add_i32 s1, s1, s0
	s_add_u32 s0, s10, s2
	s_addc_u32 s1, s11, s1
	global_load_b64 v[5:6], v7, s[0:1]
	s_waitcnt vmcnt(0)
	v_fma_f64 v[0:1], v[1:2], v[5:6], v[3:4]
	global_store_b64 v7, v[0:1], s[0:1]
	s_nop 0
	s_sendmsg sendmsg(MSG_DEALLOC_VGPRS)
	s_endpgm
	.section	.rodata,"a",@progbits
	.p2align	6, 0x0
	.amdhsa_kernel _ZN9rocsparseL20bsrxmvn_17_32_kernelILj21EdlldddEEvT2_20rocsparse_direction_NS_24const_host_device_scalarIT0_EES1_PKS1_PKT1_SA_S7_PKT3_PKT4_S5_PT5_21rocsparse_index_base_b
		.amdhsa_group_segment_fixed_size 3528
		.amdhsa_private_segment_fixed_size 0
		.amdhsa_kernarg_size 104
		.amdhsa_user_sgpr_count 15
		.amdhsa_user_sgpr_dispatch_ptr 0
		.amdhsa_user_sgpr_queue_ptr 0
		.amdhsa_user_sgpr_kernarg_segment_ptr 1
		.amdhsa_user_sgpr_dispatch_id 0
		.amdhsa_user_sgpr_private_segment_size 0
		.amdhsa_wavefront_size32 1
		.amdhsa_uses_dynamic_stack 0
		.amdhsa_enable_private_segment 0
		.amdhsa_system_sgpr_workgroup_id_x 1
		.amdhsa_system_sgpr_workgroup_id_y 0
		.amdhsa_system_sgpr_workgroup_id_z 0
		.amdhsa_system_sgpr_workgroup_info 0
		.amdhsa_system_vgpr_workitem_id 0
		.amdhsa_next_free_vgpr 21
		.amdhsa_next_free_sgpr 22
		.amdhsa_reserve_vcc 1
		.amdhsa_float_round_mode_32 0
		.amdhsa_float_round_mode_16_64 0
		.amdhsa_float_denorm_mode_32 3
		.amdhsa_float_denorm_mode_16_64 3
		.amdhsa_dx10_clamp 1
		.amdhsa_ieee_mode 1
		.amdhsa_fp16_overflow 0
		.amdhsa_workgroup_processor_mode 1
		.amdhsa_memory_ordered 1
		.amdhsa_forward_progress 0
		.amdhsa_shared_vgpr_count 0
		.amdhsa_exception_fp_ieee_invalid_op 0
		.amdhsa_exception_fp_denorm_src 0
		.amdhsa_exception_fp_ieee_div_zero 0
		.amdhsa_exception_fp_ieee_overflow 0
		.amdhsa_exception_fp_ieee_underflow 0
		.amdhsa_exception_fp_ieee_inexact 0
		.amdhsa_exception_int_div_zero 0
	.end_amdhsa_kernel
	.section	.text._ZN9rocsparseL20bsrxmvn_17_32_kernelILj21EdlldddEEvT2_20rocsparse_direction_NS_24const_host_device_scalarIT0_EES1_PKS1_PKT1_SA_S7_PKT3_PKT4_S5_PT5_21rocsparse_index_base_b,"axG",@progbits,_ZN9rocsparseL20bsrxmvn_17_32_kernelILj21EdlldddEEvT2_20rocsparse_direction_NS_24const_host_device_scalarIT0_EES1_PKS1_PKT1_SA_S7_PKT3_PKT4_S5_PT5_21rocsparse_index_base_b,comdat
.Lfunc_end148:
	.size	_ZN9rocsparseL20bsrxmvn_17_32_kernelILj21EdlldddEEvT2_20rocsparse_direction_NS_24const_host_device_scalarIT0_EES1_PKS1_PKT1_SA_S7_PKT3_PKT4_S5_PT5_21rocsparse_index_base_b, .Lfunc_end148-_ZN9rocsparseL20bsrxmvn_17_32_kernelILj21EdlldddEEvT2_20rocsparse_direction_NS_24const_host_device_scalarIT0_EES1_PKS1_PKT1_SA_S7_PKT3_PKT4_S5_PT5_21rocsparse_index_base_b
                                        ; -- End function
	.section	.AMDGPU.csdata,"",@progbits
; Kernel info:
; codeLenInByte = 1728
; NumSgprs: 24
; NumVgprs: 21
; ScratchSize: 0
; MemoryBound: 1
; FloatMode: 240
; IeeeMode: 1
; LDSByteSize: 3528 bytes/workgroup (compile time only)
; SGPRBlocks: 2
; VGPRBlocks: 2
; NumSGPRsForWavesPerEU: 24
; NumVGPRsForWavesPerEU: 21
; Occupancy: 14
; WaveLimiterHint : 1
; COMPUTE_PGM_RSRC2:SCRATCH_EN: 0
; COMPUTE_PGM_RSRC2:USER_SGPR: 15
; COMPUTE_PGM_RSRC2:TRAP_HANDLER: 0
; COMPUTE_PGM_RSRC2:TGID_X_EN: 1
; COMPUTE_PGM_RSRC2:TGID_Y_EN: 0
; COMPUTE_PGM_RSRC2:TGID_Z_EN: 0
; COMPUTE_PGM_RSRC2:TIDIG_COMP_CNT: 0
	.section	.text._ZN9rocsparseL20bsrxmvn_17_32_kernelILj22EdlldddEEvT2_20rocsparse_direction_NS_24const_host_device_scalarIT0_EES1_PKS1_PKT1_SA_S7_PKT3_PKT4_S5_PT5_21rocsparse_index_base_b,"axG",@progbits,_ZN9rocsparseL20bsrxmvn_17_32_kernelILj22EdlldddEEvT2_20rocsparse_direction_NS_24const_host_device_scalarIT0_EES1_PKS1_PKT1_SA_S7_PKT3_PKT4_S5_PT5_21rocsparse_index_base_b,comdat
	.globl	_ZN9rocsparseL20bsrxmvn_17_32_kernelILj22EdlldddEEvT2_20rocsparse_direction_NS_24const_host_device_scalarIT0_EES1_PKS1_PKT1_SA_S7_PKT3_PKT4_S5_PT5_21rocsparse_index_base_b ; -- Begin function _ZN9rocsparseL20bsrxmvn_17_32_kernelILj22EdlldddEEvT2_20rocsparse_direction_NS_24const_host_device_scalarIT0_EES1_PKS1_PKT1_SA_S7_PKT3_PKT4_S5_PT5_21rocsparse_index_base_b
	.p2align	8
	.type	_ZN9rocsparseL20bsrxmvn_17_32_kernelILj22EdlldddEEvT2_20rocsparse_direction_NS_24const_host_device_scalarIT0_EES1_PKS1_PKT1_SA_S7_PKT3_PKT4_S5_PT5_21rocsparse_index_base_b,@function
_ZN9rocsparseL20bsrxmvn_17_32_kernelILj22EdlldddEEvT2_20rocsparse_direction_NS_24const_host_device_scalarIT0_EES1_PKS1_PKT1_SA_S7_PKT3_PKT4_S5_PT5_21rocsparse_index_base_b: ; @_ZN9rocsparseL20bsrxmvn_17_32_kernelILj22EdlldddEEvT2_20rocsparse_direction_NS_24const_host_device_scalarIT0_EES1_PKS1_PKT1_SA_S7_PKT3_PKT4_S5_PT5_21rocsparse_index_base_b
; %bb.0:
	s_clause 0x2
	s_load_b64 s[12:13], s[0:1], 0x60
	s_load_b64 s[4:5], s[0:1], 0x10
	;; [unrolled: 1-line block ×3, first 2 shown]
	s_mov_b32 s8, s15
	s_waitcnt lgkmcnt(0)
	s_bitcmp1_b32 s13, 0
	v_dual_mov_b32 v3, s4 :: v_dual_mov_b32 v4, s5
	s_cselect_b32 s6, -1, 0
	s_delay_alu instid0(SALU_CYCLE_1)
	s_and_b32 vcc_lo, exec_lo, s6
	s_xor_b32 s6, s6, -1
	s_cbranch_vccnz .LBB149_2
; %bb.1:
	v_dual_mov_b32 v1, s4 :: v_dual_mov_b32 v2, s5
	flat_load_b64 v[3:4], v[1:2]
.LBB149_2:
	v_dual_mov_b32 v1, s2 :: v_dual_mov_b32 v2, s3
	s_and_not1_b32 vcc_lo, exec_lo, s6
	s_cbranch_vccnz .LBB149_4
; %bb.3:
	v_dual_mov_b32 v1, s2 :: v_dual_mov_b32 v2, s3
	flat_load_b64 v[1:2], v[1:2]
.LBB149_4:
	s_waitcnt vmcnt(0) lgkmcnt(0)
	v_cmp_neq_f64_e32 vcc_lo, 0, v[3:4]
	v_cmp_neq_f64_e64 s2, 1.0, v[1:2]
	s_delay_alu instid0(VALU_DEP_1) | instskip(NEXT) | instid1(SALU_CYCLE_1)
	s_or_b32 s2, vcc_lo, s2
	s_and_saveexec_b32 s3, s2
	s_cbranch_execz .LBB149_38
; %bb.5:
	s_clause 0x1
	s_load_b128 s[4:7], s[0:1], 0x20
	s_load_b64 s[10:11], s[0:1], 0x30
	s_mov_b32 s9, 0
	s_waitcnt lgkmcnt(0)
	s_cmp_eq_u64 s[4:5], 0
	s_cbranch_scc1 .LBB149_7
; %bb.6:
	s_lshl_b64 s[2:3], s[8:9], 3
	s_delay_alu instid0(SALU_CYCLE_1)
	s_add_u32 s2, s4, s2
	s_addc_u32 s3, s5, s3
	s_load_b64 s[2:3], s[2:3], 0x0
	s_waitcnt lgkmcnt(0)
	s_sub_u32 s8, s2, s12
	s_subb_u32 s9, s3, 0
.LBB149_7:
	s_load_b32 s3, s[0:1], 0x8
	v_mul_u32_u24_e32 v5, 0xba3, v0
	v_lshlrev_b32_e32 v13, 3, v0
	s_delay_alu instid0(VALU_DEP_2) | instskip(SKIP_2) | instid1(VALU_DEP_3)
	v_lshrrev_b32_e32 v7, 16, v5
	v_mov_b32_e32 v5, 0
	v_mov_b32_e32 v6, 0
	v_mul_lo_u16 v8, v7, 22
	s_delay_alu instid0(VALU_DEP_1)
	v_sub_nc_u16 v14, v0, v8
	s_waitcnt lgkmcnt(0)
	s_cmp_eq_u32 s3, 1
	s_cselect_b32 s2, -1, 0
	s_cmp_lg_u32 s3, 1
	s_cselect_b32 s3, -1, 0
	s_lshl_b64 s[4:5], s[8:9], 3
	s_delay_alu instid0(SALU_CYCLE_1)
	s_add_u32 s6, s6, s4
	s_addc_u32 s7, s7, s5
	s_add_u32 s13, s6, 8
	s_addc_u32 s14, s7, 0
	;; [unrolled: 2-line block ×3, first 2 shown]
	s_cmp_eq_u64 s[10:11], 0
	s_load_b64 s[10:11], s[0:1], 0x58
	s_cselect_b32 s5, s14, s5
	s_cselect_b32 s4, s13, s4
	s_load_b64 s[16:17], s[6:7], 0x0
	s_load_b64 s[14:15], s[4:5], 0x0
	s_waitcnt lgkmcnt(0)
	v_cmp_ge_i64_e64 s4, s[16:17], s[14:15]
	s_delay_alu instid0(VALU_DEP_1)
	s_and_b32 vcc_lo, exec_lo, s4
	s_cbranch_vccnz .LBB149_12
; %bb.8:
	v_mul_lo_u16 v5, v7, 12
	v_and_b32_e32 v8, 0xffff, v0
	v_and_b32_e32 v6, 0xffff, v14
	s_clause 0x1
	s_load_b128 s[4:7], s[0:1], 0x38
	s_load_b64 s[18:19], s[0:1], 0x48
	s_sub_u32 s0, s14, s12
	v_lshrrev_b16 v5, 8, v5
	s_subb_u32 s1, s15, 0
	s_sub_u32 s14, s16, s12
	s_subb_u32 s15, s17, 0
	v_lshlrev_b32_e32 v9, 3, v0
	v_mul_lo_u16 v5, v5, 22
	s_mul_hi_u32 s13, s14, 0xf20
	s_mul_i32 s20, s15, 0xf20
	s_mul_i32 s21, s14, 0xf20
	s_add_i32 s13, s13, s20
	v_sub_nc_u16 v5, v7, v5
	v_mul_u32_u24_e32 v7, 0x10f, v8
	s_delay_alu instid0(VALU_DEP_2) | instskip(NEXT) | instid1(VALU_DEP_2)
	v_and_b32_e32 v5, 0xff, v5
	v_lshrrev_b32_e32 v15, 17, v7
	s_delay_alu instid0(VALU_DEP_2) | instskip(NEXT) | instid1(VALU_DEP_2)
	v_cndmask_b32_e64 v5, v6, v5, s2
	v_add_co_u32 v6, s2, s16, v15
	s_delay_alu instid0(VALU_DEP_1) | instskip(NEXT) | instid1(VALU_DEP_3)
	v_add_co_ci_u32_e64 v7, null, s17, 0, s2
	v_lshlrev_b32_e32 v8, 3, v5
	s_delay_alu instid0(VALU_DEP_3) | instskip(NEXT) | instid1(VALU_DEP_3)
	v_sub_co_u32 v5, vcc_lo, v6, s12
	v_subrev_co_ci_u32_e32 v6, vcc_lo, 0, v7, vcc_lo
	s_waitcnt lgkmcnt(0)
	s_add_u32 s2, s6, s21
	s_addc_u32 s6, s7, s13
	v_add_co_u32 v7, s7, s18, v8
	v_lshlrev_b64 v[11:12], 3, v[5:6]
	v_mov_b32_e32 v5, 0
	v_mov_b32_e32 v6, 0
	v_add_co_u32 v9, s2, s2, v9
	v_add_co_ci_u32_e64 v8, null, s19, 0, s7
	v_add_co_u32 v11, vcc_lo, s4, v11
	v_add_co_ci_u32_e64 v10, null, s6, 0, s2
	v_add_co_ci_u32_e32 v12, vcc_lo, s5, v12, vcc_lo
	s_set_inst_prefetch_distance 0x1
	s_branch .LBB149_10
	.p2align	6
.LBB149_9:                              ;   in Loop: Header=BB149_10 Depth=1
	s_or_b32 exec_lo, exec_lo, s2
	s_add_u32 s14, s14, 1
	s_addc_u32 s15, s15, 0
	v_add_co_u32 v11, vcc_lo, v11, 8
	v_cmp_lt_i64_e64 s2, s[14:15], s[0:1]
	v_add_co_ci_u32_e32 v12, vcc_lo, 0, v12, vcc_lo
	s_delay_alu instid0(VALU_DEP_2)
	s_and_b32 vcc_lo, exec_lo, s2
	s_cbranch_vccz .LBB149_12
.LBB149_10:                             ; =>This Inner Loop Header: Depth=1
	v_add_co_u32 v16, s2, v15, s14
	s_delay_alu instid0(VALU_DEP_1) | instskip(SKIP_1) | instid1(VALU_DEP_1)
	v_add_co_ci_u32_e64 v17, null, 0, s15, s2
	s_mov_b32 s2, exec_lo
	v_cmpx_gt_i64_e64 s[0:1], v[16:17]
	s_cbranch_execz .LBB149_9
; %bb.11:                               ;   in Loop: Header=BB149_10 Depth=1
	global_load_b64 v[16:17], v[11:12], off
	s_waitcnt vmcnt(0)
	v_sub_co_u32 v18, vcc_lo, v16, s12
	v_subrev_co_ci_u32_e32 v20, vcc_lo, 0, v17, vcc_lo
	s_delay_alu instid0(VALU_DEP_2) | instskip(NEXT) | instid1(VALU_DEP_1)
	v_mad_u64_u32 v[16:17], null, 0xb0, v18, v[7:8]
	v_mad_u64_u32 v[18:19], null, 0xb0, v20, v[17:18]
	s_delay_alu instid0(VALU_DEP_1)
	v_mov_b32_e32 v17, v18
	global_load_b64 v[18:19], v[9:10], off
	global_load_b64 v[16:17], v[16:17], off
	v_add_co_u32 v9, vcc_lo, 0xf20, v9
	v_add_co_ci_u32_e32 v10, vcc_lo, 0, v10, vcc_lo
	s_waitcnt vmcnt(0)
	v_fma_f64 v[5:6], v[18:19], v[16:17], v[5:6]
	s_branch .LBB149_9
.LBB149_12:
	s_set_inst_prefetch_distance 0x2
	s_and_b32 vcc_lo, exec_lo, s3
	ds_store_b64 v13, v[5:6]
	s_waitcnt lgkmcnt(0)
	s_barrier
	buffer_gl0_inv
	s_cbranch_vccz .LBB149_24
; %bb.13:
	s_mov_b32 s0, exec_lo
	v_cmpx_gt_u16_e32 6, v14
	s_cbranch_execz .LBB149_15
; %bb.14:
	ds_load_2addr_b64 v[7:10], v13 offset1:16
	s_waitcnt lgkmcnt(0)
	v_add_f64 v[7:8], v[9:10], v[7:8]
	ds_store_b64 v13, v[7:8]
.LBB149_15:
	s_or_b32 exec_lo, exec_lo, s0
	s_delay_alu instid0(SALU_CYCLE_1)
	s_mov_b32 s0, exec_lo
	s_waitcnt lgkmcnt(0)
	s_barrier
	buffer_gl0_inv
	v_cmpx_gt_u16_e32 8, v14
	s_cbranch_execz .LBB149_17
; %bb.16:
	ds_load_2addr_b64 v[7:10], v13 offset1:8
	s_waitcnt lgkmcnt(0)
	v_add_f64 v[7:8], v[9:10], v[7:8]
	ds_store_b64 v13, v[7:8]
.LBB149_17:
	s_or_b32 exec_lo, exec_lo, s0
	s_delay_alu instid0(SALU_CYCLE_1)
	s_mov_b32 s0, exec_lo
	s_waitcnt lgkmcnt(0)
	s_barrier
	buffer_gl0_inv
	;; [unrolled: 14-line block ×3, first 2 shown]
	v_cmpx_gt_u16_e32 2, v14
	s_cbranch_execz .LBB149_21
; %bb.20:
	ds_load_2addr_b64 v[7:10], v13 offset1:2
	s_waitcnt lgkmcnt(0)
	v_add_f64 v[7:8], v[9:10], v[7:8]
	ds_store_b64 v13, v[7:8]
.LBB149_21:
	s_or_b32 exec_lo, exec_lo, s0
	s_mov_b32 s1, 0
	s_mov_b32 s0, 0
	s_mov_b32 s2, exec_lo
	s_waitcnt lgkmcnt(0)
	s_barrier
	buffer_gl0_inv
                                        ; implicit-def: $vgpr7
                                        ; implicit-def: $vgpr8
	v_cmpx_gt_u32_e32 22, v0
	s_xor_b32 s2, exec_lo, s2
; %bb.22:
	v_mul_u32_u24_e32 v7, 22, v0
	v_mad_u32_u24 v8, 0xa8, v0, v13
	s_mov_b32 s0, exec_lo
	s_delay_alu instid0(VALU_DEP_2)
	v_or_b32_e32 v7, 1, v7
; %bb.23:
	s_or_b32 exec_lo, exec_lo, s2
	s_delay_alu instid0(SALU_CYCLE_1)
	s_and_b32 vcc_lo, exec_lo, s1
	s_cbranch_vccnz .LBB149_25
	s_branch .LBB149_36
.LBB149_24:
	s_mov_b32 s0, 0
                                        ; implicit-def: $vgpr7
                                        ; implicit-def: $vgpr8
	s_cbranch_execz .LBB149_36
.LBB149_25:
	s_mov_b32 s1, exec_lo
	v_cmpx_gt_u32_e32 0x84, v0
	s_cbranch_execz .LBB149_27
; %bb.26:
	ds_load_b64 v[7:8], v13 offset:2816
	ds_load_b64 v[9:10], v13
	s_waitcnt lgkmcnt(0)
	v_add_f64 v[7:8], v[7:8], v[9:10]
	ds_store_b64 v13, v[7:8]
.LBB149_27:
	s_or_b32 exec_lo, exec_lo, s1
	s_delay_alu instid0(SALU_CYCLE_1)
	s_mov_b32 s1, exec_lo
	s_waitcnt lgkmcnt(0)
	s_barrier
	buffer_gl0_inv
	v_cmpx_gt_u32_e32 0xb0, v0
	s_cbranch_execz .LBB149_29
; %bb.28:
	ds_load_2addr_b64 v[7:10], v13 offset1:176
	s_waitcnt lgkmcnt(0)
	v_add_f64 v[7:8], v[9:10], v[7:8]
	ds_store_b64 v13, v[7:8]
.LBB149_29:
	s_or_b32 exec_lo, exec_lo, s1
	s_delay_alu instid0(SALU_CYCLE_1)
	s_mov_b32 s1, exec_lo
	s_waitcnt lgkmcnt(0)
	s_barrier
	buffer_gl0_inv
	v_cmpx_gt_u32_e32 0x58, v0
	s_cbranch_execz .LBB149_31
; %bb.30:
	ds_load_2addr_b64 v[7:10], v13 offset1:88
	s_waitcnt lgkmcnt(0)
	v_add_f64 v[7:8], v[9:10], v[7:8]
	ds_store_b64 v13, v[7:8]
.LBB149_31:
	;; [unrolled: 14-line block ×3, first 2 shown]
	s_or_b32 exec_lo, exec_lo, s1
	s_delay_alu instid0(SALU_CYCLE_1)
	s_mov_b32 s1, exec_lo
	s_waitcnt lgkmcnt(0)
	buffer_gl0_inv
                                        ; implicit-def: $vgpr7
	v_cmpx_gt_u32_e32 22, v0
; %bb.34:
	v_add_nc_u32_e32 v7, 22, v0
	s_or_b32 s0, s0, exec_lo
                                        ; implicit-def: $vgpr5_vgpr6
; %bb.35:
	s_or_b32 exec_lo, exec_lo, s1
	v_mov_b32_e32 v8, v13
.LBB149_36:
	s_and_saveexec_b32 s1, s0
	s_cbranch_execnz .LBB149_39
; %bb.37:
	s_or_b32 exec_lo, exec_lo, s1
	v_cmp_gt_u32_e32 vcc_lo, 22, v0
	s_and_b32 exec_lo, exec_lo, vcc_lo
	s_cbranch_execnz .LBB149_40
.LBB149_38:
	s_nop 0
	s_sendmsg sendmsg(MSG_DEALLOC_VGPRS)
	s_endpgm
.LBB149_39:
	v_lshlrev_b32_e32 v7, 3, v7
	ds_load_b64 v[5:6], v8
	ds_load_b64 v[7:8], v7
	s_waitcnt lgkmcnt(0)
	v_add_f64 v[5:6], v[5:6], v[7:8]
	s_or_b32 exec_lo, exec_lo, s1
	v_cmp_gt_u32_e32 vcc_lo, 22, v0
	s_and_b32 exec_lo, exec_lo, vcc_lo
	s_cbranch_execz .LBB149_38
.LBB149_40:
	s_delay_alu instid0(VALU_DEP_2)
	v_mul_f64 v[3:4], v[3:4], v[5:6]
	s_mul_i32 s0, s9, 0xb0
	s_mul_hi_u32 s1, s8, 0xb0
	s_mul_i32 s2, s8, 0xb0
	s_mov_b32 s3, exec_lo
	v_cmpx_eq_f64_e32 0, v[1:2]
	s_xor_b32 s3, exec_lo, s3
	s_cbranch_execz .LBB149_42
; %bb.41:
	v_lshlrev_b32_e32 v0, 3, v0
	s_add_i32 s5, s1, s0
	s_add_u32 s4, s10, s2
	s_addc_u32 s5, s11, s5
                                        ; implicit-def: $vgpr1_vgpr2
	global_store_b64 v0, v[3:4], s[4:5]
                                        ; implicit-def: $vgpr0
                                        ; implicit-def: $vgpr3_vgpr4
.LBB149_42:
	s_and_not1_saveexec_b32 s3, s3
	s_cbranch_execz .LBB149_38
; %bb.43:
	v_lshlrev_b32_e32 v7, 3, v0
	s_add_i32 s1, s1, s0
	s_add_u32 s0, s10, s2
	s_addc_u32 s1, s11, s1
	global_load_b64 v[5:6], v7, s[0:1]
	s_waitcnt vmcnt(0)
	v_fma_f64 v[0:1], v[1:2], v[5:6], v[3:4]
	global_store_b64 v7, v[0:1], s[0:1]
	s_nop 0
	s_sendmsg sendmsg(MSG_DEALLOC_VGPRS)
	s_endpgm
	.section	.rodata,"a",@progbits
	.p2align	6, 0x0
	.amdhsa_kernel _ZN9rocsparseL20bsrxmvn_17_32_kernelILj22EdlldddEEvT2_20rocsparse_direction_NS_24const_host_device_scalarIT0_EES1_PKS1_PKT1_SA_S7_PKT3_PKT4_S5_PT5_21rocsparse_index_base_b
		.amdhsa_group_segment_fixed_size 3872
		.amdhsa_private_segment_fixed_size 0
		.amdhsa_kernarg_size 104
		.amdhsa_user_sgpr_count 15
		.amdhsa_user_sgpr_dispatch_ptr 0
		.amdhsa_user_sgpr_queue_ptr 0
		.amdhsa_user_sgpr_kernarg_segment_ptr 1
		.amdhsa_user_sgpr_dispatch_id 0
		.amdhsa_user_sgpr_private_segment_size 0
		.amdhsa_wavefront_size32 1
		.amdhsa_uses_dynamic_stack 0
		.amdhsa_enable_private_segment 0
		.amdhsa_system_sgpr_workgroup_id_x 1
		.amdhsa_system_sgpr_workgroup_id_y 0
		.amdhsa_system_sgpr_workgroup_id_z 0
		.amdhsa_system_sgpr_workgroup_info 0
		.amdhsa_system_vgpr_workitem_id 0
		.amdhsa_next_free_vgpr 21
		.amdhsa_next_free_sgpr 22
		.amdhsa_reserve_vcc 1
		.amdhsa_float_round_mode_32 0
		.amdhsa_float_round_mode_16_64 0
		.amdhsa_float_denorm_mode_32 3
		.amdhsa_float_denorm_mode_16_64 3
		.amdhsa_dx10_clamp 1
		.amdhsa_ieee_mode 1
		.amdhsa_fp16_overflow 0
		.amdhsa_workgroup_processor_mode 1
		.amdhsa_memory_ordered 1
		.amdhsa_forward_progress 0
		.amdhsa_shared_vgpr_count 0
		.amdhsa_exception_fp_ieee_invalid_op 0
		.amdhsa_exception_fp_denorm_src 0
		.amdhsa_exception_fp_ieee_div_zero 0
		.amdhsa_exception_fp_ieee_overflow 0
		.amdhsa_exception_fp_ieee_underflow 0
		.amdhsa_exception_fp_ieee_inexact 0
		.amdhsa_exception_int_div_zero 0
	.end_amdhsa_kernel
	.section	.text._ZN9rocsparseL20bsrxmvn_17_32_kernelILj22EdlldddEEvT2_20rocsparse_direction_NS_24const_host_device_scalarIT0_EES1_PKS1_PKT1_SA_S7_PKT3_PKT4_S5_PT5_21rocsparse_index_base_b,"axG",@progbits,_ZN9rocsparseL20bsrxmvn_17_32_kernelILj22EdlldddEEvT2_20rocsparse_direction_NS_24const_host_device_scalarIT0_EES1_PKS1_PKT1_SA_S7_PKT3_PKT4_S5_PT5_21rocsparse_index_base_b,comdat
.Lfunc_end149:
	.size	_ZN9rocsparseL20bsrxmvn_17_32_kernelILj22EdlldddEEvT2_20rocsparse_direction_NS_24const_host_device_scalarIT0_EES1_PKS1_PKT1_SA_S7_PKT3_PKT4_S5_PT5_21rocsparse_index_base_b, .Lfunc_end149-_ZN9rocsparseL20bsrxmvn_17_32_kernelILj22EdlldddEEvT2_20rocsparse_direction_NS_24const_host_device_scalarIT0_EES1_PKS1_PKT1_SA_S7_PKT3_PKT4_S5_PT5_21rocsparse_index_base_b
                                        ; -- End function
	.section	.AMDGPU.csdata,"",@progbits
; Kernel info:
; codeLenInByte = 1732
; NumSgprs: 24
; NumVgprs: 21
; ScratchSize: 0
; MemoryBound: 1
; FloatMode: 240
; IeeeMode: 1
; LDSByteSize: 3872 bytes/workgroup (compile time only)
; SGPRBlocks: 2
; VGPRBlocks: 2
; NumSGPRsForWavesPerEU: 24
; NumVGPRsForWavesPerEU: 21
; Occupancy: 16
; WaveLimiterHint : 1
; COMPUTE_PGM_RSRC2:SCRATCH_EN: 0
; COMPUTE_PGM_RSRC2:USER_SGPR: 15
; COMPUTE_PGM_RSRC2:TRAP_HANDLER: 0
; COMPUTE_PGM_RSRC2:TGID_X_EN: 1
; COMPUTE_PGM_RSRC2:TGID_Y_EN: 0
; COMPUTE_PGM_RSRC2:TGID_Z_EN: 0
; COMPUTE_PGM_RSRC2:TIDIG_COMP_CNT: 0
	.section	.text._ZN9rocsparseL20bsrxmvn_17_32_kernelILj23EdlldddEEvT2_20rocsparse_direction_NS_24const_host_device_scalarIT0_EES1_PKS1_PKT1_SA_S7_PKT3_PKT4_S5_PT5_21rocsparse_index_base_b,"axG",@progbits,_ZN9rocsparseL20bsrxmvn_17_32_kernelILj23EdlldddEEvT2_20rocsparse_direction_NS_24const_host_device_scalarIT0_EES1_PKS1_PKT1_SA_S7_PKT3_PKT4_S5_PT5_21rocsparse_index_base_b,comdat
	.globl	_ZN9rocsparseL20bsrxmvn_17_32_kernelILj23EdlldddEEvT2_20rocsparse_direction_NS_24const_host_device_scalarIT0_EES1_PKS1_PKT1_SA_S7_PKT3_PKT4_S5_PT5_21rocsparse_index_base_b ; -- Begin function _ZN9rocsparseL20bsrxmvn_17_32_kernelILj23EdlldddEEvT2_20rocsparse_direction_NS_24const_host_device_scalarIT0_EES1_PKS1_PKT1_SA_S7_PKT3_PKT4_S5_PT5_21rocsparse_index_base_b
	.p2align	8
	.type	_ZN9rocsparseL20bsrxmvn_17_32_kernelILj23EdlldddEEvT2_20rocsparse_direction_NS_24const_host_device_scalarIT0_EES1_PKS1_PKT1_SA_S7_PKT3_PKT4_S5_PT5_21rocsparse_index_base_b,@function
_ZN9rocsparseL20bsrxmvn_17_32_kernelILj23EdlldddEEvT2_20rocsparse_direction_NS_24const_host_device_scalarIT0_EES1_PKS1_PKT1_SA_S7_PKT3_PKT4_S5_PT5_21rocsparse_index_base_b: ; @_ZN9rocsparseL20bsrxmvn_17_32_kernelILj23EdlldddEEvT2_20rocsparse_direction_NS_24const_host_device_scalarIT0_EES1_PKS1_PKT1_SA_S7_PKT3_PKT4_S5_PT5_21rocsparse_index_base_b
; %bb.0:
	s_clause 0x2
	s_load_b64 s[12:13], s[0:1], 0x60
	s_load_b64 s[4:5], s[0:1], 0x10
	;; [unrolled: 1-line block ×3, first 2 shown]
	s_mov_b32 s8, s15
	s_waitcnt lgkmcnt(0)
	s_bitcmp1_b32 s13, 0
	v_dual_mov_b32 v3, s4 :: v_dual_mov_b32 v4, s5
	s_cselect_b32 s6, -1, 0
	s_delay_alu instid0(SALU_CYCLE_1)
	s_and_b32 vcc_lo, exec_lo, s6
	s_xor_b32 s6, s6, -1
	s_cbranch_vccnz .LBB150_2
; %bb.1:
	v_dual_mov_b32 v1, s4 :: v_dual_mov_b32 v2, s5
	flat_load_b64 v[3:4], v[1:2]
.LBB150_2:
	v_dual_mov_b32 v1, s2 :: v_dual_mov_b32 v2, s3
	s_and_not1_b32 vcc_lo, exec_lo, s6
	s_cbranch_vccnz .LBB150_4
; %bb.3:
	v_dual_mov_b32 v1, s2 :: v_dual_mov_b32 v2, s3
	flat_load_b64 v[1:2], v[1:2]
.LBB150_4:
	s_waitcnt vmcnt(0) lgkmcnt(0)
	v_cmp_neq_f64_e32 vcc_lo, 0, v[3:4]
	v_cmp_neq_f64_e64 s2, 1.0, v[1:2]
	s_delay_alu instid0(VALU_DEP_1) | instskip(NEXT) | instid1(SALU_CYCLE_1)
	s_or_b32 s2, vcc_lo, s2
	s_and_saveexec_b32 s3, s2
	s_cbranch_execz .LBB150_38
; %bb.5:
	s_clause 0x1
	s_load_b128 s[4:7], s[0:1], 0x20
	s_load_b64 s[10:11], s[0:1], 0x30
	s_mov_b32 s9, 0
	s_waitcnt lgkmcnt(0)
	s_cmp_eq_u64 s[4:5], 0
	s_cbranch_scc1 .LBB150_7
; %bb.6:
	s_lshl_b64 s[2:3], s[8:9], 3
	s_delay_alu instid0(SALU_CYCLE_1)
	s_add_u32 s2, s4, s2
	s_addc_u32 s3, s5, s3
	s_load_b64 s[2:3], s[2:3], 0x0
	s_waitcnt lgkmcnt(0)
	s_sub_u32 s8, s2, s12
	s_subb_u32 s9, s3, 0
.LBB150_7:
	s_load_b32 s3, s[0:1], 0x8
	v_mul_u32_u24_e32 v5, 0xb22, v0
	v_lshlrev_b32_e32 v13, 3, v0
	s_delay_alu instid0(VALU_DEP_2) | instskip(SKIP_2) | instid1(VALU_DEP_3)
	v_lshrrev_b32_e32 v7, 16, v5
	v_mov_b32_e32 v5, 0
	v_mov_b32_e32 v6, 0
	v_mul_lo_u16 v8, v7, 23
	s_delay_alu instid0(VALU_DEP_1)
	v_sub_nc_u16 v14, v0, v8
	s_waitcnt lgkmcnt(0)
	s_cmp_eq_u32 s3, 1
	s_cselect_b32 s2, -1, 0
	s_cmp_lg_u32 s3, 1
	s_cselect_b32 s13, -1, 0
	s_lshl_b64 s[4:5], s[8:9], 3
	s_delay_alu instid0(SALU_CYCLE_1)
	s_add_u32 s6, s6, s4
	s_addc_u32 s7, s7, s5
	s_add_u32 s3, s6, 8
	s_addc_u32 s14, s7, 0
	;; [unrolled: 2-line block ×3, first 2 shown]
	s_cmp_eq_u64 s[10:11], 0
	s_load_b64 s[10:11], s[0:1], 0x58
	s_cselect_b32 s5, s14, s5
	s_cselect_b32 s4, s3, s4
	s_load_b64 s[14:15], s[6:7], 0x0
	s_load_b64 s[16:17], s[4:5], 0x0
	s_waitcnt lgkmcnt(0)
	v_cmp_ge_i64_e64 s3, s[14:15], s[16:17]
	s_delay_alu instid0(VALU_DEP_1)
	s_and_b32 vcc_lo, exec_lo, s3
	s_cbranch_vccnz .LBB150_12
; %bb.8:
	v_dual_mov_b32 v6, 0 :: v_dual_and_b32 v5, 0xffff, v7
	v_cmp_gt_u32_e32 vcc_lo, 0x211, v0
	s_clause 0x1
	s_load_b128 s[4:7], s[0:1], 0x38
	s_load_b64 s[18:19], s[0:1], 0x48
	s_sub_u32 s0, s16, s12
	v_subrev_nc_u32_e32 v7, 23, v5
	v_and_b32_e32 v8, 0xffff, v14
	s_subb_u32 s1, s17, 0
	s_delay_alu instid0(VALU_DEP_2) | instskip(SKIP_1) | instid1(VALU_DEP_2)
	v_cndmask_b32_e32 v5, v7, v5, vcc_lo
	v_cmp_lt_u32_e32 vcc_lo, 0x210, v0
	v_cndmask_b32_e64 v5, v8, v5, s2
	v_cndmask_b32_e64 v15, 0, 1, vcc_lo
	s_sub_u32 s2, s14, s12
	s_subb_u32 s3, s15, 0
	s_mul_hi_u32 s16, s2, 0x1088
	v_lshlrev_b64 v[5:6], 3, v[5:6]
	v_add_co_u32 v9, s14, s14, v15
	s_delay_alu instid0(VALU_DEP_1) | instskip(SKIP_2) | instid1(VALU_DEP_3)
	v_add_co_ci_u32_e64 v10, null, s15, 0, s14
	s_mul_i32 s17, s3, 0x1088
	s_waitcnt lgkmcnt(0)
	v_add_co_u32 v7, vcc_lo, s18, v5
	v_add_co_ci_u32_e32 v8, vcc_lo, s19, v6, vcc_lo
	v_sub_co_u32 v5, vcc_lo, v9, s12
	v_subrev_co_ci_u32_e32 v6, vcc_lo, 0, v10, vcc_lo
	v_lshlrev_b32_e32 v9, 3, v0
	s_mul_i32 s14, s2, 0x1088
	s_add_i32 s16, s16, s17
	s_delay_alu instid0(VALU_DEP_2)
	v_lshlrev_b64 v[11:12], 3, v[5:6]
	s_add_u32 s6, s6, s14
	v_mov_b32_e32 v5, 0
	v_mov_b32_e32 v6, 0
	s_addc_u32 s7, s7, s16
	v_add_co_u32 v9, s6, s6, v9
	v_add_co_u32 v11, vcc_lo, s4, v11
	v_add_co_ci_u32_e64 v10, null, s7, 0, s6
	v_add_co_ci_u32_e32 v12, vcc_lo, s5, v12, vcc_lo
	s_set_inst_prefetch_distance 0x1
	s_branch .LBB150_10
	.p2align	6
.LBB150_9:                              ;   in Loop: Header=BB150_10 Depth=1
	s_or_b32 exec_lo, exec_lo, s4
	s_add_u32 s2, s2, 1
	s_addc_u32 s3, s3, 0
	v_add_co_u32 v11, vcc_lo, v11, 8
	v_cmp_lt_i64_e64 s4, s[2:3], s[0:1]
	v_add_co_ci_u32_e32 v12, vcc_lo, 0, v12, vcc_lo
	s_delay_alu instid0(VALU_DEP_2)
	s_and_b32 vcc_lo, exec_lo, s4
	s_cbranch_vccz .LBB150_12
.LBB150_10:                             ; =>This Inner Loop Header: Depth=1
	v_add_co_u32 v16, s4, v15, s2
	s_delay_alu instid0(VALU_DEP_1) | instskip(SKIP_1) | instid1(VALU_DEP_1)
	v_add_co_ci_u32_e64 v17, null, 0, s3, s4
	s_mov_b32 s4, exec_lo
	v_cmpx_gt_i64_e64 s[0:1], v[16:17]
	s_cbranch_execz .LBB150_9
; %bb.11:                               ;   in Loop: Header=BB150_10 Depth=1
	global_load_b64 v[16:17], v[11:12], off
	s_waitcnt vmcnt(0)
	v_sub_co_u32 v18, vcc_lo, v16, s12
	v_subrev_co_ci_u32_e32 v20, vcc_lo, 0, v17, vcc_lo
	s_delay_alu instid0(VALU_DEP_2) | instskip(NEXT) | instid1(VALU_DEP_1)
	v_mad_u64_u32 v[16:17], null, 0xb8, v18, v[7:8]
	v_mad_u64_u32 v[18:19], null, 0xb8, v20, v[17:18]
	s_delay_alu instid0(VALU_DEP_1)
	v_mov_b32_e32 v17, v18
	global_load_b64 v[18:19], v[9:10], off
	global_load_b64 v[16:17], v[16:17], off
	v_add_co_u32 v9, vcc_lo, 0x1088, v9
	v_add_co_ci_u32_e32 v10, vcc_lo, 0, v10, vcc_lo
	s_waitcnt vmcnt(0)
	v_fma_f64 v[5:6], v[18:19], v[16:17], v[5:6]
	s_branch .LBB150_9
.LBB150_12:
	s_set_inst_prefetch_distance 0x2
	s_and_b32 vcc_lo, exec_lo, s13
	ds_store_b64 v13, v[5:6]
	s_waitcnt lgkmcnt(0)
	s_barrier
	buffer_gl0_inv
	s_cbranch_vccz .LBB150_24
; %bb.13:
	s_mov_b32 s0, exec_lo
	v_cmpx_gt_u16_e32 7, v14
	s_cbranch_execz .LBB150_15
; %bb.14:
	ds_load_2addr_b64 v[7:10], v13 offset1:16
	s_waitcnt lgkmcnt(0)
	v_add_f64 v[7:8], v[9:10], v[7:8]
	ds_store_b64 v13, v[7:8]
.LBB150_15:
	s_or_b32 exec_lo, exec_lo, s0
	s_delay_alu instid0(SALU_CYCLE_1)
	s_mov_b32 s0, exec_lo
	s_waitcnt lgkmcnt(0)
	s_barrier
	buffer_gl0_inv
	v_cmpx_gt_u16_e32 8, v14
	s_cbranch_execz .LBB150_17
; %bb.16:
	ds_load_2addr_b64 v[7:10], v13 offset1:8
	s_waitcnt lgkmcnt(0)
	v_add_f64 v[7:8], v[9:10], v[7:8]
	ds_store_b64 v13, v[7:8]
.LBB150_17:
	s_or_b32 exec_lo, exec_lo, s0
	s_delay_alu instid0(SALU_CYCLE_1)
	s_mov_b32 s0, exec_lo
	s_waitcnt lgkmcnt(0)
	s_barrier
	buffer_gl0_inv
	;; [unrolled: 14-line block ×3, first 2 shown]
	v_cmpx_gt_u16_e32 2, v14
	s_cbranch_execz .LBB150_21
; %bb.20:
	ds_load_2addr_b64 v[7:10], v13 offset1:2
	s_waitcnt lgkmcnt(0)
	v_add_f64 v[7:8], v[9:10], v[7:8]
	ds_store_b64 v13, v[7:8]
.LBB150_21:
	s_or_b32 exec_lo, exec_lo, s0
	s_mov_b32 s1, 0
	s_mov_b32 s0, 0
	s_mov_b32 s2, exec_lo
	s_waitcnt lgkmcnt(0)
	s_barrier
	buffer_gl0_inv
                                        ; implicit-def: $vgpr7
                                        ; implicit-def: $vgpr8
	v_cmpx_gt_u32_e32 23, v0
	s_xor_b32 s2, exec_lo, s2
; %bb.22:
	v_mad_u32_u24 v7, v0, 23, 1
	v_mad_u32_u24 v8, 0xb0, v0, v13
	s_mov_b32 s0, exec_lo
; %bb.23:
	s_or_b32 exec_lo, exec_lo, s2
	s_delay_alu instid0(SALU_CYCLE_1)
	s_and_b32 vcc_lo, exec_lo, s1
	s_cbranch_vccnz .LBB150_25
	s_branch .LBB150_36
.LBB150_24:
	s_mov_b32 s0, 0
                                        ; implicit-def: $vgpr7
                                        ; implicit-def: $vgpr8
	s_cbranch_execz .LBB150_36
.LBB150_25:
	s_mov_b32 s1, exec_lo
	v_cmpx_gt_u32_e32 0xa1, v0
	s_cbranch_execz .LBB150_27
; %bb.26:
	ds_load_b64 v[7:8], v13 offset:2944
	ds_load_b64 v[9:10], v13
	s_waitcnt lgkmcnt(0)
	v_add_f64 v[7:8], v[7:8], v[9:10]
	ds_store_b64 v13, v[7:8]
.LBB150_27:
	s_or_b32 exec_lo, exec_lo, s1
	s_delay_alu instid0(SALU_CYCLE_1)
	s_mov_b32 s1, exec_lo
	s_waitcnt lgkmcnt(0)
	s_barrier
	buffer_gl0_inv
	v_cmpx_gt_u32_e32 0xb8, v0
	s_cbranch_execz .LBB150_29
; %bb.28:
	ds_load_2addr_b64 v[7:10], v13 offset1:184
	s_waitcnt lgkmcnt(0)
	v_add_f64 v[7:8], v[9:10], v[7:8]
	ds_store_b64 v13, v[7:8]
.LBB150_29:
	s_or_b32 exec_lo, exec_lo, s1
	s_delay_alu instid0(SALU_CYCLE_1)
	s_mov_b32 s1, exec_lo
	s_waitcnt lgkmcnt(0)
	s_barrier
	buffer_gl0_inv
	v_cmpx_gt_u32_e32 0x5c, v0
	s_cbranch_execz .LBB150_31
; %bb.30:
	ds_load_2addr_b64 v[7:10], v13 offset1:92
	s_waitcnt lgkmcnt(0)
	v_add_f64 v[7:8], v[9:10], v[7:8]
	ds_store_b64 v13, v[7:8]
.LBB150_31:
	;; [unrolled: 14-line block ×3, first 2 shown]
	s_or_b32 exec_lo, exec_lo, s1
	s_delay_alu instid0(SALU_CYCLE_1)
	s_mov_b32 s1, exec_lo
	s_waitcnt lgkmcnt(0)
	buffer_gl0_inv
                                        ; implicit-def: $vgpr7
	v_cmpx_gt_u32_e32 23, v0
; %bb.34:
	v_add_nc_u32_e32 v7, 23, v0
	s_or_b32 s0, s0, exec_lo
                                        ; implicit-def: $vgpr5_vgpr6
; %bb.35:
	s_or_b32 exec_lo, exec_lo, s1
	v_mov_b32_e32 v8, v13
.LBB150_36:
	s_and_saveexec_b32 s1, s0
	s_cbranch_execnz .LBB150_39
; %bb.37:
	s_or_b32 exec_lo, exec_lo, s1
	v_cmp_gt_u32_e32 vcc_lo, 23, v0
	s_and_b32 exec_lo, exec_lo, vcc_lo
	s_cbranch_execnz .LBB150_40
.LBB150_38:
	s_nop 0
	s_sendmsg sendmsg(MSG_DEALLOC_VGPRS)
	s_endpgm
.LBB150_39:
	v_lshlrev_b32_e32 v7, 3, v7
	ds_load_b64 v[5:6], v8
	ds_load_b64 v[7:8], v7
	s_waitcnt lgkmcnt(0)
	v_add_f64 v[5:6], v[5:6], v[7:8]
	s_or_b32 exec_lo, exec_lo, s1
	v_cmp_gt_u32_e32 vcc_lo, 23, v0
	s_and_b32 exec_lo, exec_lo, vcc_lo
	s_cbranch_execz .LBB150_38
.LBB150_40:
	s_delay_alu instid0(VALU_DEP_2)
	v_mul_f64 v[3:4], v[3:4], v[5:6]
	s_mul_i32 s0, s9, 0xb8
	s_mul_hi_u32 s1, s8, 0xb8
	s_mul_i32 s2, s8, 0xb8
	s_mov_b32 s3, exec_lo
	v_cmpx_eq_f64_e32 0, v[1:2]
	s_xor_b32 s3, exec_lo, s3
	s_cbranch_execz .LBB150_42
; %bb.41:
	v_lshlrev_b32_e32 v0, 3, v0
	s_add_i32 s5, s1, s0
	s_add_u32 s4, s10, s2
	s_addc_u32 s5, s11, s5
                                        ; implicit-def: $vgpr1_vgpr2
	global_store_b64 v0, v[3:4], s[4:5]
                                        ; implicit-def: $vgpr0
                                        ; implicit-def: $vgpr3_vgpr4
.LBB150_42:
	s_and_not1_saveexec_b32 s3, s3
	s_cbranch_execz .LBB150_38
; %bb.43:
	v_lshlrev_b32_e32 v7, 3, v0
	s_add_i32 s1, s1, s0
	s_add_u32 s0, s10, s2
	s_addc_u32 s1, s11, s1
	global_load_b64 v[5:6], v7, s[0:1]
	s_waitcnt vmcnt(0)
	v_fma_f64 v[0:1], v[1:2], v[5:6], v[3:4]
	global_store_b64 v7, v[0:1], s[0:1]
	s_nop 0
	s_sendmsg sendmsg(MSG_DEALLOC_VGPRS)
	s_endpgm
	.section	.rodata,"a",@progbits
	.p2align	6, 0x0
	.amdhsa_kernel _ZN9rocsparseL20bsrxmvn_17_32_kernelILj23EdlldddEEvT2_20rocsparse_direction_NS_24const_host_device_scalarIT0_EES1_PKS1_PKT1_SA_S7_PKT3_PKT4_S5_PT5_21rocsparse_index_base_b
		.amdhsa_group_segment_fixed_size 4232
		.amdhsa_private_segment_fixed_size 0
		.amdhsa_kernarg_size 104
		.amdhsa_user_sgpr_count 15
		.amdhsa_user_sgpr_dispatch_ptr 0
		.amdhsa_user_sgpr_queue_ptr 0
		.amdhsa_user_sgpr_kernarg_segment_ptr 1
		.amdhsa_user_sgpr_dispatch_id 0
		.amdhsa_user_sgpr_private_segment_size 0
		.amdhsa_wavefront_size32 1
		.amdhsa_uses_dynamic_stack 0
		.amdhsa_enable_private_segment 0
		.amdhsa_system_sgpr_workgroup_id_x 1
		.amdhsa_system_sgpr_workgroup_id_y 0
		.amdhsa_system_sgpr_workgroup_id_z 0
		.amdhsa_system_sgpr_workgroup_info 0
		.amdhsa_system_vgpr_workitem_id 0
		.amdhsa_next_free_vgpr 21
		.amdhsa_next_free_sgpr 20
		.amdhsa_reserve_vcc 1
		.amdhsa_float_round_mode_32 0
		.amdhsa_float_round_mode_16_64 0
		.amdhsa_float_denorm_mode_32 3
		.amdhsa_float_denorm_mode_16_64 3
		.amdhsa_dx10_clamp 1
		.amdhsa_ieee_mode 1
		.amdhsa_fp16_overflow 0
		.amdhsa_workgroup_processor_mode 1
		.amdhsa_memory_ordered 1
		.amdhsa_forward_progress 0
		.amdhsa_shared_vgpr_count 0
		.amdhsa_exception_fp_ieee_invalid_op 0
		.amdhsa_exception_fp_denorm_src 0
		.amdhsa_exception_fp_ieee_div_zero 0
		.amdhsa_exception_fp_ieee_overflow 0
		.amdhsa_exception_fp_ieee_underflow 0
		.amdhsa_exception_fp_ieee_inexact 0
		.amdhsa_exception_int_div_zero 0
	.end_amdhsa_kernel
	.section	.text._ZN9rocsparseL20bsrxmvn_17_32_kernelILj23EdlldddEEvT2_20rocsparse_direction_NS_24const_host_device_scalarIT0_EES1_PKS1_PKT1_SA_S7_PKT3_PKT4_S5_PT5_21rocsparse_index_base_b,"axG",@progbits,_ZN9rocsparseL20bsrxmvn_17_32_kernelILj23EdlldddEEvT2_20rocsparse_direction_NS_24const_host_device_scalarIT0_EES1_PKS1_PKT1_SA_S7_PKT3_PKT4_S5_PT5_21rocsparse_index_base_b,comdat
.Lfunc_end150:
	.size	_ZN9rocsparseL20bsrxmvn_17_32_kernelILj23EdlldddEEvT2_20rocsparse_direction_NS_24const_host_device_scalarIT0_EES1_PKS1_PKT1_SA_S7_PKT3_PKT4_S5_PT5_21rocsparse_index_base_b, .Lfunc_end150-_ZN9rocsparseL20bsrxmvn_17_32_kernelILj23EdlldddEEvT2_20rocsparse_direction_NS_24const_host_device_scalarIT0_EES1_PKS1_PKT1_SA_S7_PKT3_PKT4_S5_PT5_21rocsparse_index_base_b
                                        ; -- End function
	.section	.AMDGPU.csdata,"",@progbits
; Kernel info:
; codeLenInByte = 1708
; NumSgprs: 22
; NumVgprs: 21
; ScratchSize: 0
; MemoryBound: 1
; FloatMode: 240
; IeeeMode: 1
; LDSByteSize: 4232 bytes/workgroup (compile time only)
; SGPRBlocks: 2
; VGPRBlocks: 2
; NumSGPRsForWavesPerEU: 22
; NumVGPRsForWavesPerEU: 21
; Occupancy: 13
; WaveLimiterHint : 1
; COMPUTE_PGM_RSRC2:SCRATCH_EN: 0
; COMPUTE_PGM_RSRC2:USER_SGPR: 15
; COMPUTE_PGM_RSRC2:TRAP_HANDLER: 0
; COMPUTE_PGM_RSRC2:TGID_X_EN: 1
; COMPUTE_PGM_RSRC2:TGID_Y_EN: 0
; COMPUTE_PGM_RSRC2:TGID_Z_EN: 0
; COMPUTE_PGM_RSRC2:TIDIG_COMP_CNT: 0
	.section	.text._ZN9rocsparseL20bsrxmvn_17_32_kernelILj24EdlldddEEvT2_20rocsparse_direction_NS_24const_host_device_scalarIT0_EES1_PKS1_PKT1_SA_S7_PKT3_PKT4_S5_PT5_21rocsparse_index_base_b,"axG",@progbits,_ZN9rocsparseL20bsrxmvn_17_32_kernelILj24EdlldddEEvT2_20rocsparse_direction_NS_24const_host_device_scalarIT0_EES1_PKS1_PKT1_SA_S7_PKT3_PKT4_S5_PT5_21rocsparse_index_base_b,comdat
	.globl	_ZN9rocsparseL20bsrxmvn_17_32_kernelILj24EdlldddEEvT2_20rocsparse_direction_NS_24const_host_device_scalarIT0_EES1_PKS1_PKT1_SA_S7_PKT3_PKT4_S5_PT5_21rocsparse_index_base_b ; -- Begin function _ZN9rocsparseL20bsrxmvn_17_32_kernelILj24EdlldddEEvT2_20rocsparse_direction_NS_24const_host_device_scalarIT0_EES1_PKS1_PKT1_SA_S7_PKT3_PKT4_S5_PT5_21rocsparse_index_base_b
	.p2align	8
	.type	_ZN9rocsparseL20bsrxmvn_17_32_kernelILj24EdlldddEEvT2_20rocsparse_direction_NS_24const_host_device_scalarIT0_EES1_PKS1_PKT1_SA_S7_PKT3_PKT4_S5_PT5_21rocsparse_index_base_b,@function
_ZN9rocsparseL20bsrxmvn_17_32_kernelILj24EdlldddEEvT2_20rocsparse_direction_NS_24const_host_device_scalarIT0_EES1_PKS1_PKT1_SA_S7_PKT3_PKT4_S5_PT5_21rocsparse_index_base_b: ; @_ZN9rocsparseL20bsrxmvn_17_32_kernelILj24EdlldddEEvT2_20rocsparse_direction_NS_24const_host_device_scalarIT0_EES1_PKS1_PKT1_SA_S7_PKT3_PKT4_S5_PT5_21rocsparse_index_base_b
; %bb.0:
	s_clause 0x2
	s_load_b64 s[12:13], s[0:1], 0x60
	s_load_b64 s[4:5], s[0:1], 0x10
	;; [unrolled: 1-line block ×3, first 2 shown]
	s_mov_b32 s8, s15
	s_waitcnt lgkmcnt(0)
	s_bitcmp1_b32 s13, 0
	v_dual_mov_b32 v3, s4 :: v_dual_mov_b32 v4, s5
	s_cselect_b32 s6, -1, 0
	s_delay_alu instid0(SALU_CYCLE_1)
	s_and_b32 vcc_lo, exec_lo, s6
	s_xor_b32 s6, s6, -1
	s_cbranch_vccnz .LBB151_2
; %bb.1:
	v_dual_mov_b32 v1, s4 :: v_dual_mov_b32 v2, s5
	flat_load_b64 v[3:4], v[1:2]
.LBB151_2:
	v_dual_mov_b32 v1, s2 :: v_dual_mov_b32 v2, s3
	s_and_not1_b32 vcc_lo, exec_lo, s6
	s_cbranch_vccnz .LBB151_4
; %bb.3:
	v_dual_mov_b32 v1, s2 :: v_dual_mov_b32 v2, s3
	flat_load_b64 v[1:2], v[1:2]
.LBB151_4:
	s_waitcnt vmcnt(0) lgkmcnt(0)
	v_cmp_neq_f64_e32 vcc_lo, 0, v[3:4]
	v_cmp_neq_f64_e64 s2, 1.0, v[1:2]
	s_delay_alu instid0(VALU_DEP_1) | instskip(NEXT) | instid1(SALU_CYCLE_1)
	s_or_b32 s2, vcc_lo, s2
	s_and_saveexec_b32 s3, s2
	s_cbranch_execz .LBB151_38
; %bb.5:
	s_clause 0x1
	s_load_b128 s[4:7], s[0:1], 0x20
	s_load_b64 s[10:11], s[0:1], 0x30
	s_mov_b32 s9, 0
	s_waitcnt lgkmcnt(0)
	s_cmp_eq_u64 s[4:5], 0
	s_cbranch_scc1 .LBB151_7
; %bb.6:
	s_lshl_b64 s[2:3], s[8:9], 3
	s_delay_alu instid0(SALU_CYCLE_1)
	s_add_u32 s2, s4, s2
	s_addc_u32 s3, s5, s3
	s_load_b64 s[2:3], s[2:3], 0x0
	s_waitcnt lgkmcnt(0)
	s_sub_u32 s8, s2, s12
	s_subb_u32 s9, s3, 0
.LBB151_7:
	s_load_b32 s3, s[0:1], 0x8
	v_mul_u32_u24_e32 v5, 0xaab, v0
	v_lshlrev_b32_e32 v13, 3, v0
	s_delay_alu instid0(VALU_DEP_2) | instskip(SKIP_2) | instid1(VALU_DEP_3)
	v_lshrrev_b32_e32 v7, 16, v5
	v_mov_b32_e32 v5, 0
	v_mov_b32_e32 v6, 0
	v_mul_lo_u16 v8, v7, 24
	s_delay_alu instid0(VALU_DEP_1)
	v_sub_nc_u16 v14, v0, v8
	s_waitcnt lgkmcnt(0)
	s_cmp_eq_u32 s3, 1
	s_cselect_b32 s2, -1, 0
	s_cmp_lg_u32 s3, 1
	s_cselect_b32 s13, -1, 0
	s_lshl_b64 s[4:5], s[8:9], 3
	s_delay_alu instid0(SALU_CYCLE_1)
	s_add_u32 s6, s6, s4
	s_addc_u32 s7, s7, s5
	s_add_u32 s3, s6, 8
	s_addc_u32 s14, s7, 0
	;; [unrolled: 2-line block ×3, first 2 shown]
	s_cmp_eq_u64 s[10:11], 0
	s_load_b64 s[10:11], s[0:1], 0x58
	s_cselect_b32 s5, s14, s5
	s_cselect_b32 s4, s3, s4
	s_load_b64 s[14:15], s[6:7], 0x0
	s_load_b64 s[16:17], s[4:5], 0x0
	s_waitcnt lgkmcnt(0)
	v_cmp_ge_i64_e64 s3, s[14:15], s[16:17]
	s_delay_alu instid0(VALU_DEP_1)
	s_and_b32 vcc_lo, exec_lo, s3
	s_cbranch_vccnz .LBB151_12
; %bb.8:
	v_dual_mov_b32 v6, 0 :: v_dual_and_b32 v5, 0xffff, v7
	v_cmp_gt_u32_e32 vcc_lo, 0x240, v0
	s_clause 0x1
	s_load_b128 s[4:7], s[0:1], 0x38
	s_load_b64 s[18:19], s[0:1], 0x48
	s_sub_u32 s0, s16, s12
	v_subrev_nc_u32_e32 v7, 24, v5
	v_and_b32_e32 v8, 0xffff, v14
	s_subb_u32 s1, s17, 0
	s_delay_alu instid0(VALU_DEP_2) | instskip(SKIP_1) | instid1(VALU_DEP_2)
	v_cndmask_b32_e32 v5, v7, v5, vcc_lo
	v_cmp_lt_u32_e32 vcc_lo, 0x23f, v0
	v_cndmask_b32_e64 v5, v8, v5, s2
	v_cndmask_b32_e64 v15, 0, 1, vcc_lo
	s_sub_u32 s2, s14, s12
	s_subb_u32 s3, s15, 0
	s_mul_hi_u32 s16, s2, 0x1200
	v_lshlrev_b64 v[5:6], 3, v[5:6]
	v_add_co_u32 v9, s14, s14, v15
	s_delay_alu instid0(VALU_DEP_1) | instskip(SKIP_2) | instid1(VALU_DEP_3)
	v_add_co_ci_u32_e64 v10, null, s15, 0, s14
	s_mul_i32 s17, s3, 0x1200
	s_waitcnt lgkmcnt(0)
	v_add_co_u32 v7, vcc_lo, s18, v5
	v_add_co_ci_u32_e32 v8, vcc_lo, s19, v6, vcc_lo
	v_sub_co_u32 v5, vcc_lo, v9, s12
	v_subrev_co_ci_u32_e32 v6, vcc_lo, 0, v10, vcc_lo
	v_lshlrev_b32_e32 v9, 3, v0
	s_mul_i32 s14, s2, 0x1200
	s_add_i32 s16, s16, s17
	s_delay_alu instid0(VALU_DEP_2)
	v_lshlrev_b64 v[11:12], 3, v[5:6]
	s_add_u32 s6, s6, s14
	v_mov_b32_e32 v5, 0
	v_mov_b32_e32 v6, 0
	s_addc_u32 s7, s7, s16
	v_add_co_u32 v9, s6, s6, v9
	v_add_co_u32 v11, vcc_lo, s4, v11
	v_add_co_ci_u32_e64 v10, null, s7, 0, s6
	v_add_co_ci_u32_e32 v12, vcc_lo, s5, v12, vcc_lo
	s_set_inst_prefetch_distance 0x1
	s_branch .LBB151_10
	.p2align	6
.LBB151_9:                              ;   in Loop: Header=BB151_10 Depth=1
	s_or_b32 exec_lo, exec_lo, s4
	s_add_u32 s2, s2, 1
	s_addc_u32 s3, s3, 0
	v_add_co_u32 v11, vcc_lo, v11, 8
	v_cmp_lt_i64_e64 s4, s[2:3], s[0:1]
	v_add_co_ci_u32_e32 v12, vcc_lo, 0, v12, vcc_lo
	s_delay_alu instid0(VALU_DEP_2)
	s_and_b32 vcc_lo, exec_lo, s4
	s_cbranch_vccz .LBB151_12
.LBB151_10:                             ; =>This Inner Loop Header: Depth=1
	v_add_co_u32 v16, s4, v15, s2
	s_delay_alu instid0(VALU_DEP_1) | instskip(SKIP_1) | instid1(VALU_DEP_1)
	v_add_co_ci_u32_e64 v17, null, 0, s3, s4
	s_mov_b32 s4, exec_lo
	v_cmpx_gt_i64_e64 s[0:1], v[16:17]
	s_cbranch_execz .LBB151_9
; %bb.11:                               ;   in Loop: Header=BB151_10 Depth=1
	global_load_b64 v[16:17], v[11:12], off
	s_waitcnt vmcnt(0)
	v_sub_co_u32 v18, vcc_lo, v16, s12
	v_subrev_co_ci_u32_e32 v20, vcc_lo, 0, v17, vcc_lo
	s_delay_alu instid0(VALU_DEP_2) | instskip(NEXT) | instid1(VALU_DEP_1)
	v_mad_u64_u32 v[16:17], null, 0xc0, v18, v[7:8]
	v_mad_u64_u32 v[18:19], null, 0xc0, v20, v[17:18]
	s_delay_alu instid0(VALU_DEP_1)
	v_mov_b32_e32 v17, v18
	global_load_b64 v[18:19], v[9:10], off
	global_load_b64 v[16:17], v[16:17], off
	v_add_co_u32 v9, vcc_lo, 0x1200, v9
	v_add_co_ci_u32_e32 v10, vcc_lo, 0, v10, vcc_lo
	s_waitcnt vmcnt(0)
	v_fma_f64 v[5:6], v[18:19], v[16:17], v[5:6]
	s_branch .LBB151_9
.LBB151_12:
	s_set_inst_prefetch_distance 0x2
	s_and_b32 vcc_lo, exec_lo, s13
	ds_store_b64 v13, v[5:6]
	s_waitcnt lgkmcnt(0)
	s_barrier
	buffer_gl0_inv
	s_cbranch_vccz .LBB151_24
; %bb.13:
	v_cmp_gt_u16_e32 vcc_lo, 8, v14
	s_and_saveexec_b32 s0, vcc_lo
	s_cbranch_execz .LBB151_15
; %bb.14:
	ds_load_2addr_b64 v[7:10], v13 offset1:16
	s_waitcnt lgkmcnt(0)
	v_add_f64 v[7:8], v[9:10], v[7:8]
	ds_store_b64 v13, v[7:8]
.LBB151_15:
	s_or_b32 exec_lo, exec_lo, s0
	s_waitcnt lgkmcnt(0)
	s_barrier
	buffer_gl0_inv
	s_and_saveexec_b32 s0, vcc_lo
	s_cbranch_execz .LBB151_17
; %bb.16:
	ds_load_2addr_b64 v[7:10], v13 offset1:8
	s_waitcnt lgkmcnt(0)
	v_add_f64 v[7:8], v[9:10], v[7:8]
	ds_store_b64 v13, v[7:8]
.LBB151_17:
	s_or_b32 exec_lo, exec_lo, s0
	s_delay_alu instid0(SALU_CYCLE_1)
	s_mov_b32 s0, exec_lo
	s_waitcnt lgkmcnt(0)
	s_barrier
	buffer_gl0_inv
	v_cmpx_gt_u16_e32 4, v14
	s_cbranch_execz .LBB151_19
; %bb.18:
	ds_load_2addr_b64 v[7:10], v13 offset1:4
	s_waitcnt lgkmcnt(0)
	v_add_f64 v[7:8], v[9:10], v[7:8]
	ds_store_b64 v13, v[7:8]
.LBB151_19:
	s_or_b32 exec_lo, exec_lo, s0
	s_delay_alu instid0(SALU_CYCLE_1)
	s_mov_b32 s0, exec_lo
	s_waitcnt lgkmcnt(0)
	s_barrier
	buffer_gl0_inv
	v_cmpx_gt_u16_e32 2, v14
	s_cbranch_execz .LBB151_21
; %bb.20:
	ds_load_2addr_b64 v[7:10], v13 offset1:2
	s_waitcnt lgkmcnt(0)
	v_add_f64 v[7:8], v[9:10], v[7:8]
	ds_store_b64 v13, v[7:8]
.LBB151_21:
	s_or_b32 exec_lo, exec_lo, s0
	s_mov_b32 s1, 0
	s_mov_b32 s0, 0
	s_mov_b32 s2, exec_lo
	s_waitcnt lgkmcnt(0)
	s_barrier
	buffer_gl0_inv
                                        ; implicit-def: $vgpr7
                                        ; implicit-def: $vgpr8
	v_cmpx_gt_u32_e32 24, v0
	s_xor_b32 s2, exec_lo, s2
; %bb.22:
	v_mul_u32_u24_e32 v7, 24, v0
	v_mad_u32_u24 v8, 0xb8, v0, v13
	s_mov_b32 s0, exec_lo
	s_delay_alu instid0(VALU_DEP_2)
	v_or_b32_e32 v7, 1, v7
; %bb.23:
	s_or_b32 exec_lo, exec_lo, s2
	s_delay_alu instid0(SALU_CYCLE_1)
	s_and_b32 vcc_lo, exec_lo, s1
	s_cbranch_vccnz .LBB151_25
	s_branch .LBB151_36
.LBB151_24:
	s_mov_b32 s0, 0
                                        ; implicit-def: $vgpr7
                                        ; implicit-def: $vgpr8
	s_cbranch_execz .LBB151_36
.LBB151_25:
	v_cmp_gt_u32_e32 vcc_lo, 0xc0, v0
	s_and_saveexec_b32 s1, vcc_lo
	s_cbranch_execz .LBB151_27
; %bb.26:
	ds_load_2addr_stride64_b64 v[7:10], v13 offset1:6
	s_waitcnt lgkmcnt(0)
	v_add_f64 v[7:8], v[9:10], v[7:8]
	ds_store_b64 v13, v[7:8]
.LBB151_27:
	s_or_b32 exec_lo, exec_lo, s1
	s_waitcnt lgkmcnt(0)
	s_barrier
	buffer_gl0_inv
	s_and_saveexec_b32 s1, vcc_lo
	s_cbranch_execz .LBB151_29
; %bb.28:
	ds_load_2addr_stride64_b64 v[7:10], v13 offset1:3
	s_waitcnt lgkmcnt(0)
	v_add_f64 v[7:8], v[9:10], v[7:8]
	ds_store_b64 v13, v[7:8]
.LBB151_29:
	s_or_b32 exec_lo, exec_lo, s1
	s_delay_alu instid0(SALU_CYCLE_1)
	s_mov_b32 s1, exec_lo
	s_waitcnt lgkmcnt(0)
	s_barrier
	buffer_gl0_inv
	v_cmpx_gt_u32_e32 0x60, v0
	s_cbranch_execz .LBB151_31
; %bb.30:
	ds_load_2addr_b64 v[7:10], v13 offset1:96
	s_waitcnt lgkmcnt(0)
	v_add_f64 v[7:8], v[9:10], v[7:8]
	ds_store_b64 v13, v[7:8]
.LBB151_31:
	s_or_b32 exec_lo, exec_lo, s1
	s_delay_alu instid0(SALU_CYCLE_1)
	s_mov_b32 s1, exec_lo
	s_waitcnt lgkmcnt(0)
	s_barrier
	buffer_gl0_inv
	v_cmpx_gt_u32_e32 48, v0
	s_cbranch_execz .LBB151_33
; %bb.32:
	ds_load_2addr_b64 v[7:10], v13 offset1:48
	s_waitcnt lgkmcnt(0)
	v_add_f64 v[7:8], v[9:10], v[7:8]
	ds_store_b64 v13, v[7:8]
.LBB151_33:
	s_or_b32 exec_lo, exec_lo, s1
	s_delay_alu instid0(SALU_CYCLE_1)
	s_mov_b32 s1, exec_lo
	s_waitcnt lgkmcnt(0)
	buffer_gl0_inv
                                        ; implicit-def: $vgpr7
	v_cmpx_gt_u32_e32 24, v0
; %bb.34:
	v_add_nc_u32_e32 v7, 24, v0
	s_or_b32 s0, s0, exec_lo
                                        ; implicit-def: $vgpr5_vgpr6
; %bb.35:
	s_or_b32 exec_lo, exec_lo, s1
	v_mov_b32_e32 v8, v13
.LBB151_36:
	s_and_saveexec_b32 s1, s0
	s_cbranch_execnz .LBB151_39
; %bb.37:
	s_or_b32 exec_lo, exec_lo, s1
	v_cmp_gt_u32_e32 vcc_lo, 24, v0
	s_and_b32 exec_lo, exec_lo, vcc_lo
	s_cbranch_execnz .LBB151_40
.LBB151_38:
	s_nop 0
	s_sendmsg sendmsg(MSG_DEALLOC_VGPRS)
	s_endpgm
.LBB151_39:
	v_lshlrev_b32_e32 v7, 3, v7
	ds_load_b64 v[5:6], v8
	ds_load_b64 v[7:8], v7
	s_waitcnt lgkmcnt(0)
	v_add_f64 v[5:6], v[5:6], v[7:8]
	s_or_b32 exec_lo, exec_lo, s1
	v_cmp_gt_u32_e32 vcc_lo, 24, v0
	s_and_b32 exec_lo, exec_lo, vcc_lo
	s_cbranch_execz .LBB151_38
.LBB151_40:
	s_delay_alu instid0(VALU_DEP_2)
	v_mul_f64 v[3:4], v[3:4], v[5:6]
	s_mul_i32 s0, s9, 0xc0
	s_mul_hi_u32 s1, s8, 0xc0
	s_mul_i32 s2, s8, 0xc0
	s_mov_b32 s3, exec_lo
	v_cmpx_eq_f64_e32 0, v[1:2]
	s_xor_b32 s3, exec_lo, s3
	s_cbranch_execz .LBB151_42
; %bb.41:
	v_lshlrev_b32_e32 v0, 3, v0
	s_add_i32 s5, s1, s0
	s_add_u32 s4, s10, s2
	s_addc_u32 s5, s11, s5
                                        ; implicit-def: $vgpr1_vgpr2
	global_store_b64 v0, v[3:4], s[4:5]
                                        ; implicit-def: $vgpr0
                                        ; implicit-def: $vgpr3_vgpr4
.LBB151_42:
	s_and_not1_saveexec_b32 s3, s3
	s_cbranch_execz .LBB151_38
; %bb.43:
	v_lshlrev_b32_e32 v7, 3, v0
	s_add_i32 s1, s1, s0
	s_add_u32 s0, s10, s2
	s_addc_u32 s1, s11, s1
	global_load_b64 v[5:6], v7, s[0:1]
	s_waitcnt vmcnt(0)
	v_fma_f64 v[0:1], v[1:2], v[5:6], v[3:4]
	global_store_b64 v7, v[0:1], s[0:1]
	s_nop 0
	s_sendmsg sendmsg(MSG_DEALLOC_VGPRS)
	s_endpgm
	.section	.rodata,"a",@progbits
	.p2align	6, 0x0
	.amdhsa_kernel _ZN9rocsparseL20bsrxmvn_17_32_kernelILj24EdlldddEEvT2_20rocsparse_direction_NS_24const_host_device_scalarIT0_EES1_PKS1_PKT1_SA_S7_PKT3_PKT4_S5_PT5_21rocsparse_index_base_b
		.amdhsa_group_segment_fixed_size 4608
		.amdhsa_private_segment_fixed_size 0
		.amdhsa_kernarg_size 104
		.amdhsa_user_sgpr_count 15
		.amdhsa_user_sgpr_dispatch_ptr 0
		.amdhsa_user_sgpr_queue_ptr 0
		.amdhsa_user_sgpr_kernarg_segment_ptr 1
		.amdhsa_user_sgpr_dispatch_id 0
		.amdhsa_user_sgpr_private_segment_size 0
		.amdhsa_wavefront_size32 1
		.amdhsa_uses_dynamic_stack 0
		.amdhsa_enable_private_segment 0
		.amdhsa_system_sgpr_workgroup_id_x 1
		.amdhsa_system_sgpr_workgroup_id_y 0
		.amdhsa_system_sgpr_workgroup_id_z 0
		.amdhsa_system_sgpr_workgroup_info 0
		.amdhsa_system_vgpr_workitem_id 0
		.amdhsa_next_free_vgpr 21
		.amdhsa_next_free_sgpr 20
		.amdhsa_reserve_vcc 1
		.amdhsa_float_round_mode_32 0
		.amdhsa_float_round_mode_16_64 0
		.amdhsa_float_denorm_mode_32 3
		.amdhsa_float_denorm_mode_16_64 3
		.amdhsa_dx10_clamp 1
		.amdhsa_ieee_mode 1
		.amdhsa_fp16_overflow 0
		.amdhsa_workgroup_processor_mode 1
		.amdhsa_memory_ordered 1
		.amdhsa_forward_progress 0
		.amdhsa_shared_vgpr_count 0
		.amdhsa_exception_fp_ieee_invalid_op 0
		.amdhsa_exception_fp_denorm_src 0
		.amdhsa_exception_fp_ieee_div_zero 0
		.amdhsa_exception_fp_ieee_overflow 0
		.amdhsa_exception_fp_ieee_underflow 0
		.amdhsa_exception_fp_ieee_inexact 0
		.amdhsa_exception_int_div_zero 0
	.end_amdhsa_kernel
	.section	.text._ZN9rocsparseL20bsrxmvn_17_32_kernelILj24EdlldddEEvT2_20rocsparse_direction_NS_24const_host_device_scalarIT0_EES1_PKS1_PKT1_SA_S7_PKT3_PKT4_S5_PT5_21rocsparse_index_base_b,"axG",@progbits,_ZN9rocsparseL20bsrxmvn_17_32_kernelILj24EdlldddEEvT2_20rocsparse_direction_NS_24const_host_device_scalarIT0_EES1_PKS1_PKT1_SA_S7_PKT3_PKT4_S5_PT5_21rocsparse_index_base_b,comdat
.Lfunc_end151:
	.size	_ZN9rocsparseL20bsrxmvn_17_32_kernelILj24EdlldddEEvT2_20rocsparse_direction_NS_24const_host_device_scalarIT0_EES1_PKS1_PKT1_SA_S7_PKT3_PKT4_S5_PT5_21rocsparse_index_base_b, .Lfunc_end151-_ZN9rocsparseL20bsrxmvn_17_32_kernelILj24EdlldddEEvT2_20rocsparse_direction_NS_24const_host_device_scalarIT0_EES1_PKS1_PKT1_SA_S7_PKT3_PKT4_S5_PT5_21rocsparse_index_base_b
                                        ; -- End function
	.section	.AMDGPU.csdata,"",@progbits
; Kernel info:
; codeLenInByte = 1684
; NumSgprs: 22
; NumVgprs: 21
; ScratchSize: 0
; MemoryBound: 1
; FloatMode: 240
; IeeeMode: 1
; LDSByteSize: 4608 bytes/workgroup (compile time only)
; SGPRBlocks: 2
; VGPRBlocks: 2
; NumSGPRsForWavesPerEU: 22
; NumVGPRsForWavesPerEU: 21
; Occupancy: 14
; WaveLimiterHint : 1
; COMPUTE_PGM_RSRC2:SCRATCH_EN: 0
; COMPUTE_PGM_RSRC2:USER_SGPR: 15
; COMPUTE_PGM_RSRC2:TRAP_HANDLER: 0
; COMPUTE_PGM_RSRC2:TGID_X_EN: 1
; COMPUTE_PGM_RSRC2:TGID_Y_EN: 0
; COMPUTE_PGM_RSRC2:TGID_Z_EN: 0
; COMPUTE_PGM_RSRC2:TIDIG_COMP_CNT: 0
	.section	.text._ZN9rocsparseL20bsrxmvn_17_32_kernelILj25EdlldddEEvT2_20rocsparse_direction_NS_24const_host_device_scalarIT0_EES1_PKS1_PKT1_SA_S7_PKT3_PKT4_S5_PT5_21rocsparse_index_base_b,"axG",@progbits,_ZN9rocsparseL20bsrxmvn_17_32_kernelILj25EdlldddEEvT2_20rocsparse_direction_NS_24const_host_device_scalarIT0_EES1_PKS1_PKT1_SA_S7_PKT3_PKT4_S5_PT5_21rocsparse_index_base_b,comdat
	.globl	_ZN9rocsparseL20bsrxmvn_17_32_kernelILj25EdlldddEEvT2_20rocsparse_direction_NS_24const_host_device_scalarIT0_EES1_PKS1_PKT1_SA_S7_PKT3_PKT4_S5_PT5_21rocsparse_index_base_b ; -- Begin function _ZN9rocsparseL20bsrxmvn_17_32_kernelILj25EdlldddEEvT2_20rocsparse_direction_NS_24const_host_device_scalarIT0_EES1_PKS1_PKT1_SA_S7_PKT3_PKT4_S5_PT5_21rocsparse_index_base_b
	.p2align	8
	.type	_ZN9rocsparseL20bsrxmvn_17_32_kernelILj25EdlldddEEvT2_20rocsparse_direction_NS_24const_host_device_scalarIT0_EES1_PKS1_PKT1_SA_S7_PKT3_PKT4_S5_PT5_21rocsparse_index_base_b,@function
_ZN9rocsparseL20bsrxmvn_17_32_kernelILj25EdlldddEEvT2_20rocsparse_direction_NS_24const_host_device_scalarIT0_EES1_PKS1_PKT1_SA_S7_PKT3_PKT4_S5_PT5_21rocsparse_index_base_b: ; @_ZN9rocsparseL20bsrxmvn_17_32_kernelILj25EdlldddEEvT2_20rocsparse_direction_NS_24const_host_device_scalarIT0_EES1_PKS1_PKT1_SA_S7_PKT3_PKT4_S5_PT5_21rocsparse_index_base_b
; %bb.0:
	s_clause 0x2
	s_load_b64 s[12:13], s[0:1], 0x60
	s_load_b64 s[4:5], s[0:1], 0x10
	s_load_b64 s[2:3], s[0:1], 0x50
	s_mov_b32 s8, s15
	s_waitcnt lgkmcnt(0)
	s_bitcmp1_b32 s13, 0
	v_dual_mov_b32 v3, s4 :: v_dual_mov_b32 v4, s5
	s_cselect_b32 s6, -1, 0
	s_delay_alu instid0(SALU_CYCLE_1)
	s_and_b32 vcc_lo, exec_lo, s6
	s_xor_b32 s6, s6, -1
	s_cbranch_vccnz .LBB152_2
; %bb.1:
	v_dual_mov_b32 v1, s4 :: v_dual_mov_b32 v2, s5
	flat_load_b64 v[3:4], v[1:2]
.LBB152_2:
	v_dual_mov_b32 v1, s2 :: v_dual_mov_b32 v2, s3
	s_and_not1_b32 vcc_lo, exec_lo, s6
	s_cbranch_vccnz .LBB152_4
; %bb.3:
	v_dual_mov_b32 v1, s2 :: v_dual_mov_b32 v2, s3
	flat_load_b64 v[1:2], v[1:2]
.LBB152_4:
	s_waitcnt vmcnt(0) lgkmcnt(0)
	v_cmp_neq_f64_e32 vcc_lo, 0, v[3:4]
	v_cmp_neq_f64_e64 s2, 1.0, v[1:2]
	s_delay_alu instid0(VALU_DEP_1) | instskip(NEXT) | instid1(SALU_CYCLE_1)
	s_or_b32 s2, vcc_lo, s2
	s_and_saveexec_b32 s3, s2
	s_cbranch_execz .LBB152_38
; %bb.5:
	s_clause 0x1
	s_load_b128 s[4:7], s[0:1], 0x20
	s_load_b64 s[10:11], s[0:1], 0x30
	s_mov_b32 s9, 0
	s_waitcnt lgkmcnt(0)
	s_cmp_eq_u64 s[4:5], 0
	s_cbranch_scc1 .LBB152_7
; %bb.6:
	s_lshl_b64 s[2:3], s[8:9], 3
	s_delay_alu instid0(SALU_CYCLE_1)
	s_add_u32 s2, s4, s2
	s_addc_u32 s3, s5, s3
	s_load_b64 s[2:3], s[2:3], 0x0
	s_waitcnt lgkmcnt(0)
	s_sub_u32 s8, s2, s12
	s_subb_u32 s9, s3, 0
.LBB152_7:
	s_load_b32 s3, s[0:1], 0x8
	v_mul_u32_u24_e32 v5, 0xa3e, v0
	v_lshlrev_b32_e32 v13, 3, v0
	s_delay_alu instid0(VALU_DEP_2) | instskip(SKIP_2) | instid1(VALU_DEP_3)
	v_lshrrev_b32_e32 v7, 16, v5
	v_mov_b32_e32 v5, 0
	v_mov_b32_e32 v6, 0
	v_mul_lo_u16 v8, v7, 25
	s_delay_alu instid0(VALU_DEP_1)
	v_sub_nc_u16 v14, v0, v8
	s_waitcnt lgkmcnt(0)
	s_cmp_eq_u32 s3, 1
	s_cselect_b32 s2, -1, 0
	s_cmp_lg_u32 s3, 1
	s_cselect_b32 s13, -1, 0
	s_lshl_b64 s[4:5], s[8:9], 3
	s_delay_alu instid0(SALU_CYCLE_1)
	s_add_u32 s6, s6, s4
	s_addc_u32 s7, s7, s5
	s_add_u32 s3, s6, 8
	s_addc_u32 s14, s7, 0
	;; [unrolled: 2-line block ×3, first 2 shown]
	s_cmp_eq_u64 s[10:11], 0
	s_load_b64 s[10:11], s[0:1], 0x58
	s_cselect_b32 s5, s14, s5
	s_cselect_b32 s4, s3, s4
	s_load_b64 s[14:15], s[6:7], 0x0
	s_load_b64 s[16:17], s[4:5], 0x0
	s_waitcnt lgkmcnt(0)
	v_cmp_ge_i64_e64 s3, s[14:15], s[16:17]
	s_delay_alu instid0(VALU_DEP_1)
	s_and_b32 vcc_lo, exec_lo, s3
	s_cbranch_vccnz .LBB152_12
; %bb.8:
	v_dual_mov_b32 v6, 0 :: v_dual_and_b32 v5, 0xffff, v7
	v_cmp_gt_u32_e32 vcc_lo, 0x271, v0
	s_clause 0x1
	s_load_b128 s[4:7], s[0:1], 0x38
	s_load_b64 s[18:19], s[0:1], 0x48
	s_sub_u32 s0, s16, s12
	v_subrev_nc_u32_e32 v7, 25, v5
	v_and_b32_e32 v8, 0xffff, v14
	s_subb_u32 s1, s17, 0
	s_delay_alu instid0(VALU_DEP_2) | instskip(SKIP_1) | instid1(VALU_DEP_2)
	v_cndmask_b32_e32 v5, v7, v5, vcc_lo
	v_cmp_lt_u32_e32 vcc_lo, 0x270, v0
	v_cndmask_b32_e64 v5, v8, v5, s2
	v_cndmask_b32_e64 v15, 0, 1, vcc_lo
	s_sub_u32 s2, s14, s12
	s_subb_u32 s3, s15, 0
	s_mul_hi_u32 s16, s2, 0x1388
	v_lshlrev_b64 v[5:6], 3, v[5:6]
	v_add_co_u32 v9, s14, s14, v15
	s_delay_alu instid0(VALU_DEP_1) | instskip(SKIP_2) | instid1(VALU_DEP_3)
	v_add_co_ci_u32_e64 v10, null, s15, 0, s14
	s_mul_i32 s17, s3, 0x1388
	s_waitcnt lgkmcnt(0)
	v_add_co_u32 v7, vcc_lo, s18, v5
	v_add_co_ci_u32_e32 v8, vcc_lo, s19, v6, vcc_lo
	v_sub_co_u32 v5, vcc_lo, v9, s12
	v_subrev_co_ci_u32_e32 v6, vcc_lo, 0, v10, vcc_lo
	v_lshlrev_b32_e32 v9, 3, v0
	s_mul_i32 s14, s2, 0x1388
	s_add_i32 s16, s16, s17
	s_delay_alu instid0(VALU_DEP_2)
	v_lshlrev_b64 v[11:12], 3, v[5:6]
	s_add_u32 s6, s6, s14
	v_mov_b32_e32 v5, 0
	v_mov_b32_e32 v6, 0
	s_addc_u32 s7, s7, s16
	v_add_co_u32 v9, s6, s6, v9
	v_add_co_u32 v11, vcc_lo, s4, v11
	v_add_co_ci_u32_e64 v10, null, s7, 0, s6
	v_add_co_ci_u32_e32 v12, vcc_lo, s5, v12, vcc_lo
	s_set_inst_prefetch_distance 0x1
	s_branch .LBB152_10
	.p2align	6
.LBB152_9:                              ;   in Loop: Header=BB152_10 Depth=1
	s_or_b32 exec_lo, exec_lo, s4
	s_add_u32 s2, s2, 1
	s_addc_u32 s3, s3, 0
	v_add_co_u32 v11, vcc_lo, v11, 8
	v_cmp_lt_i64_e64 s4, s[2:3], s[0:1]
	v_add_co_ci_u32_e32 v12, vcc_lo, 0, v12, vcc_lo
	s_delay_alu instid0(VALU_DEP_2)
	s_and_b32 vcc_lo, exec_lo, s4
	s_cbranch_vccz .LBB152_12
.LBB152_10:                             ; =>This Inner Loop Header: Depth=1
	v_add_co_u32 v16, s4, v15, s2
	s_delay_alu instid0(VALU_DEP_1) | instskip(SKIP_1) | instid1(VALU_DEP_1)
	v_add_co_ci_u32_e64 v17, null, 0, s3, s4
	s_mov_b32 s4, exec_lo
	v_cmpx_gt_i64_e64 s[0:1], v[16:17]
	s_cbranch_execz .LBB152_9
; %bb.11:                               ;   in Loop: Header=BB152_10 Depth=1
	global_load_b64 v[16:17], v[11:12], off
	s_waitcnt vmcnt(0)
	v_sub_co_u32 v18, vcc_lo, v16, s12
	v_subrev_co_ci_u32_e32 v20, vcc_lo, 0, v17, vcc_lo
	s_delay_alu instid0(VALU_DEP_2) | instskip(NEXT) | instid1(VALU_DEP_1)
	v_mad_u64_u32 v[16:17], null, 0xc8, v18, v[7:8]
	v_mad_u64_u32 v[18:19], null, 0xc8, v20, v[17:18]
	s_delay_alu instid0(VALU_DEP_1)
	v_mov_b32_e32 v17, v18
	global_load_b64 v[18:19], v[9:10], off
	global_load_b64 v[16:17], v[16:17], off
	v_add_co_u32 v9, vcc_lo, 0x1388, v9
	v_add_co_ci_u32_e32 v10, vcc_lo, 0, v10, vcc_lo
	s_waitcnt vmcnt(0)
	v_fma_f64 v[5:6], v[18:19], v[16:17], v[5:6]
	s_branch .LBB152_9
.LBB152_12:
	s_set_inst_prefetch_distance 0x2
	s_and_b32 vcc_lo, exec_lo, s13
	ds_store_b64 v13, v[5:6]
	s_waitcnt lgkmcnt(0)
	s_barrier
	buffer_gl0_inv
	s_cbranch_vccz .LBB152_24
; %bb.13:
	s_mov_b32 s0, exec_lo
	v_cmpx_gt_u16_e32 9, v14
	s_cbranch_execz .LBB152_15
; %bb.14:
	ds_load_2addr_b64 v[7:10], v13 offset1:16
	s_waitcnt lgkmcnt(0)
	v_add_f64 v[7:8], v[9:10], v[7:8]
	ds_store_b64 v13, v[7:8]
.LBB152_15:
	s_or_b32 exec_lo, exec_lo, s0
	s_delay_alu instid0(SALU_CYCLE_1)
	s_mov_b32 s0, exec_lo
	s_waitcnt lgkmcnt(0)
	s_barrier
	buffer_gl0_inv
	v_cmpx_gt_u16_e32 8, v14
	s_cbranch_execz .LBB152_17
; %bb.16:
	ds_load_2addr_b64 v[7:10], v13 offset1:8
	s_waitcnt lgkmcnt(0)
	v_add_f64 v[7:8], v[9:10], v[7:8]
	ds_store_b64 v13, v[7:8]
.LBB152_17:
	s_or_b32 exec_lo, exec_lo, s0
	s_delay_alu instid0(SALU_CYCLE_1)
	s_mov_b32 s0, exec_lo
	s_waitcnt lgkmcnt(0)
	s_barrier
	buffer_gl0_inv
	;; [unrolled: 14-line block ×3, first 2 shown]
	v_cmpx_gt_u16_e32 2, v14
	s_cbranch_execz .LBB152_21
; %bb.20:
	ds_load_2addr_b64 v[7:10], v13 offset1:2
	s_waitcnt lgkmcnt(0)
	v_add_f64 v[7:8], v[9:10], v[7:8]
	ds_store_b64 v13, v[7:8]
.LBB152_21:
	s_or_b32 exec_lo, exec_lo, s0
	s_mov_b32 s1, 0
	s_mov_b32 s0, 0
	s_mov_b32 s2, exec_lo
	s_waitcnt lgkmcnt(0)
	s_barrier
	buffer_gl0_inv
                                        ; implicit-def: $vgpr7
                                        ; implicit-def: $vgpr8
	v_cmpx_gt_u32_e32 25, v0
	s_xor_b32 s2, exec_lo, s2
; %bb.22:
	v_mad_u32_u24 v7, v0, 25, 1
	v_mad_u32_u24 v8, 0xc0, v0, v13
	s_mov_b32 s0, exec_lo
; %bb.23:
	s_or_b32 exec_lo, exec_lo, s2
	s_delay_alu instid0(SALU_CYCLE_1)
	s_and_b32 vcc_lo, exec_lo, s1
	s_cbranch_vccnz .LBB152_25
	s_branch .LBB152_36
.LBB152_24:
	s_mov_b32 s0, 0
                                        ; implicit-def: $vgpr7
                                        ; implicit-def: $vgpr8
	s_cbranch_execz .LBB152_36
.LBB152_25:
	s_mov_b32 s1, exec_lo
	v_cmpx_gt_u32_e32 0xe1, v0
	s_cbranch_execz .LBB152_27
; %bb.26:
	ds_load_b64 v[7:8], v13 offset:3200
	ds_load_b64 v[9:10], v13
	s_waitcnt lgkmcnt(0)
	v_add_f64 v[7:8], v[7:8], v[9:10]
	ds_store_b64 v13, v[7:8]
.LBB152_27:
	s_or_b32 exec_lo, exec_lo, s1
	s_delay_alu instid0(SALU_CYCLE_1)
	s_mov_b32 s1, exec_lo
	s_waitcnt lgkmcnt(0)
	s_barrier
	buffer_gl0_inv
	v_cmpx_gt_u32_e32 0xc8, v0
	s_cbranch_execz .LBB152_29
; %bb.28:
	ds_load_2addr_b64 v[7:10], v13 offset1:200
	s_waitcnt lgkmcnt(0)
	v_add_f64 v[7:8], v[9:10], v[7:8]
	ds_store_b64 v13, v[7:8]
.LBB152_29:
	s_or_b32 exec_lo, exec_lo, s1
	s_delay_alu instid0(SALU_CYCLE_1)
	s_mov_b32 s1, exec_lo
	s_waitcnt lgkmcnt(0)
	s_barrier
	buffer_gl0_inv
	v_cmpx_gt_u32_e32 0x64, v0
	s_cbranch_execz .LBB152_31
; %bb.30:
	ds_load_2addr_b64 v[7:10], v13 offset1:100
	s_waitcnt lgkmcnt(0)
	v_add_f64 v[7:8], v[9:10], v[7:8]
	ds_store_b64 v13, v[7:8]
.LBB152_31:
	;; [unrolled: 14-line block ×3, first 2 shown]
	s_or_b32 exec_lo, exec_lo, s1
	s_delay_alu instid0(SALU_CYCLE_1)
	s_mov_b32 s1, exec_lo
	s_waitcnt lgkmcnt(0)
	buffer_gl0_inv
                                        ; implicit-def: $vgpr7
	v_cmpx_gt_u32_e32 25, v0
; %bb.34:
	v_add_nc_u32_e32 v7, 25, v0
	s_or_b32 s0, s0, exec_lo
                                        ; implicit-def: $vgpr5_vgpr6
; %bb.35:
	s_or_b32 exec_lo, exec_lo, s1
	v_mov_b32_e32 v8, v13
.LBB152_36:
	s_and_saveexec_b32 s1, s0
	s_cbranch_execnz .LBB152_39
; %bb.37:
	s_or_b32 exec_lo, exec_lo, s1
	v_cmp_gt_u32_e32 vcc_lo, 25, v0
	s_and_b32 exec_lo, exec_lo, vcc_lo
	s_cbranch_execnz .LBB152_40
.LBB152_38:
	s_nop 0
	s_sendmsg sendmsg(MSG_DEALLOC_VGPRS)
	s_endpgm
.LBB152_39:
	v_lshlrev_b32_e32 v7, 3, v7
	ds_load_b64 v[5:6], v8
	ds_load_b64 v[7:8], v7
	s_waitcnt lgkmcnt(0)
	v_add_f64 v[5:6], v[5:6], v[7:8]
	s_or_b32 exec_lo, exec_lo, s1
	v_cmp_gt_u32_e32 vcc_lo, 25, v0
	s_and_b32 exec_lo, exec_lo, vcc_lo
	s_cbranch_execz .LBB152_38
.LBB152_40:
	s_delay_alu instid0(VALU_DEP_2)
	v_mul_f64 v[3:4], v[3:4], v[5:6]
	s_mul_i32 s0, s9, 0xc8
	s_mul_hi_u32 s1, s8, 0xc8
	s_mul_i32 s2, s8, 0xc8
	s_mov_b32 s3, exec_lo
	v_cmpx_eq_f64_e32 0, v[1:2]
	s_xor_b32 s3, exec_lo, s3
	s_cbranch_execz .LBB152_42
; %bb.41:
	v_lshlrev_b32_e32 v0, 3, v0
	s_add_i32 s5, s1, s0
	s_add_u32 s4, s10, s2
	s_addc_u32 s5, s11, s5
                                        ; implicit-def: $vgpr1_vgpr2
	global_store_b64 v0, v[3:4], s[4:5]
                                        ; implicit-def: $vgpr0
                                        ; implicit-def: $vgpr3_vgpr4
.LBB152_42:
	s_and_not1_saveexec_b32 s3, s3
	s_cbranch_execz .LBB152_38
; %bb.43:
	v_lshlrev_b32_e32 v7, 3, v0
	s_add_i32 s1, s1, s0
	s_add_u32 s0, s10, s2
	s_addc_u32 s1, s11, s1
	global_load_b64 v[5:6], v7, s[0:1]
	s_waitcnt vmcnt(0)
	v_fma_f64 v[0:1], v[1:2], v[5:6], v[3:4]
	global_store_b64 v7, v[0:1], s[0:1]
	s_nop 0
	s_sendmsg sendmsg(MSG_DEALLOC_VGPRS)
	s_endpgm
	.section	.rodata,"a",@progbits
	.p2align	6, 0x0
	.amdhsa_kernel _ZN9rocsparseL20bsrxmvn_17_32_kernelILj25EdlldddEEvT2_20rocsparse_direction_NS_24const_host_device_scalarIT0_EES1_PKS1_PKT1_SA_S7_PKT3_PKT4_S5_PT5_21rocsparse_index_base_b
		.amdhsa_group_segment_fixed_size 5000
		.amdhsa_private_segment_fixed_size 0
		.amdhsa_kernarg_size 104
		.amdhsa_user_sgpr_count 15
		.amdhsa_user_sgpr_dispatch_ptr 0
		.amdhsa_user_sgpr_queue_ptr 0
		.amdhsa_user_sgpr_kernarg_segment_ptr 1
		.amdhsa_user_sgpr_dispatch_id 0
		.amdhsa_user_sgpr_private_segment_size 0
		.amdhsa_wavefront_size32 1
		.amdhsa_uses_dynamic_stack 0
		.amdhsa_enable_private_segment 0
		.amdhsa_system_sgpr_workgroup_id_x 1
		.amdhsa_system_sgpr_workgroup_id_y 0
		.amdhsa_system_sgpr_workgroup_id_z 0
		.amdhsa_system_sgpr_workgroup_info 0
		.amdhsa_system_vgpr_workitem_id 0
		.amdhsa_next_free_vgpr 21
		.amdhsa_next_free_sgpr 20
		.amdhsa_reserve_vcc 1
		.amdhsa_float_round_mode_32 0
		.amdhsa_float_round_mode_16_64 0
		.amdhsa_float_denorm_mode_32 3
		.amdhsa_float_denorm_mode_16_64 3
		.amdhsa_dx10_clamp 1
		.amdhsa_ieee_mode 1
		.amdhsa_fp16_overflow 0
		.amdhsa_workgroup_processor_mode 1
		.amdhsa_memory_ordered 1
		.amdhsa_forward_progress 0
		.amdhsa_shared_vgpr_count 0
		.amdhsa_exception_fp_ieee_invalid_op 0
		.amdhsa_exception_fp_denorm_src 0
		.amdhsa_exception_fp_ieee_div_zero 0
		.amdhsa_exception_fp_ieee_overflow 0
		.amdhsa_exception_fp_ieee_underflow 0
		.amdhsa_exception_fp_ieee_inexact 0
		.amdhsa_exception_int_div_zero 0
	.end_amdhsa_kernel
	.section	.text._ZN9rocsparseL20bsrxmvn_17_32_kernelILj25EdlldddEEvT2_20rocsparse_direction_NS_24const_host_device_scalarIT0_EES1_PKS1_PKT1_SA_S7_PKT3_PKT4_S5_PT5_21rocsparse_index_base_b,"axG",@progbits,_ZN9rocsparseL20bsrxmvn_17_32_kernelILj25EdlldddEEvT2_20rocsparse_direction_NS_24const_host_device_scalarIT0_EES1_PKS1_PKT1_SA_S7_PKT3_PKT4_S5_PT5_21rocsparse_index_base_b,comdat
.Lfunc_end152:
	.size	_ZN9rocsparseL20bsrxmvn_17_32_kernelILj25EdlldddEEvT2_20rocsparse_direction_NS_24const_host_device_scalarIT0_EES1_PKS1_PKT1_SA_S7_PKT3_PKT4_S5_PT5_21rocsparse_index_base_b, .Lfunc_end152-_ZN9rocsparseL20bsrxmvn_17_32_kernelILj25EdlldddEEvT2_20rocsparse_direction_NS_24const_host_device_scalarIT0_EES1_PKS1_PKT1_SA_S7_PKT3_PKT4_S5_PT5_21rocsparse_index_base_b
                                        ; -- End function
	.section	.AMDGPU.csdata,"",@progbits
; Kernel info:
; codeLenInByte = 1708
; NumSgprs: 22
; NumVgprs: 21
; ScratchSize: 0
; MemoryBound: 1
; FloatMode: 240
; IeeeMode: 1
; LDSByteSize: 5000 bytes/workgroup (compile time only)
; SGPRBlocks: 2
; VGPRBlocks: 2
; NumSGPRsForWavesPerEU: 22
; NumVGPRsForWavesPerEU: 21
; Occupancy: 15
; WaveLimiterHint : 1
; COMPUTE_PGM_RSRC2:SCRATCH_EN: 0
; COMPUTE_PGM_RSRC2:USER_SGPR: 15
; COMPUTE_PGM_RSRC2:TRAP_HANDLER: 0
; COMPUTE_PGM_RSRC2:TGID_X_EN: 1
; COMPUTE_PGM_RSRC2:TGID_Y_EN: 0
; COMPUTE_PGM_RSRC2:TGID_Z_EN: 0
; COMPUTE_PGM_RSRC2:TIDIG_COMP_CNT: 0
	.section	.text._ZN9rocsparseL20bsrxmvn_17_32_kernelILj26EdlldddEEvT2_20rocsparse_direction_NS_24const_host_device_scalarIT0_EES1_PKS1_PKT1_SA_S7_PKT3_PKT4_S5_PT5_21rocsparse_index_base_b,"axG",@progbits,_ZN9rocsparseL20bsrxmvn_17_32_kernelILj26EdlldddEEvT2_20rocsparse_direction_NS_24const_host_device_scalarIT0_EES1_PKS1_PKT1_SA_S7_PKT3_PKT4_S5_PT5_21rocsparse_index_base_b,comdat
	.globl	_ZN9rocsparseL20bsrxmvn_17_32_kernelILj26EdlldddEEvT2_20rocsparse_direction_NS_24const_host_device_scalarIT0_EES1_PKS1_PKT1_SA_S7_PKT3_PKT4_S5_PT5_21rocsparse_index_base_b ; -- Begin function _ZN9rocsparseL20bsrxmvn_17_32_kernelILj26EdlldddEEvT2_20rocsparse_direction_NS_24const_host_device_scalarIT0_EES1_PKS1_PKT1_SA_S7_PKT3_PKT4_S5_PT5_21rocsparse_index_base_b
	.p2align	8
	.type	_ZN9rocsparseL20bsrxmvn_17_32_kernelILj26EdlldddEEvT2_20rocsparse_direction_NS_24const_host_device_scalarIT0_EES1_PKS1_PKT1_SA_S7_PKT3_PKT4_S5_PT5_21rocsparse_index_base_b,@function
_ZN9rocsparseL20bsrxmvn_17_32_kernelILj26EdlldddEEvT2_20rocsparse_direction_NS_24const_host_device_scalarIT0_EES1_PKS1_PKT1_SA_S7_PKT3_PKT4_S5_PT5_21rocsparse_index_base_b: ; @_ZN9rocsparseL20bsrxmvn_17_32_kernelILj26EdlldddEEvT2_20rocsparse_direction_NS_24const_host_device_scalarIT0_EES1_PKS1_PKT1_SA_S7_PKT3_PKT4_S5_PT5_21rocsparse_index_base_b
; %bb.0:
	s_clause 0x2
	s_load_b64 s[12:13], s[0:1], 0x60
	s_load_b64 s[4:5], s[0:1], 0x10
	;; [unrolled: 1-line block ×3, first 2 shown]
	s_mov_b32 s8, s15
	s_waitcnt lgkmcnt(0)
	s_bitcmp1_b32 s13, 0
	v_dual_mov_b32 v3, s4 :: v_dual_mov_b32 v4, s5
	s_cselect_b32 s6, -1, 0
	s_delay_alu instid0(SALU_CYCLE_1)
	s_and_b32 vcc_lo, exec_lo, s6
	s_xor_b32 s6, s6, -1
	s_cbranch_vccnz .LBB153_2
; %bb.1:
	v_dual_mov_b32 v1, s4 :: v_dual_mov_b32 v2, s5
	flat_load_b64 v[3:4], v[1:2]
.LBB153_2:
	v_dual_mov_b32 v1, s2 :: v_dual_mov_b32 v2, s3
	s_and_not1_b32 vcc_lo, exec_lo, s6
	s_cbranch_vccnz .LBB153_4
; %bb.3:
	v_dual_mov_b32 v1, s2 :: v_dual_mov_b32 v2, s3
	flat_load_b64 v[1:2], v[1:2]
.LBB153_4:
	s_waitcnt vmcnt(0) lgkmcnt(0)
	v_cmp_neq_f64_e32 vcc_lo, 0, v[3:4]
	v_cmp_neq_f64_e64 s2, 1.0, v[1:2]
	s_delay_alu instid0(VALU_DEP_1) | instskip(NEXT) | instid1(SALU_CYCLE_1)
	s_or_b32 s2, vcc_lo, s2
	s_and_saveexec_b32 s3, s2
	s_cbranch_execz .LBB153_38
; %bb.5:
	s_clause 0x1
	s_load_b128 s[4:7], s[0:1], 0x20
	s_load_b64 s[10:11], s[0:1], 0x30
	s_mov_b32 s9, 0
	s_waitcnt lgkmcnt(0)
	s_cmp_eq_u64 s[4:5], 0
	s_cbranch_scc1 .LBB153_7
; %bb.6:
	s_lshl_b64 s[2:3], s[8:9], 3
	s_delay_alu instid0(SALU_CYCLE_1)
	s_add_u32 s2, s4, s2
	s_addc_u32 s3, s5, s3
	s_load_b64 s[2:3], s[2:3], 0x0
	s_waitcnt lgkmcnt(0)
	s_sub_u32 s8, s2, s12
	s_subb_u32 s9, s3, 0
.LBB153_7:
	s_load_b32 s3, s[0:1], 0x8
	v_mul_u32_u24_e32 v5, 0x9d9, v0
	v_lshlrev_b32_e32 v13, 3, v0
	s_delay_alu instid0(VALU_DEP_2) | instskip(SKIP_2) | instid1(VALU_DEP_3)
	v_lshrrev_b32_e32 v7, 16, v5
	v_mov_b32_e32 v5, 0
	v_mov_b32_e32 v6, 0
	v_mul_lo_u16 v8, v7, 26
	s_delay_alu instid0(VALU_DEP_1)
	v_sub_nc_u16 v14, v0, v8
	s_waitcnt lgkmcnt(0)
	s_cmp_eq_u32 s3, 1
	s_cselect_b32 s2, -1, 0
	s_cmp_lg_u32 s3, 1
	s_cselect_b32 s13, -1, 0
	s_lshl_b64 s[4:5], s[8:9], 3
	s_delay_alu instid0(SALU_CYCLE_1)
	s_add_u32 s6, s6, s4
	s_addc_u32 s7, s7, s5
	s_add_u32 s3, s6, 8
	s_addc_u32 s14, s7, 0
	;; [unrolled: 2-line block ×3, first 2 shown]
	s_cmp_eq_u64 s[10:11], 0
	s_load_b64 s[10:11], s[0:1], 0x58
	s_cselect_b32 s5, s14, s5
	s_cselect_b32 s4, s3, s4
	s_load_b64 s[14:15], s[6:7], 0x0
	s_load_b64 s[16:17], s[4:5], 0x0
	s_waitcnt lgkmcnt(0)
	v_cmp_ge_i64_e64 s3, s[14:15], s[16:17]
	s_delay_alu instid0(VALU_DEP_1)
	s_and_b32 vcc_lo, exec_lo, s3
	s_cbranch_vccnz .LBB153_12
; %bb.8:
	v_dual_mov_b32 v6, 0 :: v_dual_and_b32 v5, 0xffff, v7
	v_cmp_gt_u32_e32 vcc_lo, 0x2a4, v0
	s_clause 0x1
	s_load_b128 s[4:7], s[0:1], 0x38
	s_load_b64 s[18:19], s[0:1], 0x48
	s_sub_u32 s0, s16, s12
	v_subrev_nc_u32_e32 v7, 26, v5
	v_and_b32_e32 v8, 0xffff, v14
	s_subb_u32 s1, s17, 0
	s_delay_alu instid0(VALU_DEP_2) | instskip(SKIP_1) | instid1(VALU_DEP_2)
	v_cndmask_b32_e32 v5, v7, v5, vcc_lo
	v_cmp_lt_u32_e32 vcc_lo, 0x2a3, v0
	v_cndmask_b32_e64 v5, v8, v5, s2
	v_cndmask_b32_e64 v15, 0, 1, vcc_lo
	s_sub_u32 s2, s14, s12
	s_subb_u32 s3, s15, 0
	s_mul_hi_u32 s16, s2, 0x1520
	v_lshlrev_b64 v[5:6], 3, v[5:6]
	v_add_co_u32 v9, s14, s14, v15
	s_delay_alu instid0(VALU_DEP_1) | instskip(SKIP_2) | instid1(VALU_DEP_3)
	v_add_co_ci_u32_e64 v10, null, s15, 0, s14
	s_mul_i32 s17, s3, 0x1520
	s_waitcnt lgkmcnt(0)
	v_add_co_u32 v7, vcc_lo, s18, v5
	v_add_co_ci_u32_e32 v8, vcc_lo, s19, v6, vcc_lo
	v_sub_co_u32 v5, vcc_lo, v9, s12
	v_subrev_co_ci_u32_e32 v6, vcc_lo, 0, v10, vcc_lo
	v_lshlrev_b32_e32 v9, 3, v0
	s_mul_i32 s14, s2, 0x1520
	s_add_i32 s16, s16, s17
	s_delay_alu instid0(VALU_DEP_2)
	v_lshlrev_b64 v[11:12], 3, v[5:6]
	s_add_u32 s6, s6, s14
	v_mov_b32_e32 v5, 0
	v_mov_b32_e32 v6, 0
	s_addc_u32 s7, s7, s16
	v_add_co_u32 v9, s6, s6, v9
	v_add_co_u32 v11, vcc_lo, s4, v11
	v_add_co_ci_u32_e64 v10, null, s7, 0, s6
	v_add_co_ci_u32_e32 v12, vcc_lo, s5, v12, vcc_lo
	s_set_inst_prefetch_distance 0x1
	s_branch .LBB153_10
	.p2align	6
.LBB153_9:                              ;   in Loop: Header=BB153_10 Depth=1
	s_or_b32 exec_lo, exec_lo, s4
	s_add_u32 s2, s2, 1
	s_addc_u32 s3, s3, 0
	v_add_co_u32 v11, vcc_lo, v11, 8
	v_cmp_lt_i64_e64 s4, s[2:3], s[0:1]
	v_add_co_ci_u32_e32 v12, vcc_lo, 0, v12, vcc_lo
	s_delay_alu instid0(VALU_DEP_2)
	s_and_b32 vcc_lo, exec_lo, s4
	s_cbranch_vccz .LBB153_12
.LBB153_10:                             ; =>This Inner Loop Header: Depth=1
	v_add_co_u32 v16, s4, v15, s2
	s_delay_alu instid0(VALU_DEP_1) | instskip(SKIP_1) | instid1(VALU_DEP_1)
	v_add_co_ci_u32_e64 v17, null, 0, s3, s4
	s_mov_b32 s4, exec_lo
	v_cmpx_gt_i64_e64 s[0:1], v[16:17]
	s_cbranch_execz .LBB153_9
; %bb.11:                               ;   in Loop: Header=BB153_10 Depth=1
	global_load_b64 v[16:17], v[11:12], off
	s_waitcnt vmcnt(0)
	v_sub_co_u32 v18, vcc_lo, v16, s12
	v_subrev_co_ci_u32_e32 v20, vcc_lo, 0, v17, vcc_lo
	s_delay_alu instid0(VALU_DEP_2) | instskip(NEXT) | instid1(VALU_DEP_1)
	v_mad_u64_u32 v[16:17], null, 0xd0, v18, v[7:8]
	v_mad_u64_u32 v[18:19], null, 0xd0, v20, v[17:18]
	s_delay_alu instid0(VALU_DEP_1)
	v_mov_b32_e32 v17, v18
	global_load_b64 v[18:19], v[9:10], off
	global_load_b64 v[16:17], v[16:17], off
	v_add_co_u32 v9, vcc_lo, 0x1520, v9
	v_add_co_ci_u32_e32 v10, vcc_lo, 0, v10, vcc_lo
	s_waitcnt vmcnt(0)
	v_fma_f64 v[5:6], v[18:19], v[16:17], v[5:6]
	s_branch .LBB153_9
.LBB153_12:
	s_set_inst_prefetch_distance 0x2
	s_and_b32 vcc_lo, exec_lo, s13
	ds_store_b64 v13, v[5:6]
	s_waitcnt lgkmcnt(0)
	s_barrier
	buffer_gl0_inv
	s_cbranch_vccz .LBB153_24
; %bb.13:
	s_mov_b32 s0, exec_lo
	v_cmpx_gt_u16_e32 10, v14
	s_cbranch_execz .LBB153_15
; %bb.14:
	ds_load_2addr_b64 v[7:10], v13 offset1:16
	s_waitcnt lgkmcnt(0)
	v_add_f64 v[7:8], v[9:10], v[7:8]
	ds_store_b64 v13, v[7:8]
.LBB153_15:
	s_or_b32 exec_lo, exec_lo, s0
	s_delay_alu instid0(SALU_CYCLE_1)
	s_mov_b32 s0, exec_lo
	s_waitcnt lgkmcnt(0)
	s_barrier
	buffer_gl0_inv
	v_cmpx_gt_u16_e32 8, v14
	s_cbranch_execz .LBB153_17
; %bb.16:
	ds_load_2addr_b64 v[7:10], v13 offset1:8
	s_waitcnt lgkmcnt(0)
	v_add_f64 v[7:8], v[9:10], v[7:8]
	ds_store_b64 v13, v[7:8]
.LBB153_17:
	s_or_b32 exec_lo, exec_lo, s0
	s_delay_alu instid0(SALU_CYCLE_1)
	s_mov_b32 s0, exec_lo
	s_waitcnt lgkmcnt(0)
	s_barrier
	buffer_gl0_inv
	;; [unrolled: 14-line block ×3, first 2 shown]
	v_cmpx_gt_u16_e32 2, v14
	s_cbranch_execz .LBB153_21
; %bb.20:
	ds_load_2addr_b64 v[7:10], v13 offset1:2
	s_waitcnt lgkmcnt(0)
	v_add_f64 v[7:8], v[9:10], v[7:8]
	ds_store_b64 v13, v[7:8]
.LBB153_21:
	s_or_b32 exec_lo, exec_lo, s0
	s_mov_b32 s1, 0
	s_mov_b32 s0, 0
	s_mov_b32 s2, exec_lo
	s_waitcnt lgkmcnt(0)
	s_barrier
	buffer_gl0_inv
                                        ; implicit-def: $vgpr7
                                        ; implicit-def: $vgpr8
	v_cmpx_gt_u32_e32 26, v0
	s_xor_b32 s2, exec_lo, s2
; %bb.22:
	v_mul_u32_u24_e32 v7, 26, v0
	v_mad_u32_u24 v8, 0xc8, v0, v13
	s_mov_b32 s0, exec_lo
	s_delay_alu instid0(VALU_DEP_2)
	v_or_b32_e32 v7, 1, v7
; %bb.23:
	s_or_b32 exec_lo, exec_lo, s2
	s_delay_alu instid0(SALU_CYCLE_1)
	s_and_b32 vcc_lo, exec_lo, s1
	s_cbranch_vccnz .LBB153_25
	s_branch .LBB153_36
.LBB153_24:
	s_mov_b32 s0, 0
                                        ; implicit-def: $vgpr7
                                        ; implicit-def: $vgpr8
	s_cbranch_execz .LBB153_36
.LBB153_25:
	s_mov_b32 s1, exec_lo
	v_cmpx_gt_u32_e32 0x104, v0
	s_cbranch_execz .LBB153_27
; %bb.26:
	ds_load_b64 v[7:8], v13 offset:3328
	ds_load_b64 v[9:10], v13
	s_waitcnt lgkmcnt(0)
	v_add_f64 v[7:8], v[7:8], v[9:10]
	ds_store_b64 v13, v[7:8]
.LBB153_27:
	s_or_b32 exec_lo, exec_lo, s1
	s_delay_alu instid0(SALU_CYCLE_1)
	s_mov_b32 s1, exec_lo
	s_waitcnt lgkmcnt(0)
	s_barrier
	buffer_gl0_inv
	v_cmpx_gt_u32_e32 0xd0, v0
	s_cbranch_execz .LBB153_29
; %bb.28:
	ds_load_2addr_b64 v[7:10], v13 offset1:208
	s_waitcnt lgkmcnt(0)
	v_add_f64 v[7:8], v[9:10], v[7:8]
	ds_store_b64 v13, v[7:8]
.LBB153_29:
	s_or_b32 exec_lo, exec_lo, s1
	s_delay_alu instid0(SALU_CYCLE_1)
	s_mov_b32 s1, exec_lo
	s_waitcnt lgkmcnt(0)
	s_barrier
	buffer_gl0_inv
	v_cmpx_gt_u32_e32 0x68, v0
	s_cbranch_execz .LBB153_31
; %bb.30:
	ds_load_2addr_b64 v[7:10], v13 offset1:104
	s_waitcnt lgkmcnt(0)
	v_add_f64 v[7:8], v[9:10], v[7:8]
	ds_store_b64 v13, v[7:8]
.LBB153_31:
	;; [unrolled: 14-line block ×3, first 2 shown]
	s_or_b32 exec_lo, exec_lo, s1
	s_delay_alu instid0(SALU_CYCLE_1)
	s_mov_b32 s1, exec_lo
	s_waitcnt lgkmcnt(0)
	buffer_gl0_inv
                                        ; implicit-def: $vgpr7
	v_cmpx_gt_u32_e32 26, v0
; %bb.34:
	v_add_nc_u32_e32 v7, 26, v0
	s_or_b32 s0, s0, exec_lo
                                        ; implicit-def: $vgpr5_vgpr6
; %bb.35:
	s_or_b32 exec_lo, exec_lo, s1
	v_mov_b32_e32 v8, v13
.LBB153_36:
	s_and_saveexec_b32 s1, s0
	s_cbranch_execnz .LBB153_39
; %bb.37:
	s_or_b32 exec_lo, exec_lo, s1
	v_cmp_gt_u32_e32 vcc_lo, 26, v0
	s_and_b32 exec_lo, exec_lo, vcc_lo
	s_cbranch_execnz .LBB153_40
.LBB153_38:
	s_nop 0
	s_sendmsg sendmsg(MSG_DEALLOC_VGPRS)
	s_endpgm
.LBB153_39:
	v_lshlrev_b32_e32 v7, 3, v7
	ds_load_b64 v[5:6], v8
	ds_load_b64 v[7:8], v7
	s_waitcnt lgkmcnt(0)
	v_add_f64 v[5:6], v[5:6], v[7:8]
	s_or_b32 exec_lo, exec_lo, s1
	v_cmp_gt_u32_e32 vcc_lo, 26, v0
	s_and_b32 exec_lo, exec_lo, vcc_lo
	s_cbranch_execz .LBB153_38
.LBB153_40:
	s_delay_alu instid0(VALU_DEP_2)
	v_mul_f64 v[3:4], v[3:4], v[5:6]
	s_mul_i32 s0, s9, 0xd0
	s_mul_hi_u32 s1, s8, 0xd0
	s_mul_i32 s2, s8, 0xd0
	s_mov_b32 s3, exec_lo
	v_cmpx_eq_f64_e32 0, v[1:2]
	s_xor_b32 s3, exec_lo, s3
	s_cbranch_execz .LBB153_42
; %bb.41:
	v_lshlrev_b32_e32 v0, 3, v0
	s_add_i32 s5, s1, s0
	s_add_u32 s4, s10, s2
	s_addc_u32 s5, s11, s5
                                        ; implicit-def: $vgpr1_vgpr2
	global_store_b64 v0, v[3:4], s[4:5]
                                        ; implicit-def: $vgpr0
                                        ; implicit-def: $vgpr3_vgpr4
.LBB153_42:
	s_and_not1_saveexec_b32 s3, s3
	s_cbranch_execz .LBB153_38
; %bb.43:
	v_lshlrev_b32_e32 v7, 3, v0
	s_add_i32 s1, s1, s0
	s_add_u32 s0, s10, s2
	s_addc_u32 s1, s11, s1
	global_load_b64 v[5:6], v7, s[0:1]
	s_waitcnt vmcnt(0)
	v_fma_f64 v[0:1], v[1:2], v[5:6], v[3:4]
	global_store_b64 v7, v[0:1], s[0:1]
	s_nop 0
	s_sendmsg sendmsg(MSG_DEALLOC_VGPRS)
	s_endpgm
	.section	.rodata,"a",@progbits
	.p2align	6, 0x0
	.amdhsa_kernel _ZN9rocsparseL20bsrxmvn_17_32_kernelILj26EdlldddEEvT2_20rocsparse_direction_NS_24const_host_device_scalarIT0_EES1_PKS1_PKT1_SA_S7_PKT3_PKT4_S5_PT5_21rocsparse_index_base_b
		.amdhsa_group_segment_fixed_size 5408
		.amdhsa_private_segment_fixed_size 0
		.amdhsa_kernarg_size 104
		.amdhsa_user_sgpr_count 15
		.amdhsa_user_sgpr_dispatch_ptr 0
		.amdhsa_user_sgpr_queue_ptr 0
		.amdhsa_user_sgpr_kernarg_segment_ptr 1
		.amdhsa_user_sgpr_dispatch_id 0
		.amdhsa_user_sgpr_private_segment_size 0
		.amdhsa_wavefront_size32 1
		.amdhsa_uses_dynamic_stack 0
		.amdhsa_enable_private_segment 0
		.amdhsa_system_sgpr_workgroup_id_x 1
		.amdhsa_system_sgpr_workgroup_id_y 0
		.amdhsa_system_sgpr_workgroup_id_z 0
		.amdhsa_system_sgpr_workgroup_info 0
		.amdhsa_system_vgpr_workitem_id 0
		.amdhsa_next_free_vgpr 21
		.amdhsa_next_free_sgpr 20
		.amdhsa_reserve_vcc 1
		.amdhsa_float_round_mode_32 0
		.amdhsa_float_round_mode_16_64 0
		.amdhsa_float_denorm_mode_32 3
		.amdhsa_float_denorm_mode_16_64 3
		.amdhsa_dx10_clamp 1
		.amdhsa_ieee_mode 1
		.amdhsa_fp16_overflow 0
		.amdhsa_workgroup_processor_mode 1
		.amdhsa_memory_ordered 1
		.amdhsa_forward_progress 0
		.amdhsa_shared_vgpr_count 0
		.amdhsa_exception_fp_ieee_invalid_op 0
		.amdhsa_exception_fp_denorm_src 0
		.amdhsa_exception_fp_ieee_div_zero 0
		.amdhsa_exception_fp_ieee_overflow 0
		.amdhsa_exception_fp_ieee_underflow 0
		.amdhsa_exception_fp_ieee_inexact 0
		.amdhsa_exception_int_div_zero 0
	.end_amdhsa_kernel
	.section	.text._ZN9rocsparseL20bsrxmvn_17_32_kernelILj26EdlldddEEvT2_20rocsparse_direction_NS_24const_host_device_scalarIT0_EES1_PKS1_PKT1_SA_S7_PKT3_PKT4_S5_PT5_21rocsparse_index_base_b,"axG",@progbits,_ZN9rocsparseL20bsrxmvn_17_32_kernelILj26EdlldddEEvT2_20rocsparse_direction_NS_24const_host_device_scalarIT0_EES1_PKS1_PKT1_SA_S7_PKT3_PKT4_S5_PT5_21rocsparse_index_base_b,comdat
.Lfunc_end153:
	.size	_ZN9rocsparseL20bsrxmvn_17_32_kernelILj26EdlldddEEvT2_20rocsparse_direction_NS_24const_host_device_scalarIT0_EES1_PKS1_PKT1_SA_S7_PKT3_PKT4_S5_PT5_21rocsparse_index_base_b, .Lfunc_end153-_ZN9rocsparseL20bsrxmvn_17_32_kernelILj26EdlldddEEvT2_20rocsparse_direction_NS_24const_host_device_scalarIT0_EES1_PKS1_PKT1_SA_S7_PKT3_PKT4_S5_PT5_21rocsparse_index_base_b
                                        ; -- End function
	.section	.AMDGPU.csdata,"",@progbits
; Kernel info:
; codeLenInByte = 1712
; NumSgprs: 22
; NumVgprs: 21
; ScratchSize: 0
; MemoryBound: 1
; FloatMode: 240
; IeeeMode: 1
; LDSByteSize: 5408 bytes/workgroup (compile time only)
; SGPRBlocks: 2
; VGPRBlocks: 2
; NumSGPRsForWavesPerEU: 22
; NumVGPRsForWavesPerEU: 21
; Occupancy: 11
; WaveLimiterHint : 1
; COMPUTE_PGM_RSRC2:SCRATCH_EN: 0
; COMPUTE_PGM_RSRC2:USER_SGPR: 15
; COMPUTE_PGM_RSRC2:TRAP_HANDLER: 0
; COMPUTE_PGM_RSRC2:TGID_X_EN: 1
; COMPUTE_PGM_RSRC2:TGID_Y_EN: 0
; COMPUTE_PGM_RSRC2:TGID_Z_EN: 0
; COMPUTE_PGM_RSRC2:TIDIG_COMP_CNT: 0
	.section	.text._ZN9rocsparseL20bsrxmvn_17_32_kernelILj27EdlldddEEvT2_20rocsparse_direction_NS_24const_host_device_scalarIT0_EES1_PKS1_PKT1_SA_S7_PKT3_PKT4_S5_PT5_21rocsparse_index_base_b,"axG",@progbits,_ZN9rocsparseL20bsrxmvn_17_32_kernelILj27EdlldddEEvT2_20rocsparse_direction_NS_24const_host_device_scalarIT0_EES1_PKS1_PKT1_SA_S7_PKT3_PKT4_S5_PT5_21rocsparse_index_base_b,comdat
	.globl	_ZN9rocsparseL20bsrxmvn_17_32_kernelILj27EdlldddEEvT2_20rocsparse_direction_NS_24const_host_device_scalarIT0_EES1_PKS1_PKT1_SA_S7_PKT3_PKT4_S5_PT5_21rocsparse_index_base_b ; -- Begin function _ZN9rocsparseL20bsrxmvn_17_32_kernelILj27EdlldddEEvT2_20rocsparse_direction_NS_24const_host_device_scalarIT0_EES1_PKS1_PKT1_SA_S7_PKT3_PKT4_S5_PT5_21rocsparse_index_base_b
	.p2align	8
	.type	_ZN9rocsparseL20bsrxmvn_17_32_kernelILj27EdlldddEEvT2_20rocsparse_direction_NS_24const_host_device_scalarIT0_EES1_PKS1_PKT1_SA_S7_PKT3_PKT4_S5_PT5_21rocsparse_index_base_b,@function
_ZN9rocsparseL20bsrxmvn_17_32_kernelILj27EdlldddEEvT2_20rocsparse_direction_NS_24const_host_device_scalarIT0_EES1_PKS1_PKT1_SA_S7_PKT3_PKT4_S5_PT5_21rocsparse_index_base_b: ; @_ZN9rocsparseL20bsrxmvn_17_32_kernelILj27EdlldddEEvT2_20rocsparse_direction_NS_24const_host_device_scalarIT0_EES1_PKS1_PKT1_SA_S7_PKT3_PKT4_S5_PT5_21rocsparse_index_base_b
; %bb.0:
	s_clause 0x2
	s_load_b64 s[12:13], s[0:1], 0x60
	s_load_b64 s[4:5], s[0:1], 0x10
	;; [unrolled: 1-line block ×3, first 2 shown]
	s_mov_b32 s8, s15
	s_waitcnt lgkmcnt(0)
	s_bitcmp1_b32 s13, 0
	v_dual_mov_b32 v3, s4 :: v_dual_mov_b32 v4, s5
	s_cselect_b32 s6, -1, 0
	s_delay_alu instid0(SALU_CYCLE_1)
	s_and_b32 vcc_lo, exec_lo, s6
	s_xor_b32 s6, s6, -1
	s_cbranch_vccnz .LBB154_2
; %bb.1:
	v_dual_mov_b32 v1, s4 :: v_dual_mov_b32 v2, s5
	flat_load_b64 v[3:4], v[1:2]
.LBB154_2:
	v_dual_mov_b32 v1, s2 :: v_dual_mov_b32 v2, s3
	s_and_not1_b32 vcc_lo, exec_lo, s6
	s_cbranch_vccnz .LBB154_4
; %bb.3:
	v_dual_mov_b32 v1, s2 :: v_dual_mov_b32 v2, s3
	flat_load_b64 v[1:2], v[1:2]
.LBB154_4:
	s_waitcnt vmcnt(0) lgkmcnt(0)
	v_cmp_neq_f64_e32 vcc_lo, 0, v[3:4]
	v_cmp_neq_f64_e64 s2, 1.0, v[1:2]
	s_delay_alu instid0(VALU_DEP_1) | instskip(NEXT) | instid1(SALU_CYCLE_1)
	s_or_b32 s2, vcc_lo, s2
	s_and_saveexec_b32 s3, s2
	s_cbranch_execz .LBB154_38
; %bb.5:
	s_clause 0x1
	s_load_b128 s[4:7], s[0:1], 0x20
	s_load_b64 s[10:11], s[0:1], 0x30
	s_mov_b32 s9, 0
	s_waitcnt lgkmcnt(0)
	s_cmp_eq_u64 s[4:5], 0
	s_cbranch_scc1 .LBB154_7
; %bb.6:
	s_lshl_b64 s[2:3], s[8:9], 3
	s_delay_alu instid0(SALU_CYCLE_1)
	s_add_u32 s2, s4, s2
	s_addc_u32 s3, s5, s3
	s_load_b64 s[2:3], s[2:3], 0x0
	s_waitcnt lgkmcnt(0)
	s_sub_u32 s8, s2, s12
	s_subb_u32 s9, s3, 0
.LBB154_7:
	s_load_b32 s3, s[0:1], 0x8
	v_mul_u32_u24_e32 v5, 0x97c, v0
	v_lshlrev_b32_e32 v13, 3, v0
	s_delay_alu instid0(VALU_DEP_2) | instskip(SKIP_2) | instid1(VALU_DEP_3)
	v_lshrrev_b32_e32 v7, 16, v5
	v_mov_b32_e32 v5, 0
	v_mov_b32_e32 v6, 0
	v_mul_lo_u16 v8, v7, 27
	s_delay_alu instid0(VALU_DEP_1)
	v_sub_nc_u16 v14, v0, v8
	s_waitcnt lgkmcnt(0)
	s_cmp_eq_u32 s3, 1
	s_cselect_b32 s2, -1, 0
	s_cmp_lg_u32 s3, 1
	s_cselect_b32 s13, -1, 0
	s_lshl_b64 s[4:5], s[8:9], 3
	s_delay_alu instid0(SALU_CYCLE_1)
	s_add_u32 s6, s6, s4
	s_addc_u32 s7, s7, s5
	s_add_u32 s3, s6, 8
	s_addc_u32 s14, s7, 0
	s_add_u32 s4, s10, s4
	s_addc_u32 s5, s11, s5
	s_cmp_eq_u64 s[10:11], 0
	s_load_b64 s[10:11], s[0:1], 0x58
	s_cselect_b32 s5, s14, s5
	s_cselect_b32 s4, s3, s4
	s_load_b64 s[14:15], s[6:7], 0x0
	s_load_b64 s[16:17], s[4:5], 0x0
	s_waitcnt lgkmcnt(0)
	v_cmp_ge_i64_e64 s3, s[14:15], s[16:17]
	s_delay_alu instid0(VALU_DEP_1)
	s_and_b32 vcc_lo, exec_lo, s3
	s_cbranch_vccnz .LBB154_12
; %bb.8:
	v_dual_mov_b32 v6, 0 :: v_dual_and_b32 v5, 0xffff, v7
	v_cmp_gt_u32_e32 vcc_lo, 0x2d9, v0
	s_clause 0x1
	s_load_b128 s[4:7], s[0:1], 0x38
	s_load_b64 s[18:19], s[0:1], 0x48
	s_sub_u32 s0, s16, s12
	v_subrev_nc_u32_e32 v7, 27, v5
	v_and_b32_e32 v8, 0xffff, v14
	s_subb_u32 s1, s17, 0
	s_delay_alu instid0(VALU_DEP_2) | instskip(SKIP_1) | instid1(VALU_DEP_2)
	v_cndmask_b32_e32 v5, v7, v5, vcc_lo
	v_cmp_lt_u32_e32 vcc_lo, 0x2d8, v0
	v_cndmask_b32_e64 v5, v8, v5, s2
	v_cndmask_b32_e64 v15, 0, 1, vcc_lo
	s_sub_u32 s2, s14, s12
	s_subb_u32 s3, s15, 0
	s_mul_hi_u32 s16, s2, 0x16c8
	v_lshlrev_b64 v[5:6], 3, v[5:6]
	v_add_co_u32 v9, s14, s14, v15
	s_delay_alu instid0(VALU_DEP_1) | instskip(SKIP_2) | instid1(VALU_DEP_3)
	v_add_co_ci_u32_e64 v10, null, s15, 0, s14
	s_mul_i32 s17, s3, 0x16c8
	s_waitcnt lgkmcnt(0)
	v_add_co_u32 v7, vcc_lo, s18, v5
	v_add_co_ci_u32_e32 v8, vcc_lo, s19, v6, vcc_lo
	v_sub_co_u32 v5, vcc_lo, v9, s12
	v_subrev_co_ci_u32_e32 v6, vcc_lo, 0, v10, vcc_lo
	v_lshlrev_b32_e32 v9, 3, v0
	s_mul_i32 s14, s2, 0x16c8
	s_add_i32 s16, s16, s17
	s_delay_alu instid0(VALU_DEP_2)
	v_lshlrev_b64 v[11:12], 3, v[5:6]
	s_add_u32 s6, s6, s14
	v_mov_b32_e32 v5, 0
	v_mov_b32_e32 v6, 0
	s_addc_u32 s7, s7, s16
	v_add_co_u32 v9, s6, s6, v9
	v_add_co_u32 v11, vcc_lo, s4, v11
	v_add_co_ci_u32_e64 v10, null, s7, 0, s6
	v_add_co_ci_u32_e32 v12, vcc_lo, s5, v12, vcc_lo
	s_set_inst_prefetch_distance 0x1
	s_branch .LBB154_10
	.p2align	6
.LBB154_9:                              ;   in Loop: Header=BB154_10 Depth=1
	s_or_b32 exec_lo, exec_lo, s4
	s_add_u32 s2, s2, 1
	s_addc_u32 s3, s3, 0
	v_add_co_u32 v11, vcc_lo, v11, 8
	v_cmp_lt_i64_e64 s4, s[2:3], s[0:1]
	v_add_co_ci_u32_e32 v12, vcc_lo, 0, v12, vcc_lo
	s_delay_alu instid0(VALU_DEP_2)
	s_and_b32 vcc_lo, exec_lo, s4
	s_cbranch_vccz .LBB154_12
.LBB154_10:                             ; =>This Inner Loop Header: Depth=1
	v_add_co_u32 v16, s4, v15, s2
	s_delay_alu instid0(VALU_DEP_1) | instskip(SKIP_1) | instid1(VALU_DEP_1)
	v_add_co_ci_u32_e64 v17, null, 0, s3, s4
	s_mov_b32 s4, exec_lo
	v_cmpx_gt_i64_e64 s[0:1], v[16:17]
	s_cbranch_execz .LBB154_9
; %bb.11:                               ;   in Loop: Header=BB154_10 Depth=1
	global_load_b64 v[16:17], v[11:12], off
	s_waitcnt vmcnt(0)
	v_sub_co_u32 v18, vcc_lo, v16, s12
	v_subrev_co_ci_u32_e32 v20, vcc_lo, 0, v17, vcc_lo
	s_delay_alu instid0(VALU_DEP_2) | instskip(NEXT) | instid1(VALU_DEP_1)
	v_mad_u64_u32 v[16:17], null, 0xd8, v18, v[7:8]
	v_mad_u64_u32 v[18:19], null, 0xd8, v20, v[17:18]
	s_delay_alu instid0(VALU_DEP_1)
	v_mov_b32_e32 v17, v18
	global_load_b64 v[18:19], v[9:10], off
	global_load_b64 v[16:17], v[16:17], off
	v_add_co_u32 v9, vcc_lo, 0x16c8, v9
	v_add_co_ci_u32_e32 v10, vcc_lo, 0, v10, vcc_lo
	s_waitcnt vmcnt(0)
	v_fma_f64 v[5:6], v[18:19], v[16:17], v[5:6]
	s_branch .LBB154_9
.LBB154_12:
	s_set_inst_prefetch_distance 0x2
	s_and_b32 vcc_lo, exec_lo, s13
	ds_store_b64 v13, v[5:6]
	s_waitcnt lgkmcnt(0)
	s_barrier
	buffer_gl0_inv
	s_cbranch_vccz .LBB154_24
; %bb.13:
	s_mov_b32 s0, exec_lo
	v_cmpx_gt_u16_e32 11, v14
	s_cbranch_execz .LBB154_15
; %bb.14:
	ds_load_2addr_b64 v[7:10], v13 offset1:16
	s_waitcnt lgkmcnt(0)
	v_add_f64 v[7:8], v[9:10], v[7:8]
	ds_store_b64 v13, v[7:8]
.LBB154_15:
	s_or_b32 exec_lo, exec_lo, s0
	s_delay_alu instid0(SALU_CYCLE_1)
	s_mov_b32 s0, exec_lo
	s_waitcnt lgkmcnt(0)
	s_barrier
	buffer_gl0_inv
	v_cmpx_gt_u16_e32 8, v14
	s_cbranch_execz .LBB154_17
; %bb.16:
	ds_load_2addr_b64 v[7:10], v13 offset1:8
	s_waitcnt lgkmcnt(0)
	v_add_f64 v[7:8], v[9:10], v[7:8]
	ds_store_b64 v13, v[7:8]
.LBB154_17:
	s_or_b32 exec_lo, exec_lo, s0
	s_delay_alu instid0(SALU_CYCLE_1)
	s_mov_b32 s0, exec_lo
	s_waitcnt lgkmcnt(0)
	s_barrier
	buffer_gl0_inv
	;; [unrolled: 14-line block ×3, first 2 shown]
	v_cmpx_gt_u16_e32 2, v14
	s_cbranch_execz .LBB154_21
; %bb.20:
	ds_load_2addr_b64 v[7:10], v13 offset1:2
	s_waitcnt lgkmcnt(0)
	v_add_f64 v[7:8], v[9:10], v[7:8]
	ds_store_b64 v13, v[7:8]
.LBB154_21:
	s_or_b32 exec_lo, exec_lo, s0
	s_mov_b32 s1, 0
	s_mov_b32 s0, 0
	s_mov_b32 s2, exec_lo
	s_waitcnt lgkmcnt(0)
	s_barrier
	buffer_gl0_inv
                                        ; implicit-def: $vgpr7
                                        ; implicit-def: $vgpr8
	v_cmpx_gt_u32_e32 27, v0
	s_xor_b32 s2, exec_lo, s2
; %bb.22:
	v_mad_u32_u24 v7, v0, 27, 1
	v_mad_u32_u24 v8, 0xd0, v0, v13
	s_mov_b32 s0, exec_lo
; %bb.23:
	s_or_b32 exec_lo, exec_lo, s2
	s_delay_alu instid0(SALU_CYCLE_1)
	s_and_b32 vcc_lo, exec_lo, s1
	s_cbranch_vccnz .LBB154_25
	s_branch .LBB154_36
.LBB154_24:
	s_mov_b32 s0, 0
                                        ; implicit-def: $vgpr7
                                        ; implicit-def: $vgpr8
	s_cbranch_execz .LBB154_36
.LBB154_25:
	s_mov_b32 s1, exec_lo
	v_cmpx_gt_u32_e32 0x129, v0
	s_cbranch_execz .LBB154_27
; %bb.26:
	ds_load_b64 v[7:8], v13 offset:3456
	ds_load_b64 v[9:10], v13
	s_waitcnt lgkmcnt(0)
	v_add_f64 v[7:8], v[7:8], v[9:10]
	ds_store_b64 v13, v[7:8]
.LBB154_27:
	s_or_b32 exec_lo, exec_lo, s1
	s_delay_alu instid0(SALU_CYCLE_1)
	s_mov_b32 s1, exec_lo
	s_waitcnt lgkmcnt(0)
	s_barrier
	buffer_gl0_inv
	v_cmpx_gt_u32_e32 0xd8, v0
	s_cbranch_execz .LBB154_29
; %bb.28:
	ds_load_2addr_b64 v[7:10], v13 offset1:216
	s_waitcnt lgkmcnt(0)
	v_add_f64 v[7:8], v[9:10], v[7:8]
	ds_store_b64 v13, v[7:8]
.LBB154_29:
	s_or_b32 exec_lo, exec_lo, s1
	s_delay_alu instid0(SALU_CYCLE_1)
	s_mov_b32 s1, exec_lo
	s_waitcnt lgkmcnt(0)
	s_barrier
	buffer_gl0_inv
	v_cmpx_gt_u32_e32 0x6c, v0
	s_cbranch_execz .LBB154_31
; %bb.30:
	ds_load_2addr_b64 v[7:10], v13 offset1:108
	s_waitcnt lgkmcnt(0)
	v_add_f64 v[7:8], v[9:10], v[7:8]
	ds_store_b64 v13, v[7:8]
.LBB154_31:
	;; [unrolled: 14-line block ×3, first 2 shown]
	s_or_b32 exec_lo, exec_lo, s1
	s_delay_alu instid0(SALU_CYCLE_1)
	s_mov_b32 s1, exec_lo
	s_waitcnt lgkmcnt(0)
	buffer_gl0_inv
                                        ; implicit-def: $vgpr7
	v_cmpx_gt_u32_e32 27, v0
; %bb.34:
	v_add_nc_u32_e32 v7, 27, v0
	s_or_b32 s0, s0, exec_lo
                                        ; implicit-def: $vgpr5_vgpr6
; %bb.35:
	s_or_b32 exec_lo, exec_lo, s1
	v_mov_b32_e32 v8, v13
.LBB154_36:
	s_and_saveexec_b32 s1, s0
	s_cbranch_execnz .LBB154_39
; %bb.37:
	s_or_b32 exec_lo, exec_lo, s1
	v_cmp_gt_u32_e32 vcc_lo, 27, v0
	s_and_b32 exec_lo, exec_lo, vcc_lo
	s_cbranch_execnz .LBB154_40
.LBB154_38:
	s_nop 0
	s_sendmsg sendmsg(MSG_DEALLOC_VGPRS)
	s_endpgm
.LBB154_39:
	v_lshlrev_b32_e32 v7, 3, v7
	ds_load_b64 v[5:6], v8
	ds_load_b64 v[7:8], v7
	s_waitcnt lgkmcnt(0)
	v_add_f64 v[5:6], v[5:6], v[7:8]
	s_or_b32 exec_lo, exec_lo, s1
	v_cmp_gt_u32_e32 vcc_lo, 27, v0
	s_and_b32 exec_lo, exec_lo, vcc_lo
	s_cbranch_execz .LBB154_38
.LBB154_40:
	s_delay_alu instid0(VALU_DEP_2)
	v_mul_f64 v[3:4], v[3:4], v[5:6]
	s_mul_i32 s0, s9, 0xd8
	s_mul_hi_u32 s1, s8, 0xd8
	s_mul_i32 s2, s8, 0xd8
	s_mov_b32 s3, exec_lo
	v_cmpx_eq_f64_e32 0, v[1:2]
	s_xor_b32 s3, exec_lo, s3
	s_cbranch_execz .LBB154_42
; %bb.41:
	v_lshlrev_b32_e32 v0, 3, v0
	s_add_i32 s5, s1, s0
	s_add_u32 s4, s10, s2
	s_addc_u32 s5, s11, s5
                                        ; implicit-def: $vgpr1_vgpr2
	global_store_b64 v0, v[3:4], s[4:5]
                                        ; implicit-def: $vgpr0
                                        ; implicit-def: $vgpr3_vgpr4
.LBB154_42:
	s_and_not1_saveexec_b32 s3, s3
	s_cbranch_execz .LBB154_38
; %bb.43:
	v_lshlrev_b32_e32 v7, 3, v0
	s_add_i32 s1, s1, s0
	s_add_u32 s0, s10, s2
	s_addc_u32 s1, s11, s1
	global_load_b64 v[5:6], v7, s[0:1]
	s_waitcnt vmcnt(0)
	v_fma_f64 v[0:1], v[1:2], v[5:6], v[3:4]
	global_store_b64 v7, v[0:1], s[0:1]
	s_nop 0
	s_sendmsg sendmsg(MSG_DEALLOC_VGPRS)
	s_endpgm
	.section	.rodata,"a",@progbits
	.p2align	6, 0x0
	.amdhsa_kernel _ZN9rocsparseL20bsrxmvn_17_32_kernelILj27EdlldddEEvT2_20rocsparse_direction_NS_24const_host_device_scalarIT0_EES1_PKS1_PKT1_SA_S7_PKT3_PKT4_S5_PT5_21rocsparse_index_base_b
		.amdhsa_group_segment_fixed_size 5832
		.amdhsa_private_segment_fixed_size 0
		.amdhsa_kernarg_size 104
		.amdhsa_user_sgpr_count 15
		.amdhsa_user_sgpr_dispatch_ptr 0
		.amdhsa_user_sgpr_queue_ptr 0
		.amdhsa_user_sgpr_kernarg_segment_ptr 1
		.amdhsa_user_sgpr_dispatch_id 0
		.amdhsa_user_sgpr_private_segment_size 0
		.amdhsa_wavefront_size32 1
		.amdhsa_uses_dynamic_stack 0
		.amdhsa_enable_private_segment 0
		.amdhsa_system_sgpr_workgroup_id_x 1
		.amdhsa_system_sgpr_workgroup_id_y 0
		.amdhsa_system_sgpr_workgroup_id_z 0
		.amdhsa_system_sgpr_workgroup_info 0
		.amdhsa_system_vgpr_workitem_id 0
		.amdhsa_next_free_vgpr 21
		.amdhsa_next_free_sgpr 20
		.amdhsa_reserve_vcc 1
		.amdhsa_float_round_mode_32 0
		.amdhsa_float_round_mode_16_64 0
		.amdhsa_float_denorm_mode_32 3
		.amdhsa_float_denorm_mode_16_64 3
		.amdhsa_dx10_clamp 1
		.amdhsa_ieee_mode 1
		.amdhsa_fp16_overflow 0
		.amdhsa_workgroup_processor_mode 1
		.amdhsa_memory_ordered 1
		.amdhsa_forward_progress 0
		.amdhsa_shared_vgpr_count 0
		.amdhsa_exception_fp_ieee_invalid_op 0
		.amdhsa_exception_fp_denorm_src 0
		.amdhsa_exception_fp_ieee_div_zero 0
		.amdhsa_exception_fp_ieee_overflow 0
		.amdhsa_exception_fp_ieee_underflow 0
		.amdhsa_exception_fp_ieee_inexact 0
		.amdhsa_exception_int_div_zero 0
	.end_amdhsa_kernel
	.section	.text._ZN9rocsparseL20bsrxmvn_17_32_kernelILj27EdlldddEEvT2_20rocsparse_direction_NS_24const_host_device_scalarIT0_EES1_PKS1_PKT1_SA_S7_PKT3_PKT4_S5_PT5_21rocsparse_index_base_b,"axG",@progbits,_ZN9rocsparseL20bsrxmvn_17_32_kernelILj27EdlldddEEvT2_20rocsparse_direction_NS_24const_host_device_scalarIT0_EES1_PKS1_PKT1_SA_S7_PKT3_PKT4_S5_PT5_21rocsparse_index_base_b,comdat
.Lfunc_end154:
	.size	_ZN9rocsparseL20bsrxmvn_17_32_kernelILj27EdlldddEEvT2_20rocsparse_direction_NS_24const_host_device_scalarIT0_EES1_PKS1_PKT1_SA_S7_PKT3_PKT4_S5_PT5_21rocsparse_index_base_b, .Lfunc_end154-_ZN9rocsparseL20bsrxmvn_17_32_kernelILj27EdlldddEEvT2_20rocsparse_direction_NS_24const_host_device_scalarIT0_EES1_PKS1_PKT1_SA_S7_PKT3_PKT4_S5_PT5_21rocsparse_index_base_b
                                        ; -- End function
	.section	.AMDGPU.csdata,"",@progbits
; Kernel info:
; codeLenInByte = 1708
; NumSgprs: 22
; NumVgprs: 21
; ScratchSize: 0
; MemoryBound: 1
; FloatMode: 240
; IeeeMode: 1
; LDSByteSize: 5832 bytes/workgroup (compile time only)
; SGPRBlocks: 2
; VGPRBlocks: 2
; NumSGPRsForWavesPerEU: 22
; NumVGPRsForWavesPerEU: 21
; Occupancy: 12
; WaveLimiterHint : 1
; COMPUTE_PGM_RSRC2:SCRATCH_EN: 0
; COMPUTE_PGM_RSRC2:USER_SGPR: 15
; COMPUTE_PGM_RSRC2:TRAP_HANDLER: 0
; COMPUTE_PGM_RSRC2:TGID_X_EN: 1
; COMPUTE_PGM_RSRC2:TGID_Y_EN: 0
; COMPUTE_PGM_RSRC2:TGID_Z_EN: 0
; COMPUTE_PGM_RSRC2:TIDIG_COMP_CNT: 0
	.section	.text._ZN9rocsparseL20bsrxmvn_17_32_kernelILj28EdlldddEEvT2_20rocsparse_direction_NS_24const_host_device_scalarIT0_EES1_PKS1_PKT1_SA_S7_PKT3_PKT4_S5_PT5_21rocsparse_index_base_b,"axG",@progbits,_ZN9rocsparseL20bsrxmvn_17_32_kernelILj28EdlldddEEvT2_20rocsparse_direction_NS_24const_host_device_scalarIT0_EES1_PKS1_PKT1_SA_S7_PKT3_PKT4_S5_PT5_21rocsparse_index_base_b,comdat
	.globl	_ZN9rocsparseL20bsrxmvn_17_32_kernelILj28EdlldddEEvT2_20rocsparse_direction_NS_24const_host_device_scalarIT0_EES1_PKS1_PKT1_SA_S7_PKT3_PKT4_S5_PT5_21rocsparse_index_base_b ; -- Begin function _ZN9rocsparseL20bsrxmvn_17_32_kernelILj28EdlldddEEvT2_20rocsparse_direction_NS_24const_host_device_scalarIT0_EES1_PKS1_PKT1_SA_S7_PKT3_PKT4_S5_PT5_21rocsparse_index_base_b
	.p2align	8
	.type	_ZN9rocsparseL20bsrxmvn_17_32_kernelILj28EdlldddEEvT2_20rocsparse_direction_NS_24const_host_device_scalarIT0_EES1_PKS1_PKT1_SA_S7_PKT3_PKT4_S5_PT5_21rocsparse_index_base_b,@function
_ZN9rocsparseL20bsrxmvn_17_32_kernelILj28EdlldddEEvT2_20rocsparse_direction_NS_24const_host_device_scalarIT0_EES1_PKS1_PKT1_SA_S7_PKT3_PKT4_S5_PT5_21rocsparse_index_base_b: ; @_ZN9rocsparseL20bsrxmvn_17_32_kernelILj28EdlldddEEvT2_20rocsparse_direction_NS_24const_host_device_scalarIT0_EES1_PKS1_PKT1_SA_S7_PKT3_PKT4_S5_PT5_21rocsparse_index_base_b
; %bb.0:
	s_clause 0x2
	s_load_b64 s[12:13], s[0:1], 0x60
	s_load_b64 s[4:5], s[0:1], 0x10
	;; [unrolled: 1-line block ×3, first 2 shown]
	s_mov_b32 s8, s15
	s_waitcnt lgkmcnt(0)
	s_bitcmp1_b32 s13, 0
	v_dual_mov_b32 v3, s4 :: v_dual_mov_b32 v4, s5
	s_cselect_b32 s6, -1, 0
	s_delay_alu instid0(SALU_CYCLE_1)
	s_and_b32 vcc_lo, exec_lo, s6
	s_xor_b32 s6, s6, -1
	s_cbranch_vccnz .LBB155_2
; %bb.1:
	v_dual_mov_b32 v1, s4 :: v_dual_mov_b32 v2, s5
	flat_load_b64 v[3:4], v[1:2]
.LBB155_2:
	v_dual_mov_b32 v1, s2 :: v_dual_mov_b32 v2, s3
	s_and_not1_b32 vcc_lo, exec_lo, s6
	s_cbranch_vccnz .LBB155_4
; %bb.3:
	v_dual_mov_b32 v1, s2 :: v_dual_mov_b32 v2, s3
	flat_load_b64 v[1:2], v[1:2]
.LBB155_4:
	s_waitcnt vmcnt(0) lgkmcnt(0)
	v_cmp_neq_f64_e32 vcc_lo, 0, v[3:4]
	v_cmp_neq_f64_e64 s2, 1.0, v[1:2]
	s_delay_alu instid0(VALU_DEP_1) | instskip(NEXT) | instid1(SALU_CYCLE_1)
	s_or_b32 s2, vcc_lo, s2
	s_and_saveexec_b32 s3, s2
	s_cbranch_execz .LBB155_38
; %bb.5:
	s_clause 0x1
	s_load_b128 s[4:7], s[0:1], 0x20
	s_load_b64 s[10:11], s[0:1], 0x30
	s_mov_b32 s9, 0
	s_waitcnt lgkmcnt(0)
	s_cmp_eq_u64 s[4:5], 0
	s_cbranch_scc1 .LBB155_7
; %bb.6:
	s_lshl_b64 s[2:3], s[8:9], 3
	s_delay_alu instid0(SALU_CYCLE_1)
	s_add_u32 s2, s4, s2
	s_addc_u32 s3, s5, s3
	s_load_b64 s[2:3], s[2:3], 0x0
	s_waitcnt lgkmcnt(0)
	s_sub_u32 s8, s2, s12
	s_subb_u32 s9, s3, 0
.LBB155_7:
	s_load_b32 s3, s[0:1], 0x8
	v_mul_u32_u24_e32 v5, 0x925, v0
	v_lshlrev_b32_e32 v13, 3, v0
	s_delay_alu instid0(VALU_DEP_2) | instskip(SKIP_2) | instid1(VALU_DEP_3)
	v_lshrrev_b32_e32 v7, 16, v5
	v_mov_b32_e32 v5, 0
	v_mov_b32_e32 v6, 0
	v_mul_lo_u16 v8, v7, 28
	s_delay_alu instid0(VALU_DEP_1)
	v_sub_nc_u16 v14, v0, v8
	s_waitcnt lgkmcnt(0)
	s_cmp_eq_u32 s3, 1
	s_cselect_b32 s2, -1, 0
	s_cmp_lg_u32 s3, 1
	s_cselect_b32 s13, -1, 0
	s_lshl_b64 s[4:5], s[8:9], 3
	s_delay_alu instid0(SALU_CYCLE_1)
	s_add_u32 s6, s6, s4
	s_addc_u32 s7, s7, s5
	s_add_u32 s3, s6, 8
	s_addc_u32 s14, s7, 0
	;; [unrolled: 2-line block ×3, first 2 shown]
	s_cmp_eq_u64 s[10:11], 0
	s_load_b64 s[10:11], s[0:1], 0x58
	s_cselect_b32 s5, s14, s5
	s_cselect_b32 s4, s3, s4
	s_load_b64 s[14:15], s[6:7], 0x0
	s_load_b64 s[16:17], s[4:5], 0x0
	s_waitcnt lgkmcnt(0)
	v_cmp_ge_i64_e64 s3, s[14:15], s[16:17]
	s_delay_alu instid0(VALU_DEP_1)
	s_and_b32 vcc_lo, exec_lo, s3
	s_cbranch_vccnz .LBB155_12
; %bb.8:
	v_dual_mov_b32 v6, 0 :: v_dual_and_b32 v5, 0xffff, v7
	v_cmp_gt_u32_e32 vcc_lo, 0x310, v0
	s_clause 0x1
	s_load_b128 s[4:7], s[0:1], 0x38
	s_load_b64 s[18:19], s[0:1], 0x48
	s_sub_u32 s0, s16, s12
	v_subrev_nc_u32_e32 v7, 28, v5
	v_and_b32_e32 v8, 0xffff, v14
	s_subb_u32 s1, s17, 0
	s_delay_alu instid0(VALU_DEP_2) | instskip(SKIP_1) | instid1(VALU_DEP_2)
	v_cndmask_b32_e32 v5, v7, v5, vcc_lo
	v_cmp_lt_u32_e32 vcc_lo, 0x30f, v0
	v_cndmask_b32_e64 v5, v8, v5, s2
	v_cndmask_b32_e64 v15, 0, 1, vcc_lo
	s_sub_u32 s2, s14, s12
	s_subb_u32 s3, s15, 0
	s_mul_hi_u32 s16, s2, 0x1880
	v_lshlrev_b64 v[5:6], 3, v[5:6]
	v_add_co_u32 v9, s14, s14, v15
	s_delay_alu instid0(VALU_DEP_1) | instskip(SKIP_2) | instid1(VALU_DEP_3)
	v_add_co_ci_u32_e64 v10, null, s15, 0, s14
	s_mul_i32 s17, s3, 0x1880
	s_waitcnt lgkmcnt(0)
	v_add_co_u32 v7, vcc_lo, s18, v5
	v_add_co_ci_u32_e32 v8, vcc_lo, s19, v6, vcc_lo
	v_sub_co_u32 v5, vcc_lo, v9, s12
	v_subrev_co_ci_u32_e32 v6, vcc_lo, 0, v10, vcc_lo
	v_lshlrev_b32_e32 v9, 3, v0
	s_mul_i32 s14, s2, 0x1880
	s_add_i32 s16, s16, s17
	s_delay_alu instid0(VALU_DEP_2)
	v_lshlrev_b64 v[11:12], 3, v[5:6]
	s_add_u32 s6, s6, s14
	v_mov_b32_e32 v5, 0
	v_mov_b32_e32 v6, 0
	s_addc_u32 s7, s7, s16
	v_add_co_u32 v9, s6, s6, v9
	v_add_co_u32 v11, vcc_lo, s4, v11
	v_add_co_ci_u32_e64 v10, null, s7, 0, s6
	v_add_co_ci_u32_e32 v12, vcc_lo, s5, v12, vcc_lo
	s_set_inst_prefetch_distance 0x1
	s_branch .LBB155_10
	.p2align	6
.LBB155_9:                              ;   in Loop: Header=BB155_10 Depth=1
	s_or_b32 exec_lo, exec_lo, s4
	s_add_u32 s2, s2, 1
	s_addc_u32 s3, s3, 0
	v_add_co_u32 v11, vcc_lo, v11, 8
	v_cmp_lt_i64_e64 s4, s[2:3], s[0:1]
	v_add_co_ci_u32_e32 v12, vcc_lo, 0, v12, vcc_lo
	s_delay_alu instid0(VALU_DEP_2)
	s_and_b32 vcc_lo, exec_lo, s4
	s_cbranch_vccz .LBB155_12
.LBB155_10:                             ; =>This Inner Loop Header: Depth=1
	v_add_co_u32 v16, s4, v15, s2
	s_delay_alu instid0(VALU_DEP_1) | instskip(SKIP_1) | instid1(VALU_DEP_1)
	v_add_co_ci_u32_e64 v17, null, 0, s3, s4
	s_mov_b32 s4, exec_lo
	v_cmpx_gt_i64_e64 s[0:1], v[16:17]
	s_cbranch_execz .LBB155_9
; %bb.11:                               ;   in Loop: Header=BB155_10 Depth=1
	global_load_b64 v[16:17], v[11:12], off
	s_waitcnt vmcnt(0)
	v_sub_co_u32 v18, vcc_lo, v16, s12
	v_subrev_co_ci_u32_e32 v20, vcc_lo, 0, v17, vcc_lo
	s_delay_alu instid0(VALU_DEP_2) | instskip(NEXT) | instid1(VALU_DEP_1)
	v_mad_u64_u32 v[16:17], null, 0xe0, v18, v[7:8]
	v_mad_u64_u32 v[18:19], null, 0xe0, v20, v[17:18]
	s_delay_alu instid0(VALU_DEP_1)
	v_mov_b32_e32 v17, v18
	global_load_b64 v[18:19], v[9:10], off
	global_load_b64 v[16:17], v[16:17], off
	v_add_co_u32 v9, vcc_lo, 0x1880, v9
	v_add_co_ci_u32_e32 v10, vcc_lo, 0, v10, vcc_lo
	s_waitcnt vmcnt(0)
	v_fma_f64 v[5:6], v[18:19], v[16:17], v[5:6]
	s_branch .LBB155_9
.LBB155_12:
	s_set_inst_prefetch_distance 0x2
	s_and_b32 vcc_lo, exec_lo, s13
	ds_store_b64 v13, v[5:6]
	s_waitcnt lgkmcnt(0)
	s_barrier
	buffer_gl0_inv
	s_cbranch_vccz .LBB155_24
; %bb.13:
	s_mov_b32 s0, exec_lo
	v_cmpx_gt_u16_e32 12, v14
	s_cbranch_execz .LBB155_15
; %bb.14:
	ds_load_2addr_b64 v[7:10], v13 offset1:16
	s_waitcnt lgkmcnt(0)
	v_add_f64 v[7:8], v[9:10], v[7:8]
	ds_store_b64 v13, v[7:8]
.LBB155_15:
	s_or_b32 exec_lo, exec_lo, s0
	s_delay_alu instid0(SALU_CYCLE_1)
	s_mov_b32 s0, exec_lo
	s_waitcnt lgkmcnt(0)
	s_barrier
	buffer_gl0_inv
	v_cmpx_gt_u16_e32 8, v14
	s_cbranch_execz .LBB155_17
; %bb.16:
	ds_load_2addr_b64 v[7:10], v13 offset1:8
	s_waitcnt lgkmcnt(0)
	v_add_f64 v[7:8], v[9:10], v[7:8]
	ds_store_b64 v13, v[7:8]
.LBB155_17:
	s_or_b32 exec_lo, exec_lo, s0
	s_delay_alu instid0(SALU_CYCLE_1)
	s_mov_b32 s0, exec_lo
	s_waitcnt lgkmcnt(0)
	s_barrier
	buffer_gl0_inv
	;; [unrolled: 14-line block ×3, first 2 shown]
	v_cmpx_gt_u16_e32 2, v14
	s_cbranch_execz .LBB155_21
; %bb.20:
	ds_load_2addr_b64 v[7:10], v13 offset1:2
	s_waitcnt lgkmcnt(0)
	v_add_f64 v[7:8], v[9:10], v[7:8]
	ds_store_b64 v13, v[7:8]
.LBB155_21:
	s_or_b32 exec_lo, exec_lo, s0
	s_mov_b32 s1, 0
	s_mov_b32 s0, 0
	s_mov_b32 s2, exec_lo
	s_waitcnt lgkmcnt(0)
	s_barrier
	buffer_gl0_inv
                                        ; implicit-def: $vgpr7
                                        ; implicit-def: $vgpr8
	v_cmpx_gt_u32_e32 28, v0
	s_xor_b32 s2, exec_lo, s2
; %bb.22:
	v_mul_u32_u24_e32 v7, 28, v0
	v_mad_u32_u24 v8, 0xd8, v0, v13
	s_mov_b32 s0, exec_lo
	s_delay_alu instid0(VALU_DEP_2)
	v_or_b32_e32 v7, 1, v7
; %bb.23:
	s_or_b32 exec_lo, exec_lo, s2
	s_delay_alu instid0(SALU_CYCLE_1)
	s_and_b32 vcc_lo, exec_lo, s1
	s_cbranch_vccnz .LBB155_25
	s_branch .LBB155_36
.LBB155_24:
	s_mov_b32 s0, 0
                                        ; implicit-def: $vgpr7
                                        ; implicit-def: $vgpr8
	s_cbranch_execz .LBB155_36
.LBB155_25:
	s_mov_b32 s1, exec_lo
	v_cmpx_gt_u32_e32 0x150, v0
	s_cbranch_execz .LBB155_27
; %bb.26:
	ds_load_2addr_stride64_b64 v[7:10], v13 offset1:7
	s_waitcnt lgkmcnt(0)
	v_add_f64 v[7:8], v[9:10], v[7:8]
	ds_store_b64 v13, v[7:8]
.LBB155_27:
	s_or_b32 exec_lo, exec_lo, s1
	s_delay_alu instid0(SALU_CYCLE_1)
	s_mov_b32 s1, exec_lo
	s_waitcnt lgkmcnt(0)
	s_barrier
	buffer_gl0_inv
	v_cmpx_gt_u32_e32 0xe0, v0
	s_cbranch_execz .LBB155_29
; %bb.28:
	ds_load_2addr_b64 v[7:10], v13 offset1:224
	s_waitcnt lgkmcnt(0)
	v_add_f64 v[7:8], v[9:10], v[7:8]
	ds_store_b64 v13, v[7:8]
.LBB155_29:
	s_or_b32 exec_lo, exec_lo, s1
	s_delay_alu instid0(SALU_CYCLE_1)
	s_mov_b32 s1, exec_lo
	s_waitcnt lgkmcnt(0)
	s_barrier
	buffer_gl0_inv
	v_cmpx_gt_u32_e32 0x70, v0
	s_cbranch_execz .LBB155_31
; %bb.30:
	ds_load_2addr_b64 v[7:10], v13 offset1:112
	s_waitcnt lgkmcnt(0)
	v_add_f64 v[7:8], v[9:10], v[7:8]
	ds_store_b64 v13, v[7:8]
.LBB155_31:
	;; [unrolled: 14-line block ×3, first 2 shown]
	s_or_b32 exec_lo, exec_lo, s1
	s_delay_alu instid0(SALU_CYCLE_1)
	s_mov_b32 s1, exec_lo
	s_waitcnt lgkmcnt(0)
	buffer_gl0_inv
                                        ; implicit-def: $vgpr7
	v_cmpx_gt_u32_e32 28, v0
; %bb.34:
	v_add_nc_u32_e32 v7, 28, v0
	s_or_b32 s0, s0, exec_lo
                                        ; implicit-def: $vgpr5_vgpr6
; %bb.35:
	s_or_b32 exec_lo, exec_lo, s1
	v_mov_b32_e32 v8, v13
.LBB155_36:
	s_and_saveexec_b32 s1, s0
	s_cbranch_execnz .LBB155_39
; %bb.37:
	s_or_b32 exec_lo, exec_lo, s1
	v_cmp_gt_u32_e32 vcc_lo, 28, v0
	s_and_b32 exec_lo, exec_lo, vcc_lo
	s_cbranch_execnz .LBB155_40
.LBB155_38:
	s_nop 0
	s_sendmsg sendmsg(MSG_DEALLOC_VGPRS)
	s_endpgm
.LBB155_39:
	v_lshlrev_b32_e32 v7, 3, v7
	ds_load_b64 v[5:6], v8
	ds_load_b64 v[7:8], v7
	s_waitcnt lgkmcnt(0)
	v_add_f64 v[5:6], v[5:6], v[7:8]
	s_or_b32 exec_lo, exec_lo, s1
	v_cmp_gt_u32_e32 vcc_lo, 28, v0
	s_and_b32 exec_lo, exec_lo, vcc_lo
	s_cbranch_execz .LBB155_38
.LBB155_40:
	s_delay_alu instid0(VALU_DEP_2)
	v_mul_f64 v[3:4], v[3:4], v[5:6]
	s_mul_i32 s0, s9, 0xe0
	s_mul_hi_u32 s1, s8, 0xe0
	s_mul_i32 s2, s8, 0xe0
	s_mov_b32 s3, exec_lo
	v_cmpx_eq_f64_e32 0, v[1:2]
	s_xor_b32 s3, exec_lo, s3
	s_cbranch_execz .LBB155_42
; %bb.41:
	v_lshlrev_b32_e32 v0, 3, v0
	s_add_i32 s5, s1, s0
	s_add_u32 s4, s10, s2
	s_addc_u32 s5, s11, s5
                                        ; implicit-def: $vgpr1_vgpr2
	global_store_b64 v0, v[3:4], s[4:5]
                                        ; implicit-def: $vgpr0
                                        ; implicit-def: $vgpr3_vgpr4
.LBB155_42:
	s_and_not1_saveexec_b32 s3, s3
	s_cbranch_execz .LBB155_38
; %bb.43:
	v_lshlrev_b32_e32 v7, 3, v0
	s_add_i32 s1, s1, s0
	s_add_u32 s0, s10, s2
	s_addc_u32 s1, s11, s1
	global_load_b64 v[5:6], v7, s[0:1]
	s_waitcnt vmcnt(0)
	v_fma_f64 v[0:1], v[1:2], v[5:6], v[3:4]
	global_store_b64 v7, v[0:1], s[0:1]
	s_nop 0
	s_sendmsg sendmsg(MSG_DEALLOC_VGPRS)
	s_endpgm
	.section	.rodata,"a",@progbits
	.p2align	6, 0x0
	.amdhsa_kernel _ZN9rocsparseL20bsrxmvn_17_32_kernelILj28EdlldddEEvT2_20rocsparse_direction_NS_24const_host_device_scalarIT0_EES1_PKS1_PKT1_SA_S7_PKT3_PKT4_S5_PT5_21rocsparse_index_base_b
		.amdhsa_group_segment_fixed_size 6272
		.amdhsa_private_segment_fixed_size 0
		.amdhsa_kernarg_size 104
		.amdhsa_user_sgpr_count 15
		.amdhsa_user_sgpr_dispatch_ptr 0
		.amdhsa_user_sgpr_queue_ptr 0
		.amdhsa_user_sgpr_kernarg_segment_ptr 1
		.amdhsa_user_sgpr_dispatch_id 0
		.amdhsa_user_sgpr_private_segment_size 0
		.amdhsa_wavefront_size32 1
		.amdhsa_uses_dynamic_stack 0
		.amdhsa_enable_private_segment 0
		.amdhsa_system_sgpr_workgroup_id_x 1
		.amdhsa_system_sgpr_workgroup_id_y 0
		.amdhsa_system_sgpr_workgroup_id_z 0
		.amdhsa_system_sgpr_workgroup_info 0
		.amdhsa_system_vgpr_workitem_id 0
		.amdhsa_next_free_vgpr 21
		.amdhsa_next_free_sgpr 20
		.amdhsa_reserve_vcc 1
		.amdhsa_float_round_mode_32 0
		.amdhsa_float_round_mode_16_64 0
		.amdhsa_float_denorm_mode_32 3
		.amdhsa_float_denorm_mode_16_64 3
		.amdhsa_dx10_clamp 1
		.amdhsa_ieee_mode 1
		.amdhsa_fp16_overflow 0
		.amdhsa_workgroup_processor_mode 1
		.amdhsa_memory_ordered 1
		.amdhsa_forward_progress 0
		.amdhsa_shared_vgpr_count 0
		.amdhsa_exception_fp_ieee_invalid_op 0
		.amdhsa_exception_fp_denorm_src 0
		.amdhsa_exception_fp_ieee_div_zero 0
		.amdhsa_exception_fp_ieee_overflow 0
		.amdhsa_exception_fp_ieee_underflow 0
		.amdhsa_exception_fp_ieee_inexact 0
		.amdhsa_exception_int_div_zero 0
	.end_amdhsa_kernel
	.section	.text._ZN9rocsparseL20bsrxmvn_17_32_kernelILj28EdlldddEEvT2_20rocsparse_direction_NS_24const_host_device_scalarIT0_EES1_PKS1_PKT1_SA_S7_PKT3_PKT4_S5_PT5_21rocsparse_index_base_b,"axG",@progbits,_ZN9rocsparseL20bsrxmvn_17_32_kernelILj28EdlldddEEvT2_20rocsparse_direction_NS_24const_host_device_scalarIT0_EES1_PKS1_PKT1_SA_S7_PKT3_PKT4_S5_PT5_21rocsparse_index_base_b,comdat
.Lfunc_end155:
	.size	_ZN9rocsparseL20bsrxmvn_17_32_kernelILj28EdlldddEEvT2_20rocsparse_direction_NS_24const_host_device_scalarIT0_EES1_PKS1_PKT1_SA_S7_PKT3_PKT4_S5_PT5_21rocsparse_index_base_b, .Lfunc_end155-_ZN9rocsparseL20bsrxmvn_17_32_kernelILj28EdlldddEEvT2_20rocsparse_direction_NS_24const_host_device_scalarIT0_EES1_PKS1_PKT1_SA_S7_PKT3_PKT4_S5_PT5_21rocsparse_index_base_b
                                        ; -- End function
	.section	.AMDGPU.csdata,"",@progbits
; Kernel info:
; codeLenInByte = 1704
; NumSgprs: 22
; NumVgprs: 21
; ScratchSize: 0
; MemoryBound: 1
; FloatMode: 240
; IeeeMode: 1
; LDSByteSize: 6272 bytes/workgroup (compile time only)
; SGPRBlocks: 2
; VGPRBlocks: 2
; NumSGPRsForWavesPerEU: 22
; NumVGPRsForWavesPerEU: 21
; Occupancy: 13
; WaveLimiterHint : 1
; COMPUTE_PGM_RSRC2:SCRATCH_EN: 0
; COMPUTE_PGM_RSRC2:USER_SGPR: 15
; COMPUTE_PGM_RSRC2:TRAP_HANDLER: 0
; COMPUTE_PGM_RSRC2:TGID_X_EN: 1
; COMPUTE_PGM_RSRC2:TGID_Y_EN: 0
; COMPUTE_PGM_RSRC2:TGID_Z_EN: 0
; COMPUTE_PGM_RSRC2:TIDIG_COMP_CNT: 0
	.section	.text._ZN9rocsparseL20bsrxmvn_17_32_kernelILj29EdlldddEEvT2_20rocsparse_direction_NS_24const_host_device_scalarIT0_EES1_PKS1_PKT1_SA_S7_PKT3_PKT4_S5_PT5_21rocsparse_index_base_b,"axG",@progbits,_ZN9rocsparseL20bsrxmvn_17_32_kernelILj29EdlldddEEvT2_20rocsparse_direction_NS_24const_host_device_scalarIT0_EES1_PKS1_PKT1_SA_S7_PKT3_PKT4_S5_PT5_21rocsparse_index_base_b,comdat
	.globl	_ZN9rocsparseL20bsrxmvn_17_32_kernelILj29EdlldddEEvT2_20rocsparse_direction_NS_24const_host_device_scalarIT0_EES1_PKS1_PKT1_SA_S7_PKT3_PKT4_S5_PT5_21rocsparse_index_base_b ; -- Begin function _ZN9rocsparseL20bsrxmvn_17_32_kernelILj29EdlldddEEvT2_20rocsparse_direction_NS_24const_host_device_scalarIT0_EES1_PKS1_PKT1_SA_S7_PKT3_PKT4_S5_PT5_21rocsparse_index_base_b
	.p2align	8
	.type	_ZN9rocsparseL20bsrxmvn_17_32_kernelILj29EdlldddEEvT2_20rocsparse_direction_NS_24const_host_device_scalarIT0_EES1_PKS1_PKT1_SA_S7_PKT3_PKT4_S5_PT5_21rocsparse_index_base_b,@function
_ZN9rocsparseL20bsrxmvn_17_32_kernelILj29EdlldddEEvT2_20rocsparse_direction_NS_24const_host_device_scalarIT0_EES1_PKS1_PKT1_SA_S7_PKT3_PKT4_S5_PT5_21rocsparse_index_base_b: ; @_ZN9rocsparseL20bsrxmvn_17_32_kernelILj29EdlldddEEvT2_20rocsparse_direction_NS_24const_host_device_scalarIT0_EES1_PKS1_PKT1_SA_S7_PKT3_PKT4_S5_PT5_21rocsparse_index_base_b
; %bb.0:
	s_clause 0x2
	s_load_b64 s[12:13], s[0:1], 0x60
	s_load_b64 s[4:5], s[0:1], 0x10
	s_load_b64 s[2:3], s[0:1], 0x50
	s_mov_b32 s8, s15
	s_waitcnt lgkmcnt(0)
	s_bitcmp1_b32 s13, 0
	v_dual_mov_b32 v3, s4 :: v_dual_mov_b32 v4, s5
	s_cselect_b32 s6, -1, 0
	s_delay_alu instid0(SALU_CYCLE_1)
	s_and_b32 vcc_lo, exec_lo, s6
	s_xor_b32 s6, s6, -1
	s_cbranch_vccnz .LBB156_2
; %bb.1:
	v_dual_mov_b32 v1, s4 :: v_dual_mov_b32 v2, s5
	flat_load_b64 v[3:4], v[1:2]
.LBB156_2:
	v_dual_mov_b32 v1, s2 :: v_dual_mov_b32 v2, s3
	s_and_not1_b32 vcc_lo, exec_lo, s6
	s_cbranch_vccnz .LBB156_4
; %bb.3:
	v_dual_mov_b32 v1, s2 :: v_dual_mov_b32 v2, s3
	flat_load_b64 v[1:2], v[1:2]
.LBB156_4:
	s_waitcnt vmcnt(0) lgkmcnt(0)
	v_cmp_neq_f64_e32 vcc_lo, 0, v[3:4]
	v_cmp_neq_f64_e64 s2, 1.0, v[1:2]
	s_delay_alu instid0(VALU_DEP_1) | instskip(NEXT) | instid1(SALU_CYCLE_1)
	s_or_b32 s2, vcc_lo, s2
	s_and_saveexec_b32 s3, s2
	s_cbranch_execz .LBB156_38
; %bb.5:
	s_clause 0x1
	s_load_b128 s[4:7], s[0:1], 0x20
	s_load_b64 s[10:11], s[0:1], 0x30
	s_mov_b32 s9, 0
	s_waitcnt lgkmcnt(0)
	s_cmp_eq_u64 s[4:5], 0
	s_cbranch_scc1 .LBB156_7
; %bb.6:
	s_lshl_b64 s[2:3], s[8:9], 3
	s_delay_alu instid0(SALU_CYCLE_1)
	s_add_u32 s2, s4, s2
	s_addc_u32 s3, s5, s3
	s_load_b64 s[2:3], s[2:3], 0x0
	s_waitcnt lgkmcnt(0)
	s_sub_u32 s8, s2, s12
	s_subb_u32 s9, s3, 0
.LBB156_7:
	s_load_b32 s3, s[0:1], 0x8
	v_mul_u32_u24_e32 v5, 0x8d4, v0
	v_lshlrev_b32_e32 v13, 3, v0
	s_delay_alu instid0(VALU_DEP_2) | instskip(SKIP_2) | instid1(VALU_DEP_3)
	v_lshrrev_b32_e32 v7, 16, v5
	v_mov_b32_e32 v5, 0
	v_mov_b32_e32 v6, 0
	v_mul_lo_u16 v8, v7, 29
	s_delay_alu instid0(VALU_DEP_1)
	v_sub_nc_u16 v14, v0, v8
	s_waitcnt lgkmcnt(0)
	s_cmp_eq_u32 s3, 1
	s_cselect_b32 s2, -1, 0
	s_cmp_lg_u32 s3, 1
	s_cselect_b32 s13, -1, 0
	s_lshl_b64 s[4:5], s[8:9], 3
	s_delay_alu instid0(SALU_CYCLE_1)
	s_add_u32 s6, s6, s4
	s_addc_u32 s7, s7, s5
	s_add_u32 s3, s6, 8
	s_addc_u32 s14, s7, 0
	;; [unrolled: 2-line block ×3, first 2 shown]
	s_cmp_eq_u64 s[10:11], 0
	s_load_b64 s[10:11], s[0:1], 0x58
	s_cselect_b32 s5, s14, s5
	s_cselect_b32 s4, s3, s4
	s_load_b64 s[14:15], s[6:7], 0x0
	s_load_b64 s[16:17], s[4:5], 0x0
	s_waitcnt lgkmcnt(0)
	v_cmp_ge_i64_e64 s3, s[14:15], s[16:17]
	s_delay_alu instid0(VALU_DEP_1)
	s_and_b32 vcc_lo, exec_lo, s3
	s_cbranch_vccnz .LBB156_12
; %bb.8:
	v_dual_mov_b32 v6, 0 :: v_dual_and_b32 v5, 0xffff, v7
	v_cmp_gt_u32_e32 vcc_lo, 0x349, v0
	s_clause 0x1
	s_load_b128 s[4:7], s[0:1], 0x38
	s_load_b64 s[18:19], s[0:1], 0x48
	s_sub_u32 s0, s16, s12
	v_subrev_nc_u32_e32 v7, 29, v5
	v_and_b32_e32 v8, 0xffff, v14
	s_subb_u32 s1, s17, 0
	s_delay_alu instid0(VALU_DEP_2) | instskip(SKIP_1) | instid1(VALU_DEP_2)
	v_cndmask_b32_e32 v5, v7, v5, vcc_lo
	v_cmp_lt_u32_e32 vcc_lo, 0x348, v0
	v_cndmask_b32_e64 v5, v8, v5, s2
	v_cndmask_b32_e64 v15, 0, 1, vcc_lo
	s_sub_u32 s2, s14, s12
	s_subb_u32 s3, s15, 0
	s_mul_hi_u32 s16, s2, 0x1a48
	v_lshlrev_b64 v[5:6], 3, v[5:6]
	v_add_co_u32 v9, s14, s14, v15
	s_delay_alu instid0(VALU_DEP_1) | instskip(SKIP_2) | instid1(VALU_DEP_3)
	v_add_co_ci_u32_e64 v10, null, s15, 0, s14
	s_mul_i32 s17, s3, 0x1a48
	s_waitcnt lgkmcnt(0)
	v_add_co_u32 v7, vcc_lo, s18, v5
	v_add_co_ci_u32_e32 v8, vcc_lo, s19, v6, vcc_lo
	v_sub_co_u32 v5, vcc_lo, v9, s12
	v_subrev_co_ci_u32_e32 v6, vcc_lo, 0, v10, vcc_lo
	v_lshlrev_b32_e32 v9, 3, v0
	s_mul_i32 s14, s2, 0x1a48
	s_add_i32 s16, s16, s17
	s_delay_alu instid0(VALU_DEP_2)
	v_lshlrev_b64 v[11:12], 3, v[5:6]
	s_add_u32 s6, s6, s14
	v_mov_b32_e32 v5, 0
	v_mov_b32_e32 v6, 0
	s_addc_u32 s7, s7, s16
	v_add_co_u32 v9, s6, s6, v9
	v_add_co_u32 v11, vcc_lo, s4, v11
	v_add_co_ci_u32_e64 v10, null, s7, 0, s6
	v_add_co_ci_u32_e32 v12, vcc_lo, s5, v12, vcc_lo
	s_set_inst_prefetch_distance 0x1
	s_branch .LBB156_10
	.p2align	6
.LBB156_9:                              ;   in Loop: Header=BB156_10 Depth=1
	s_or_b32 exec_lo, exec_lo, s4
	s_add_u32 s2, s2, 1
	s_addc_u32 s3, s3, 0
	v_add_co_u32 v11, vcc_lo, v11, 8
	v_cmp_lt_i64_e64 s4, s[2:3], s[0:1]
	v_add_co_ci_u32_e32 v12, vcc_lo, 0, v12, vcc_lo
	s_delay_alu instid0(VALU_DEP_2)
	s_and_b32 vcc_lo, exec_lo, s4
	s_cbranch_vccz .LBB156_12
.LBB156_10:                             ; =>This Inner Loop Header: Depth=1
	v_add_co_u32 v16, s4, v15, s2
	s_delay_alu instid0(VALU_DEP_1) | instskip(SKIP_1) | instid1(VALU_DEP_1)
	v_add_co_ci_u32_e64 v17, null, 0, s3, s4
	s_mov_b32 s4, exec_lo
	v_cmpx_gt_i64_e64 s[0:1], v[16:17]
	s_cbranch_execz .LBB156_9
; %bb.11:                               ;   in Loop: Header=BB156_10 Depth=1
	global_load_b64 v[16:17], v[11:12], off
	s_waitcnt vmcnt(0)
	v_sub_co_u32 v18, vcc_lo, v16, s12
	v_subrev_co_ci_u32_e32 v20, vcc_lo, 0, v17, vcc_lo
	s_delay_alu instid0(VALU_DEP_2) | instskip(NEXT) | instid1(VALU_DEP_1)
	v_mad_u64_u32 v[16:17], null, 0xe8, v18, v[7:8]
	v_mad_u64_u32 v[18:19], null, 0xe8, v20, v[17:18]
	s_delay_alu instid0(VALU_DEP_1)
	v_mov_b32_e32 v17, v18
	global_load_b64 v[18:19], v[9:10], off
	global_load_b64 v[16:17], v[16:17], off
	v_add_co_u32 v9, vcc_lo, 0x1a48, v9
	v_add_co_ci_u32_e32 v10, vcc_lo, 0, v10, vcc_lo
	s_waitcnt vmcnt(0)
	v_fma_f64 v[5:6], v[18:19], v[16:17], v[5:6]
	s_branch .LBB156_9
.LBB156_12:
	s_set_inst_prefetch_distance 0x2
	s_and_b32 vcc_lo, exec_lo, s13
	ds_store_b64 v13, v[5:6]
	s_waitcnt lgkmcnt(0)
	s_barrier
	buffer_gl0_inv
	s_cbranch_vccz .LBB156_24
; %bb.13:
	s_mov_b32 s0, exec_lo
	v_cmpx_gt_u16_e32 13, v14
	s_cbranch_execz .LBB156_15
; %bb.14:
	ds_load_2addr_b64 v[7:10], v13 offset1:16
	s_waitcnt lgkmcnt(0)
	v_add_f64 v[7:8], v[9:10], v[7:8]
	ds_store_b64 v13, v[7:8]
.LBB156_15:
	s_or_b32 exec_lo, exec_lo, s0
	s_delay_alu instid0(SALU_CYCLE_1)
	s_mov_b32 s0, exec_lo
	s_waitcnt lgkmcnt(0)
	s_barrier
	buffer_gl0_inv
	v_cmpx_gt_u16_e32 8, v14
	s_cbranch_execz .LBB156_17
; %bb.16:
	ds_load_2addr_b64 v[7:10], v13 offset1:8
	s_waitcnt lgkmcnt(0)
	v_add_f64 v[7:8], v[9:10], v[7:8]
	ds_store_b64 v13, v[7:8]
.LBB156_17:
	s_or_b32 exec_lo, exec_lo, s0
	s_delay_alu instid0(SALU_CYCLE_1)
	s_mov_b32 s0, exec_lo
	s_waitcnt lgkmcnt(0)
	s_barrier
	buffer_gl0_inv
	;; [unrolled: 14-line block ×3, first 2 shown]
	v_cmpx_gt_u16_e32 2, v14
	s_cbranch_execz .LBB156_21
; %bb.20:
	ds_load_2addr_b64 v[7:10], v13 offset1:2
	s_waitcnt lgkmcnt(0)
	v_add_f64 v[7:8], v[9:10], v[7:8]
	ds_store_b64 v13, v[7:8]
.LBB156_21:
	s_or_b32 exec_lo, exec_lo, s0
	s_mov_b32 s1, 0
	s_mov_b32 s0, 0
	s_mov_b32 s2, exec_lo
	s_waitcnt lgkmcnt(0)
	s_barrier
	buffer_gl0_inv
                                        ; implicit-def: $vgpr7
                                        ; implicit-def: $vgpr8
	v_cmpx_gt_u32_e32 29, v0
	s_xor_b32 s2, exec_lo, s2
; %bb.22:
	v_mad_u32_u24 v7, v0, 29, 1
	v_mad_u32_u24 v8, 0xe0, v0, v13
	s_mov_b32 s0, exec_lo
; %bb.23:
	s_or_b32 exec_lo, exec_lo, s2
	s_delay_alu instid0(SALU_CYCLE_1)
	s_and_b32 vcc_lo, exec_lo, s1
	s_cbranch_vccnz .LBB156_25
	s_branch .LBB156_36
.LBB156_24:
	s_mov_b32 s0, 0
                                        ; implicit-def: $vgpr7
                                        ; implicit-def: $vgpr8
	s_cbranch_execz .LBB156_36
.LBB156_25:
	s_mov_b32 s1, exec_lo
	v_cmpx_gt_u32_e32 0x179, v0
	s_cbranch_execz .LBB156_27
; %bb.26:
	ds_load_b64 v[7:8], v13 offset:3712
	ds_load_b64 v[9:10], v13
	s_waitcnt lgkmcnt(0)
	v_add_f64 v[7:8], v[7:8], v[9:10]
	ds_store_b64 v13, v[7:8]
.LBB156_27:
	s_or_b32 exec_lo, exec_lo, s1
	s_delay_alu instid0(SALU_CYCLE_1)
	s_mov_b32 s1, exec_lo
	s_waitcnt lgkmcnt(0)
	s_barrier
	buffer_gl0_inv
	v_cmpx_gt_u32_e32 0xe8, v0
	s_cbranch_execz .LBB156_29
; %bb.28:
	ds_load_2addr_b64 v[7:10], v13 offset1:232
	s_waitcnt lgkmcnt(0)
	v_add_f64 v[7:8], v[9:10], v[7:8]
	ds_store_b64 v13, v[7:8]
.LBB156_29:
	s_or_b32 exec_lo, exec_lo, s1
	s_delay_alu instid0(SALU_CYCLE_1)
	s_mov_b32 s1, exec_lo
	s_waitcnt lgkmcnt(0)
	s_barrier
	buffer_gl0_inv
	v_cmpx_gt_u32_e32 0x74, v0
	s_cbranch_execz .LBB156_31
; %bb.30:
	ds_load_2addr_b64 v[7:10], v13 offset1:116
	s_waitcnt lgkmcnt(0)
	v_add_f64 v[7:8], v[9:10], v[7:8]
	ds_store_b64 v13, v[7:8]
.LBB156_31:
	;; [unrolled: 14-line block ×3, first 2 shown]
	s_or_b32 exec_lo, exec_lo, s1
	s_delay_alu instid0(SALU_CYCLE_1)
	s_mov_b32 s1, exec_lo
	s_waitcnt lgkmcnt(0)
	buffer_gl0_inv
                                        ; implicit-def: $vgpr7
	v_cmpx_gt_u32_e32 29, v0
; %bb.34:
	v_add_nc_u32_e32 v7, 29, v0
	s_or_b32 s0, s0, exec_lo
                                        ; implicit-def: $vgpr5_vgpr6
; %bb.35:
	s_or_b32 exec_lo, exec_lo, s1
	v_mov_b32_e32 v8, v13
.LBB156_36:
	s_and_saveexec_b32 s1, s0
	s_cbranch_execnz .LBB156_39
; %bb.37:
	s_or_b32 exec_lo, exec_lo, s1
	v_cmp_gt_u32_e32 vcc_lo, 29, v0
	s_and_b32 exec_lo, exec_lo, vcc_lo
	s_cbranch_execnz .LBB156_40
.LBB156_38:
	s_nop 0
	s_sendmsg sendmsg(MSG_DEALLOC_VGPRS)
	s_endpgm
.LBB156_39:
	v_lshlrev_b32_e32 v7, 3, v7
	ds_load_b64 v[5:6], v8
	ds_load_b64 v[7:8], v7
	s_waitcnt lgkmcnt(0)
	v_add_f64 v[5:6], v[5:6], v[7:8]
	s_or_b32 exec_lo, exec_lo, s1
	v_cmp_gt_u32_e32 vcc_lo, 29, v0
	s_and_b32 exec_lo, exec_lo, vcc_lo
	s_cbranch_execz .LBB156_38
.LBB156_40:
	s_delay_alu instid0(VALU_DEP_2)
	v_mul_f64 v[3:4], v[3:4], v[5:6]
	s_mul_i32 s0, s9, 0xe8
	s_mul_hi_u32 s1, s8, 0xe8
	s_mul_i32 s2, s8, 0xe8
	s_mov_b32 s3, exec_lo
	v_cmpx_eq_f64_e32 0, v[1:2]
	s_xor_b32 s3, exec_lo, s3
	s_cbranch_execz .LBB156_42
; %bb.41:
	v_lshlrev_b32_e32 v0, 3, v0
	s_add_i32 s5, s1, s0
	s_add_u32 s4, s10, s2
	s_addc_u32 s5, s11, s5
                                        ; implicit-def: $vgpr1_vgpr2
	global_store_b64 v0, v[3:4], s[4:5]
                                        ; implicit-def: $vgpr0
                                        ; implicit-def: $vgpr3_vgpr4
.LBB156_42:
	s_and_not1_saveexec_b32 s3, s3
	s_cbranch_execz .LBB156_38
; %bb.43:
	v_lshlrev_b32_e32 v7, 3, v0
	s_add_i32 s1, s1, s0
	s_add_u32 s0, s10, s2
	s_addc_u32 s1, s11, s1
	global_load_b64 v[5:6], v7, s[0:1]
	s_waitcnt vmcnt(0)
	v_fma_f64 v[0:1], v[1:2], v[5:6], v[3:4]
	global_store_b64 v7, v[0:1], s[0:1]
	s_nop 0
	s_sendmsg sendmsg(MSG_DEALLOC_VGPRS)
	s_endpgm
	.section	.rodata,"a",@progbits
	.p2align	6, 0x0
	.amdhsa_kernel _ZN9rocsparseL20bsrxmvn_17_32_kernelILj29EdlldddEEvT2_20rocsparse_direction_NS_24const_host_device_scalarIT0_EES1_PKS1_PKT1_SA_S7_PKT3_PKT4_S5_PT5_21rocsparse_index_base_b
		.amdhsa_group_segment_fixed_size 6728
		.amdhsa_private_segment_fixed_size 0
		.amdhsa_kernarg_size 104
		.amdhsa_user_sgpr_count 15
		.amdhsa_user_sgpr_dispatch_ptr 0
		.amdhsa_user_sgpr_queue_ptr 0
		.amdhsa_user_sgpr_kernarg_segment_ptr 1
		.amdhsa_user_sgpr_dispatch_id 0
		.amdhsa_user_sgpr_private_segment_size 0
		.amdhsa_wavefront_size32 1
		.amdhsa_uses_dynamic_stack 0
		.amdhsa_enable_private_segment 0
		.amdhsa_system_sgpr_workgroup_id_x 1
		.amdhsa_system_sgpr_workgroup_id_y 0
		.amdhsa_system_sgpr_workgroup_id_z 0
		.amdhsa_system_sgpr_workgroup_info 0
		.amdhsa_system_vgpr_workitem_id 0
		.amdhsa_next_free_vgpr 21
		.amdhsa_next_free_sgpr 20
		.amdhsa_reserve_vcc 1
		.amdhsa_float_round_mode_32 0
		.amdhsa_float_round_mode_16_64 0
		.amdhsa_float_denorm_mode_32 3
		.amdhsa_float_denorm_mode_16_64 3
		.amdhsa_dx10_clamp 1
		.amdhsa_ieee_mode 1
		.amdhsa_fp16_overflow 0
		.amdhsa_workgroup_processor_mode 1
		.amdhsa_memory_ordered 1
		.amdhsa_forward_progress 0
		.amdhsa_shared_vgpr_count 0
		.amdhsa_exception_fp_ieee_invalid_op 0
		.amdhsa_exception_fp_denorm_src 0
		.amdhsa_exception_fp_ieee_div_zero 0
		.amdhsa_exception_fp_ieee_overflow 0
		.amdhsa_exception_fp_ieee_underflow 0
		.amdhsa_exception_fp_ieee_inexact 0
		.amdhsa_exception_int_div_zero 0
	.end_amdhsa_kernel
	.section	.text._ZN9rocsparseL20bsrxmvn_17_32_kernelILj29EdlldddEEvT2_20rocsparse_direction_NS_24const_host_device_scalarIT0_EES1_PKS1_PKT1_SA_S7_PKT3_PKT4_S5_PT5_21rocsparse_index_base_b,"axG",@progbits,_ZN9rocsparseL20bsrxmvn_17_32_kernelILj29EdlldddEEvT2_20rocsparse_direction_NS_24const_host_device_scalarIT0_EES1_PKS1_PKT1_SA_S7_PKT3_PKT4_S5_PT5_21rocsparse_index_base_b,comdat
.Lfunc_end156:
	.size	_ZN9rocsparseL20bsrxmvn_17_32_kernelILj29EdlldddEEvT2_20rocsparse_direction_NS_24const_host_device_scalarIT0_EES1_PKS1_PKT1_SA_S7_PKT3_PKT4_S5_PT5_21rocsparse_index_base_b, .Lfunc_end156-_ZN9rocsparseL20bsrxmvn_17_32_kernelILj29EdlldddEEvT2_20rocsparse_direction_NS_24const_host_device_scalarIT0_EES1_PKS1_PKT1_SA_S7_PKT3_PKT4_S5_PT5_21rocsparse_index_base_b
                                        ; -- End function
	.section	.AMDGPU.csdata,"",@progbits
; Kernel info:
; codeLenInByte = 1708
; NumSgprs: 22
; NumVgprs: 21
; ScratchSize: 0
; MemoryBound: 1
; FloatMode: 240
; IeeeMode: 1
; LDSByteSize: 6728 bytes/workgroup (compile time only)
; SGPRBlocks: 2
; VGPRBlocks: 2
; NumSGPRsForWavesPerEU: 22
; NumVGPRsForWavesPerEU: 21
; Occupancy: 14
; WaveLimiterHint : 1
; COMPUTE_PGM_RSRC2:SCRATCH_EN: 0
; COMPUTE_PGM_RSRC2:USER_SGPR: 15
; COMPUTE_PGM_RSRC2:TRAP_HANDLER: 0
; COMPUTE_PGM_RSRC2:TGID_X_EN: 1
; COMPUTE_PGM_RSRC2:TGID_Y_EN: 0
; COMPUTE_PGM_RSRC2:TGID_Z_EN: 0
; COMPUTE_PGM_RSRC2:TIDIG_COMP_CNT: 0
	.section	.text._ZN9rocsparseL20bsrxmvn_17_32_kernelILj30EdlldddEEvT2_20rocsparse_direction_NS_24const_host_device_scalarIT0_EES1_PKS1_PKT1_SA_S7_PKT3_PKT4_S5_PT5_21rocsparse_index_base_b,"axG",@progbits,_ZN9rocsparseL20bsrxmvn_17_32_kernelILj30EdlldddEEvT2_20rocsparse_direction_NS_24const_host_device_scalarIT0_EES1_PKS1_PKT1_SA_S7_PKT3_PKT4_S5_PT5_21rocsparse_index_base_b,comdat
	.globl	_ZN9rocsparseL20bsrxmvn_17_32_kernelILj30EdlldddEEvT2_20rocsparse_direction_NS_24const_host_device_scalarIT0_EES1_PKS1_PKT1_SA_S7_PKT3_PKT4_S5_PT5_21rocsparse_index_base_b ; -- Begin function _ZN9rocsparseL20bsrxmvn_17_32_kernelILj30EdlldddEEvT2_20rocsparse_direction_NS_24const_host_device_scalarIT0_EES1_PKS1_PKT1_SA_S7_PKT3_PKT4_S5_PT5_21rocsparse_index_base_b
	.p2align	8
	.type	_ZN9rocsparseL20bsrxmvn_17_32_kernelILj30EdlldddEEvT2_20rocsparse_direction_NS_24const_host_device_scalarIT0_EES1_PKS1_PKT1_SA_S7_PKT3_PKT4_S5_PT5_21rocsparse_index_base_b,@function
_ZN9rocsparseL20bsrxmvn_17_32_kernelILj30EdlldddEEvT2_20rocsparse_direction_NS_24const_host_device_scalarIT0_EES1_PKS1_PKT1_SA_S7_PKT3_PKT4_S5_PT5_21rocsparse_index_base_b: ; @_ZN9rocsparseL20bsrxmvn_17_32_kernelILj30EdlldddEEvT2_20rocsparse_direction_NS_24const_host_device_scalarIT0_EES1_PKS1_PKT1_SA_S7_PKT3_PKT4_S5_PT5_21rocsparse_index_base_b
; %bb.0:
	s_clause 0x2
	s_load_b64 s[12:13], s[0:1], 0x60
	s_load_b64 s[4:5], s[0:1], 0x10
	;; [unrolled: 1-line block ×3, first 2 shown]
	s_mov_b32 s8, s15
	s_waitcnt lgkmcnt(0)
	s_bitcmp1_b32 s13, 0
	v_dual_mov_b32 v3, s4 :: v_dual_mov_b32 v4, s5
	s_cselect_b32 s6, -1, 0
	s_delay_alu instid0(SALU_CYCLE_1)
	s_and_b32 vcc_lo, exec_lo, s6
	s_xor_b32 s6, s6, -1
	s_cbranch_vccnz .LBB157_2
; %bb.1:
	v_dual_mov_b32 v1, s4 :: v_dual_mov_b32 v2, s5
	flat_load_b64 v[3:4], v[1:2]
.LBB157_2:
	v_dual_mov_b32 v1, s2 :: v_dual_mov_b32 v2, s3
	s_and_not1_b32 vcc_lo, exec_lo, s6
	s_cbranch_vccnz .LBB157_4
; %bb.3:
	v_dual_mov_b32 v1, s2 :: v_dual_mov_b32 v2, s3
	flat_load_b64 v[1:2], v[1:2]
.LBB157_4:
	s_waitcnt vmcnt(0) lgkmcnt(0)
	v_cmp_neq_f64_e32 vcc_lo, 0, v[3:4]
	v_cmp_neq_f64_e64 s2, 1.0, v[1:2]
	s_delay_alu instid0(VALU_DEP_1) | instskip(NEXT) | instid1(SALU_CYCLE_1)
	s_or_b32 s2, vcc_lo, s2
	s_and_saveexec_b32 s3, s2
	s_cbranch_execz .LBB157_38
; %bb.5:
	s_clause 0x1
	s_load_b128 s[4:7], s[0:1], 0x20
	s_load_b64 s[10:11], s[0:1], 0x30
	s_mov_b32 s9, 0
	s_waitcnt lgkmcnt(0)
	s_cmp_eq_u64 s[4:5], 0
	s_cbranch_scc1 .LBB157_7
; %bb.6:
	s_lshl_b64 s[2:3], s[8:9], 3
	s_delay_alu instid0(SALU_CYCLE_1)
	s_add_u32 s2, s4, s2
	s_addc_u32 s3, s5, s3
	s_load_b64 s[2:3], s[2:3], 0x0
	s_waitcnt lgkmcnt(0)
	s_sub_u32 s8, s2, s12
	s_subb_u32 s9, s3, 0
.LBB157_7:
	s_load_b32 s3, s[0:1], 0x8
	v_mul_u32_u24_e32 v5, 0x889, v0
	v_lshlrev_b32_e32 v13, 3, v0
	s_delay_alu instid0(VALU_DEP_2) | instskip(SKIP_2) | instid1(VALU_DEP_3)
	v_lshrrev_b32_e32 v7, 16, v5
	v_mov_b32_e32 v5, 0
	v_mov_b32_e32 v6, 0
	v_mul_lo_u16 v8, v7, 30
	s_delay_alu instid0(VALU_DEP_1)
	v_sub_nc_u16 v14, v0, v8
	s_waitcnt lgkmcnt(0)
	s_cmp_eq_u32 s3, 1
	s_cselect_b32 s2, -1, 0
	s_cmp_lg_u32 s3, 1
	s_cselect_b32 s13, -1, 0
	s_lshl_b64 s[4:5], s[8:9], 3
	s_delay_alu instid0(SALU_CYCLE_1)
	s_add_u32 s6, s6, s4
	s_addc_u32 s7, s7, s5
	s_add_u32 s3, s6, 8
	s_addc_u32 s14, s7, 0
	s_add_u32 s4, s10, s4
	s_addc_u32 s5, s11, s5
	s_cmp_eq_u64 s[10:11], 0
	s_load_b64 s[10:11], s[0:1], 0x58
	s_cselect_b32 s5, s14, s5
	s_cselect_b32 s4, s3, s4
	s_load_b64 s[14:15], s[6:7], 0x0
	s_load_b64 s[16:17], s[4:5], 0x0
	s_waitcnt lgkmcnt(0)
	v_cmp_ge_i64_e64 s3, s[14:15], s[16:17]
	s_delay_alu instid0(VALU_DEP_1)
	s_and_b32 vcc_lo, exec_lo, s3
	s_cbranch_vccnz .LBB157_12
; %bb.8:
	v_dual_mov_b32 v6, 0 :: v_dual_and_b32 v5, 0xffff, v7
	v_cmp_gt_u32_e32 vcc_lo, 0x384, v0
	s_clause 0x1
	s_load_b128 s[4:7], s[0:1], 0x38
	s_load_b64 s[18:19], s[0:1], 0x48
	s_sub_u32 s0, s16, s12
	v_subrev_nc_u32_e32 v7, 30, v5
	v_and_b32_e32 v8, 0xffff, v14
	s_subb_u32 s1, s17, 0
	s_delay_alu instid0(VALU_DEP_2) | instskip(SKIP_1) | instid1(VALU_DEP_2)
	v_cndmask_b32_e32 v5, v7, v5, vcc_lo
	v_cmp_lt_u32_e32 vcc_lo, 0x383, v0
	v_cndmask_b32_e64 v5, v8, v5, s2
	v_cndmask_b32_e64 v15, 0, 1, vcc_lo
	s_sub_u32 s2, s14, s12
	s_subb_u32 s3, s15, 0
	s_mul_hi_u32 s16, s2, 0x1c20
	v_lshlrev_b64 v[5:6], 3, v[5:6]
	v_add_co_u32 v9, s14, s14, v15
	s_delay_alu instid0(VALU_DEP_1) | instskip(SKIP_2) | instid1(VALU_DEP_3)
	v_add_co_ci_u32_e64 v10, null, s15, 0, s14
	s_mul_i32 s17, s3, 0x1c20
	s_waitcnt lgkmcnt(0)
	v_add_co_u32 v7, vcc_lo, s18, v5
	v_add_co_ci_u32_e32 v8, vcc_lo, s19, v6, vcc_lo
	v_sub_co_u32 v5, vcc_lo, v9, s12
	v_subrev_co_ci_u32_e32 v6, vcc_lo, 0, v10, vcc_lo
	v_lshlrev_b32_e32 v9, 3, v0
	s_mul_i32 s14, s2, 0x1c20
	s_add_i32 s16, s16, s17
	s_delay_alu instid0(VALU_DEP_2)
	v_lshlrev_b64 v[11:12], 3, v[5:6]
	s_add_u32 s6, s6, s14
	v_mov_b32_e32 v5, 0
	v_mov_b32_e32 v6, 0
	s_addc_u32 s7, s7, s16
	v_add_co_u32 v9, s6, s6, v9
	v_add_co_u32 v11, vcc_lo, s4, v11
	v_add_co_ci_u32_e64 v10, null, s7, 0, s6
	v_add_co_ci_u32_e32 v12, vcc_lo, s5, v12, vcc_lo
	s_set_inst_prefetch_distance 0x1
	s_branch .LBB157_10
	.p2align	6
.LBB157_9:                              ;   in Loop: Header=BB157_10 Depth=1
	s_or_b32 exec_lo, exec_lo, s4
	s_add_u32 s2, s2, 1
	s_addc_u32 s3, s3, 0
	v_add_co_u32 v11, vcc_lo, v11, 8
	v_cmp_lt_i64_e64 s4, s[2:3], s[0:1]
	v_add_co_ci_u32_e32 v12, vcc_lo, 0, v12, vcc_lo
	s_delay_alu instid0(VALU_DEP_2)
	s_and_b32 vcc_lo, exec_lo, s4
	s_cbranch_vccz .LBB157_12
.LBB157_10:                             ; =>This Inner Loop Header: Depth=1
	v_add_co_u32 v16, s4, v15, s2
	s_delay_alu instid0(VALU_DEP_1) | instskip(SKIP_1) | instid1(VALU_DEP_1)
	v_add_co_ci_u32_e64 v17, null, 0, s3, s4
	s_mov_b32 s4, exec_lo
	v_cmpx_gt_i64_e64 s[0:1], v[16:17]
	s_cbranch_execz .LBB157_9
; %bb.11:                               ;   in Loop: Header=BB157_10 Depth=1
	global_load_b64 v[16:17], v[11:12], off
	s_waitcnt vmcnt(0)
	v_sub_co_u32 v18, vcc_lo, v16, s12
	v_subrev_co_ci_u32_e32 v20, vcc_lo, 0, v17, vcc_lo
	s_delay_alu instid0(VALU_DEP_2) | instskip(NEXT) | instid1(VALU_DEP_1)
	v_mad_u64_u32 v[16:17], null, 0xf0, v18, v[7:8]
	v_mad_u64_u32 v[18:19], null, 0xf0, v20, v[17:18]
	s_delay_alu instid0(VALU_DEP_1)
	v_mov_b32_e32 v17, v18
	global_load_b64 v[18:19], v[9:10], off
	global_load_b64 v[16:17], v[16:17], off
	v_add_co_u32 v9, vcc_lo, 0x1c20, v9
	v_add_co_ci_u32_e32 v10, vcc_lo, 0, v10, vcc_lo
	s_waitcnt vmcnt(0)
	v_fma_f64 v[5:6], v[18:19], v[16:17], v[5:6]
	s_branch .LBB157_9
.LBB157_12:
	s_set_inst_prefetch_distance 0x2
	s_and_b32 vcc_lo, exec_lo, s13
	ds_store_b64 v13, v[5:6]
	s_waitcnt lgkmcnt(0)
	s_barrier
	buffer_gl0_inv
	s_cbranch_vccz .LBB157_24
; %bb.13:
	s_mov_b32 s0, exec_lo
	v_cmpx_gt_u16_e32 14, v14
	s_cbranch_execz .LBB157_15
; %bb.14:
	ds_load_2addr_b64 v[7:10], v13 offset1:16
	s_waitcnt lgkmcnt(0)
	v_add_f64 v[7:8], v[9:10], v[7:8]
	ds_store_b64 v13, v[7:8]
.LBB157_15:
	s_or_b32 exec_lo, exec_lo, s0
	s_delay_alu instid0(SALU_CYCLE_1)
	s_mov_b32 s0, exec_lo
	s_waitcnt lgkmcnt(0)
	s_barrier
	buffer_gl0_inv
	v_cmpx_gt_u16_e32 8, v14
	s_cbranch_execz .LBB157_17
; %bb.16:
	ds_load_2addr_b64 v[7:10], v13 offset1:8
	s_waitcnt lgkmcnt(0)
	v_add_f64 v[7:8], v[9:10], v[7:8]
	ds_store_b64 v13, v[7:8]
.LBB157_17:
	s_or_b32 exec_lo, exec_lo, s0
	s_delay_alu instid0(SALU_CYCLE_1)
	s_mov_b32 s0, exec_lo
	s_waitcnt lgkmcnt(0)
	s_barrier
	buffer_gl0_inv
	;; [unrolled: 14-line block ×3, first 2 shown]
	v_cmpx_gt_u16_e32 2, v14
	s_cbranch_execz .LBB157_21
; %bb.20:
	ds_load_2addr_b64 v[7:10], v13 offset1:2
	s_waitcnt lgkmcnt(0)
	v_add_f64 v[7:8], v[9:10], v[7:8]
	ds_store_b64 v13, v[7:8]
.LBB157_21:
	s_or_b32 exec_lo, exec_lo, s0
	s_mov_b32 s1, 0
	s_mov_b32 s0, 0
	s_mov_b32 s2, exec_lo
	s_waitcnt lgkmcnt(0)
	s_barrier
	buffer_gl0_inv
                                        ; implicit-def: $vgpr7
                                        ; implicit-def: $vgpr8
	v_cmpx_gt_u32_e32 30, v0
	s_xor_b32 s2, exec_lo, s2
; %bb.22:
	v_mul_u32_u24_e32 v7, 30, v0
	v_mad_u32_u24 v8, 0xe8, v0, v13
	s_mov_b32 s0, exec_lo
	s_delay_alu instid0(VALU_DEP_2)
	v_or_b32_e32 v7, 1, v7
; %bb.23:
	s_or_b32 exec_lo, exec_lo, s2
	s_delay_alu instid0(SALU_CYCLE_1)
	s_and_b32 vcc_lo, exec_lo, s1
	s_cbranch_vccnz .LBB157_25
	s_branch .LBB157_36
.LBB157_24:
	s_mov_b32 s0, 0
                                        ; implicit-def: $vgpr7
                                        ; implicit-def: $vgpr8
	s_cbranch_execz .LBB157_36
.LBB157_25:
	s_mov_b32 s1, exec_lo
	v_cmpx_gt_u32_e32 0x1a4, v0
	s_cbranch_execz .LBB157_27
; %bb.26:
	ds_load_b64 v[7:8], v13 offset:3840
	ds_load_b64 v[9:10], v13
	s_waitcnt lgkmcnt(0)
	v_add_f64 v[7:8], v[7:8], v[9:10]
	ds_store_b64 v13, v[7:8]
.LBB157_27:
	s_or_b32 exec_lo, exec_lo, s1
	s_delay_alu instid0(SALU_CYCLE_1)
	s_mov_b32 s1, exec_lo
	s_waitcnt lgkmcnt(0)
	s_barrier
	buffer_gl0_inv
	v_cmpx_gt_u32_e32 0xf0, v0
	s_cbranch_execz .LBB157_29
; %bb.28:
	ds_load_2addr_b64 v[7:10], v13 offset1:240
	s_waitcnt lgkmcnt(0)
	v_add_f64 v[7:8], v[9:10], v[7:8]
	ds_store_b64 v13, v[7:8]
.LBB157_29:
	s_or_b32 exec_lo, exec_lo, s1
	s_delay_alu instid0(SALU_CYCLE_1)
	s_mov_b32 s1, exec_lo
	s_waitcnt lgkmcnt(0)
	s_barrier
	buffer_gl0_inv
	v_cmpx_gt_u32_e32 0x78, v0
	s_cbranch_execz .LBB157_31
; %bb.30:
	ds_load_2addr_b64 v[7:10], v13 offset1:120
	s_waitcnt lgkmcnt(0)
	v_add_f64 v[7:8], v[9:10], v[7:8]
	ds_store_b64 v13, v[7:8]
.LBB157_31:
	;; [unrolled: 14-line block ×3, first 2 shown]
	s_or_b32 exec_lo, exec_lo, s1
	s_delay_alu instid0(SALU_CYCLE_1)
	s_mov_b32 s1, exec_lo
	s_waitcnt lgkmcnt(0)
	buffer_gl0_inv
                                        ; implicit-def: $vgpr7
	v_cmpx_gt_u32_e32 30, v0
; %bb.34:
	v_add_nc_u32_e32 v7, 30, v0
	s_or_b32 s0, s0, exec_lo
                                        ; implicit-def: $vgpr5_vgpr6
; %bb.35:
	s_or_b32 exec_lo, exec_lo, s1
	v_mov_b32_e32 v8, v13
.LBB157_36:
	s_and_saveexec_b32 s1, s0
	s_cbranch_execnz .LBB157_39
; %bb.37:
	s_or_b32 exec_lo, exec_lo, s1
	v_cmp_gt_u32_e32 vcc_lo, 30, v0
	s_and_b32 exec_lo, exec_lo, vcc_lo
	s_cbranch_execnz .LBB157_40
.LBB157_38:
	s_nop 0
	s_sendmsg sendmsg(MSG_DEALLOC_VGPRS)
	s_endpgm
.LBB157_39:
	v_lshlrev_b32_e32 v7, 3, v7
	ds_load_b64 v[5:6], v8
	ds_load_b64 v[7:8], v7
	s_waitcnt lgkmcnt(0)
	v_add_f64 v[5:6], v[5:6], v[7:8]
	s_or_b32 exec_lo, exec_lo, s1
	v_cmp_gt_u32_e32 vcc_lo, 30, v0
	s_and_b32 exec_lo, exec_lo, vcc_lo
	s_cbranch_execz .LBB157_38
.LBB157_40:
	s_delay_alu instid0(VALU_DEP_2)
	v_mul_f64 v[3:4], v[3:4], v[5:6]
	s_mul_i32 s0, s9, 0xf0
	s_mul_hi_u32 s1, s8, 0xf0
	s_mul_i32 s2, s8, 0xf0
	s_mov_b32 s3, exec_lo
	v_cmpx_eq_f64_e32 0, v[1:2]
	s_xor_b32 s3, exec_lo, s3
	s_cbranch_execz .LBB157_42
; %bb.41:
	v_lshlrev_b32_e32 v0, 3, v0
	s_add_i32 s5, s1, s0
	s_add_u32 s4, s10, s2
	s_addc_u32 s5, s11, s5
                                        ; implicit-def: $vgpr1_vgpr2
	global_store_b64 v0, v[3:4], s[4:5]
                                        ; implicit-def: $vgpr0
                                        ; implicit-def: $vgpr3_vgpr4
.LBB157_42:
	s_and_not1_saveexec_b32 s3, s3
	s_cbranch_execz .LBB157_38
; %bb.43:
	v_lshlrev_b32_e32 v7, 3, v0
	s_add_i32 s1, s1, s0
	s_add_u32 s0, s10, s2
	s_addc_u32 s1, s11, s1
	global_load_b64 v[5:6], v7, s[0:1]
	s_waitcnt vmcnt(0)
	v_fma_f64 v[0:1], v[1:2], v[5:6], v[3:4]
	global_store_b64 v7, v[0:1], s[0:1]
	s_nop 0
	s_sendmsg sendmsg(MSG_DEALLOC_VGPRS)
	s_endpgm
	.section	.rodata,"a",@progbits
	.p2align	6, 0x0
	.amdhsa_kernel _ZN9rocsparseL20bsrxmvn_17_32_kernelILj30EdlldddEEvT2_20rocsparse_direction_NS_24const_host_device_scalarIT0_EES1_PKS1_PKT1_SA_S7_PKT3_PKT4_S5_PT5_21rocsparse_index_base_b
		.amdhsa_group_segment_fixed_size 7200
		.amdhsa_private_segment_fixed_size 0
		.amdhsa_kernarg_size 104
		.amdhsa_user_sgpr_count 15
		.amdhsa_user_sgpr_dispatch_ptr 0
		.amdhsa_user_sgpr_queue_ptr 0
		.amdhsa_user_sgpr_kernarg_segment_ptr 1
		.amdhsa_user_sgpr_dispatch_id 0
		.amdhsa_user_sgpr_private_segment_size 0
		.amdhsa_wavefront_size32 1
		.amdhsa_uses_dynamic_stack 0
		.amdhsa_enable_private_segment 0
		.amdhsa_system_sgpr_workgroup_id_x 1
		.amdhsa_system_sgpr_workgroup_id_y 0
		.amdhsa_system_sgpr_workgroup_id_z 0
		.amdhsa_system_sgpr_workgroup_info 0
		.amdhsa_system_vgpr_workitem_id 0
		.amdhsa_next_free_vgpr 21
		.amdhsa_next_free_sgpr 20
		.amdhsa_reserve_vcc 1
		.amdhsa_float_round_mode_32 0
		.amdhsa_float_round_mode_16_64 0
		.amdhsa_float_denorm_mode_32 3
		.amdhsa_float_denorm_mode_16_64 3
		.amdhsa_dx10_clamp 1
		.amdhsa_ieee_mode 1
		.amdhsa_fp16_overflow 0
		.amdhsa_workgroup_processor_mode 1
		.amdhsa_memory_ordered 1
		.amdhsa_forward_progress 0
		.amdhsa_shared_vgpr_count 0
		.amdhsa_exception_fp_ieee_invalid_op 0
		.amdhsa_exception_fp_denorm_src 0
		.amdhsa_exception_fp_ieee_div_zero 0
		.amdhsa_exception_fp_ieee_overflow 0
		.amdhsa_exception_fp_ieee_underflow 0
		.amdhsa_exception_fp_ieee_inexact 0
		.amdhsa_exception_int_div_zero 0
	.end_amdhsa_kernel
	.section	.text._ZN9rocsparseL20bsrxmvn_17_32_kernelILj30EdlldddEEvT2_20rocsparse_direction_NS_24const_host_device_scalarIT0_EES1_PKS1_PKT1_SA_S7_PKT3_PKT4_S5_PT5_21rocsparse_index_base_b,"axG",@progbits,_ZN9rocsparseL20bsrxmvn_17_32_kernelILj30EdlldddEEvT2_20rocsparse_direction_NS_24const_host_device_scalarIT0_EES1_PKS1_PKT1_SA_S7_PKT3_PKT4_S5_PT5_21rocsparse_index_base_b,comdat
.Lfunc_end157:
	.size	_ZN9rocsparseL20bsrxmvn_17_32_kernelILj30EdlldddEEvT2_20rocsparse_direction_NS_24const_host_device_scalarIT0_EES1_PKS1_PKT1_SA_S7_PKT3_PKT4_S5_PT5_21rocsparse_index_base_b, .Lfunc_end157-_ZN9rocsparseL20bsrxmvn_17_32_kernelILj30EdlldddEEvT2_20rocsparse_direction_NS_24const_host_device_scalarIT0_EES1_PKS1_PKT1_SA_S7_PKT3_PKT4_S5_PT5_21rocsparse_index_base_b
                                        ; -- End function
	.section	.AMDGPU.csdata,"",@progbits
; Kernel info:
; codeLenInByte = 1712
; NumSgprs: 22
; NumVgprs: 21
; ScratchSize: 0
; MemoryBound: 1
; FloatMode: 240
; IeeeMode: 1
; LDSByteSize: 7200 bytes/workgroup (compile time only)
; SGPRBlocks: 2
; VGPRBlocks: 2
; NumSGPRsForWavesPerEU: 22
; NumVGPRsForWavesPerEU: 21
; Occupancy: 15
; WaveLimiterHint : 1
; COMPUTE_PGM_RSRC2:SCRATCH_EN: 0
; COMPUTE_PGM_RSRC2:USER_SGPR: 15
; COMPUTE_PGM_RSRC2:TRAP_HANDLER: 0
; COMPUTE_PGM_RSRC2:TGID_X_EN: 1
; COMPUTE_PGM_RSRC2:TGID_Y_EN: 0
; COMPUTE_PGM_RSRC2:TGID_Z_EN: 0
; COMPUTE_PGM_RSRC2:TIDIG_COMP_CNT: 0
	.section	.text._ZN9rocsparseL20bsrxmvn_17_32_kernelILj31EdlldddEEvT2_20rocsparse_direction_NS_24const_host_device_scalarIT0_EES1_PKS1_PKT1_SA_S7_PKT3_PKT4_S5_PT5_21rocsparse_index_base_b,"axG",@progbits,_ZN9rocsparseL20bsrxmvn_17_32_kernelILj31EdlldddEEvT2_20rocsparse_direction_NS_24const_host_device_scalarIT0_EES1_PKS1_PKT1_SA_S7_PKT3_PKT4_S5_PT5_21rocsparse_index_base_b,comdat
	.globl	_ZN9rocsparseL20bsrxmvn_17_32_kernelILj31EdlldddEEvT2_20rocsparse_direction_NS_24const_host_device_scalarIT0_EES1_PKS1_PKT1_SA_S7_PKT3_PKT4_S5_PT5_21rocsparse_index_base_b ; -- Begin function _ZN9rocsparseL20bsrxmvn_17_32_kernelILj31EdlldddEEvT2_20rocsparse_direction_NS_24const_host_device_scalarIT0_EES1_PKS1_PKT1_SA_S7_PKT3_PKT4_S5_PT5_21rocsparse_index_base_b
	.p2align	8
	.type	_ZN9rocsparseL20bsrxmvn_17_32_kernelILj31EdlldddEEvT2_20rocsparse_direction_NS_24const_host_device_scalarIT0_EES1_PKS1_PKT1_SA_S7_PKT3_PKT4_S5_PT5_21rocsparse_index_base_b,@function
_ZN9rocsparseL20bsrxmvn_17_32_kernelILj31EdlldddEEvT2_20rocsparse_direction_NS_24const_host_device_scalarIT0_EES1_PKS1_PKT1_SA_S7_PKT3_PKT4_S5_PT5_21rocsparse_index_base_b: ; @_ZN9rocsparseL20bsrxmvn_17_32_kernelILj31EdlldddEEvT2_20rocsparse_direction_NS_24const_host_device_scalarIT0_EES1_PKS1_PKT1_SA_S7_PKT3_PKT4_S5_PT5_21rocsparse_index_base_b
; %bb.0:
	s_clause 0x2
	s_load_b64 s[12:13], s[0:1], 0x60
	s_load_b64 s[4:5], s[0:1], 0x10
	;; [unrolled: 1-line block ×3, first 2 shown]
	s_mov_b32 s8, s15
	s_waitcnt lgkmcnt(0)
	s_bitcmp1_b32 s13, 0
	v_dual_mov_b32 v3, s4 :: v_dual_mov_b32 v4, s5
	s_cselect_b32 s6, -1, 0
	s_delay_alu instid0(SALU_CYCLE_1)
	s_and_b32 vcc_lo, exec_lo, s6
	s_xor_b32 s6, s6, -1
	s_cbranch_vccnz .LBB158_2
; %bb.1:
	v_dual_mov_b32 v1, s4 :: v_dual_mov_b32 v2, s5
	flat_load_b64 v[3:4], v[1:2]
.LBB158_2:
	v_dual_mov_b32 v1, s2 :: v_dual_mov_b32 v2, s3
	s_and_not1_b32 vcc_lo, exec_lo, s6
	s_cbranch_vccnz .LBB158_4
; %bb.3:
	v_dual_mov_b32 v1, s2 :: v_dual_mov_b32 v2, s3
	flat_load_b64 v[1:2], v[1:2]
.LBB158_4:
	s_waitcnt vmcnt(0) lgkmcnt(0)
	v_cmp_neq_f64_e32 vcc_lo, 0, v[3:4]
	v_cmp_neq_f64_e64 s2, 1.0, v[1:2]
	s_delay_alu instid0(VALU_DEP_1) | instskip(NEXT) | instid1(SALU_CYCLE_1)
	s_or_b32 s2, vcc_lo, s2
	s_and_saveexec_b32 s3, s2
	s_cbranch_execz .LBB158_38
; %bb.5:
	s_clause 0x1
	s_load_b128 s[4:7], s[0:1], 0x20
	s_load_b64 s[10:11], s[0:1], 0x30
	s_mov_b32 s9, 0
	s_waitcnt lgkmcnt(0)
	s_cmp_eq_u64 s[4:5], 0
	s_cbranch_scc1 .LBB158_7
; %bb.6:
	s_lshl_b64 s[2:3], s[8:9], 3
	s_delay_alu instid0(SALU_CYCLE_1)
	s_add_u32 s2, s4, s2
	s_addc_u32 s3, s5, s3
	s_load_b64 s[2:3], s[2:3], 0x0
	s_waitcnt lgkmcnt(0)
	s_sub_u32 s8, s2, s12
	s_subb_u32 s9, s3, 0
.LBB158_7:
	s_load_b32 s3, s[0:1], 0x8
	v_mul_u32_u24_e32 v5, 0x843, v0
	v_lshlrev_b32_e32 v13, 3, v0
	s_delay_alu instid0(VALU_DEP_2) | instskip(SKIP_2) | instid1(VALU_DEP_3)
	v_lshrrev_b32_e32 v7, 16, v5
	v_mov_b32_e32 v5, 0
	v_mov_b32_e32 v6, 0
	v_mul_lo_u16 v8, v7, 31
	s_delay_alu instid0(VALU_DEP_1)
	v_sub_nc_u16 v14, v0, v8
	s_waitcnt lgkmcnt(0)
	s_cmp_eq_u32 s3, 1
	s_cselect_b32 s2, -1, 0
	s_cmp_lg_u32 s3, 1
	s_cselect_b32 s13, -1, 0
	s_lshl_b64 s[4:5], s[8:9], 3
	s_delay_alu instid0(SALU_CYCLE_1)
	s_add_u32 s6, s6, s4
	s_addc_u32 s7, s7, s5
	s_add_u32 s3, s6, 8
	s_addc_u32 s14, s7, 0
	;; [unrolled: 2-line block ×3, first 2 shown]
	s_cmp_eq_u64 s[10:11], 0
	s_load_b64 s[10:11], s[0:1], 0x58
	s_cselect_b32 s5, s14, s5
	s_cselect_b32 s4, s3, s4
	s_load_b64 s[14:15], s[6:7], 0x0
	s_load_b64 s[16:17], s[4:5], 0x0
	s_waitcnt lgkmcnt(0)
	v_cmp_ge_i64_e64 s3, s[14:15], s[16:17]
	s_delay_alu instid0(VALU_DEP_1)
	s_and_b32 vcc_lo, exec_lo, s3
	s_cbranch_vccnz .LBB158_12
; %bb.8:
	v_dual_mov_b32 v6, 0 :: v_dual_and_b32 v5, 0xffff, v7
	v_cmp_gt_u32_e32 vcc_lo, 0x3c1, v0
	s_clause 0x1
	s_load_b128 s[4:7], s[0:1], 0x38
	s_load_b64 s[18:19], s[0:1], 0x48
	s_sub_u32 s0, s16, s12
	v_subrev_nc_u32_e32 v7, 31, v5
	v_and_b32_e32 v8, 0xffff, v14
	s_subb_u32 s1, s17, 0
	s_delay_alu instid0(VALU_DEP_2) | instskip(SKIP_1) | instid1(VALU_DEP_2)
	v_cndmask_b32_e32 v5, v7, v5, vcc_lo
	v_cmp_lt_u32_e32 vcc_lo, 0x3c0, v0
	v_cndmask_b32_e64 v5, v8, v5, s2
	v_cndmask_b32_e64 v15, 0, 1, vcc_lo
	s_sub_u32 s2, s14, s12
	s_subb_u32 s3, s15, 0
	s_mul_hi_u32 s16, s2, 0x1e08
	v_lshlrev_b64 v[5:6], 3, v[5:6]
	v_add_co_u32 v9, s14, s14, v15
	s_delay_alu instid0(VALU_DEP_1) | instskip(SKIP_2) | instid1(VALU_DEP_3)
	v_add_co_ci_u32_e64 v10, null, s15, 0, s14
	s_mul_i32 s17, s3, 0x1e08
	s_waitcnt lgkmcnt(0)
	v_add_co_u32 v7, vcc_lo, s18, v5
	v_add_co_ci_u32_e32 v8, vcc_lo, s19, v6, vcc_lo
	v_sub_co_u32 v5, vcc_lo, v9, s12
	v_subrev_co_ci_u32_e32 v6, vcc_lo, 0, v10, vcc_lo
	v_lshlrev_b32_e32 v9, 3, v0
	s_mul_i32 s14, s2, 0x1e08
	s_add_i32 s16, s16, s17
	s_delay_alu instid0(VALU_DEP_2)
	v_lshlrev_b64 v[11:12], 3, v[5:6]
	s_add_u32 s6, s6, s14
	v_mov_b32_e32 v5, 0
	v_mov_b32_e32 v6, 0
	s_addc_u32 s7, s7, s16
	v_add_co_u32 v9, s6, s6, v9
	v_add_co_u32 v11, vcc_lo, s4, v11
	v_add_co_ci_u32_e64 v10, null, s7, 0, s6
	v_add_co_ci_u32_e32 v12, vcc_lo, s5, v12, vcc_lo
	s_set_inst_prefetch_distance 0x1
	s_branch .LBB158_10
	.p2align	6
.LBB158_9:                              ;   in Loop: Header=BB158_10 Depth=1
	s_or_b32 exec_lo, exec_lo, s4
	s_add_u32 s2, s2, 1
	s_addc_u32 s3, s3, 0
	v_add_co_u32 v11, vcc_lo, v11, 8
	v_cmp_lt_i64_e64 s4, s[2:3], s[0:1]
	v_add_co_ci_u32_e32 v12, vcc_lo, 0, v12, vcc_lo
	s_delay_alu instid0(VALU_DEP_2)
	s_and_b32 vcc_lo, exec_lo, s4
	s_cbranch_vccz .LBB158_12
.LBB158_10:                             ; =>This Inner Loop Header: Depth=1
	v_add_co_u32 v16, s4, v15, s2
	s_delay_alu instid0(VALU_DEP_1) | instskip(SKIP_1) | instid1(VALU_DEP_1)
	v_add_co_ci_u32_e64 v17, null, 0, s3, s4
	s_mov_b32 s4, exec_lo
	v_cmpx_gt_i64_e64 s[0:1], v[16:17]
	s_cbranch_execz .LBB158_9
; %bb.11:                               ;   in Loop: Header=BB158_10 Depth=1
	global_load_b64 v[16:17], v[11:12], off
	s_waitcnt vmcnt(0)
	v_sub_co_u32 v18, vcc_lo, v16, s12
	v_subrev_co_ci_u32_e32 v20, vcc_lo, 0, v17, vcc_lo
	s_delay_alu instid0(VALU_DEP_2) | instskip(NEXT) | instid1(VALU_DEP_1)
	v_mad_u64_u32 v[16:17], null, 0xf8, v18, v[7:8]
	v_mad_u64_u32 v[18:19], null, 0xf8, v20, v[17:18]
	s_delay_alu instid0(VALU_DEP_1)
	v_mov_b32_e32 v17, v18
	global_load_b64 v[18:19], v[9:10], off
	global_load_b64 v[16:17], v[16:17], off
	v_add_co_u32 v9, vcc_lo, 0x1e08, v9
	v_add_co_ci_u32_e32 v10, vcc_lo, 0, v10, vcc_lo
	s_waitcnt vmcnt(0)
	v_fma_f64 v[5:6], v[18:19], v[16:17], v[5:6]
	s_branch .LBB158_9
.LBB158_12:
	s_set_inst_prefetch_distance 0x2
	s_and_b32 vcc_lo, exec_lo, s13
	ds_store_b64 v13, v[5:6]
	s_waitcnt lgkmcnt(0)
	s_barrier
	buffer_gl0_inv
	s_cbranch_vccz .LBB158_24
; %bb.13:
	s_mov_b32 s0, exec_lo
	v_cmpx_gt_u16_e32 15, v14
	s_cbranch_execz .LBB158_15
; %bb.14:
	ds_load_2addr_b64 v[7:10], v13 offset1:16
	s_waitcnt lgkmcnt(0)
	v_add_f64 v[7:8], v[9:10], v[7:8]
	ds_store_b64 v13, v[7:8]
.LBB158_15:
	s_or_b32 exec_lo, exec_lo, s0
	s_delay_alu instid0(SALU_CYCLE_1)
	s_mov_b32 s0, exec_lo
	s_waitcnt lgkmcnt(0)
	s_barrier
	buffer_gl0_inv
	v_cmpx_gt_u16_e32 8, v14
	s_cbranch_execz .LBB158_17
; %bb.16:
	ds_load_2addr_b64 v[7:10], v13 offset1:8
	s_waitcnt lgkmcnt(0)
	v_add_f64 v[7:8], v[9:10], v[7:8]
	ds_store_b64 v13, v[7:8]
.LBB158_17:
	s_or_b32 exec_lo, exec_lo, s0
	s_delay_alu instid0(SALU_CYCLE_1)
	s_mov_b32 s0, exec_lo
	s_waitcnt lgkmcnt(0)
	s_barrier
	buffer_gl0_inv
	;; [unrolled: 14-line block ×3, first 2 shown]
	v_cmpx_gt_u16_e32 2, v14
	s_cbranch_execz .LBB158_21
; %bb.20:
	ds_load_2addr_b64 v[7:10], v13 offset1:2
	s_waitcnt lgkmcnt(0)
	v_add_f64 v[7:8], v[9:10], v[7:8]
	ds_store_b64 v13, v[7:8]
.LBB158_21:
	s_or_b32 exec_lo, exec_lo, s0
	s_mov_b32 s1, 0
	s_mov_b32 s0, 0
	s_mov_b32 s2, exec_lo
	s_waitcnt lgkmcnt(0)
	s_barrier
	buffer_gl0_inv
                                        ; implicit-def: $vgpr7
                                        ; implicit-def: $vgpr8
	v_cmpx_gt_u32_e32 31, v0
	s_xor_b32 s2, exec_lo, s2
; %bb.22:
	v_mad_u32_u24 v7, v0, 31, 1
	v_mad_u32_u24 v8, 0xf0, v0, v13
	s_mov_b32 s0, exec_lo
; %bb.23:
	s_or_b32 exec_lo, exec_lo, s2
	s_delay_alu instid0(SALU_CYCLE_1)
	s_and_b32 vcc_lo, exec_lo, s1
	s_cbranch_vccnz .LBB158_25
	s_branch .LBB158_36
.LBB158_24:
	s_mov_b32 s0, 0
                                        ; implicit-def: $vgpr7
                                        ; implicit-def: $vgpr8
	s_cbranch_execz .LBB158_36
.LBB158_25:
	s_mov_b32 s1, exec_lo
	v_cmpx_gt_u32_e32 0x1d1, v0
	s_cbranch_execz .LBB158_27
; %bb.26:
	ds_load_b64 v[7:8], v13 offset:3968
	ds_load_b64 v[9:10], v13
	s_waitcnt lgkmcnt(0)
	v_add_f64 v[7:8], v[7:8], v[9:10]
	ds_store_b64 v13, v[7:8]
.LBB158_27:
	s_or_b32 exec_lo, exec_lo, s1
	s_delay_alu instid0(SALU_CYCLE_1)
	s_mov_b32 s1, exec_lo
	s_waitcnt lgkmcnt(0)
	s_barrier
	buffer_gl0_inv
	v_cmpx_gt_u32_e32 0xf8, v0
	s_cbranch_execz .LBB158_29
; %bb.28:
	ds_load_2addr_b64 v[7:10], v13 offset1:248
	s_waitcnt lgkmcnt(0)
	v_add_f64 v[7:8], v[9:10], v[7:8]
	ds_store_b64 v13, v[7:8]
.LBB158_29:
	s_or_b32 exec_lo, exec_lo, s1
	s_delay_alu instid0(SALU_CYCLE_1)
	s_mov_b32 s1, exec_lo
	s_waitcnt lgkmcnt(0)
	s_barrier
	buffer_gl0_inv
	v_cmpx_gt_u32_e32 0x7c, v0
	s_cbranch_execz .LBB158_31
; %bb.30:
	ds_load_2addr_b64 v[7:10], v13 offset1:124
	s_waitcnt lgkmcnt(0)
	v_add_f64 v[7:8], v[9:10], v[7:8]
	ds_store_b64 v13, v[7:8]
.LBB158_31:
	;; [unrolled: 14-line block ×3, first 2 shown]
	s_or_b32 exec_lo, exec_lo, s1
	s_delay_alu instid0(SALU_CYCLE_1)
	s_mov_b32 s1, exec_lo
	s_waitcnt lgkmcnt(0)
	buffer_gl0_inv
                                        ; implicit-def: $vgpr7
	v_cmpx_gt_u32_e32 31, v0
; %bb.34:
	v_add_nc_u32_e32 v7, 31, v0
	s_or_b32 s0, s0, exec_lo
                                        ; implicit-def: $vgpr5_vgpr6
; %bb.35:
	s_or_b32 exec_lo, exec_lo, s1
	v_mov_b32_e32 v8, v13
.LBB158_36:
	s_and_saveexec_b32 s1, s0
	s_cbranch_execnz .LBB158_39
; %bb.37:
	s_or_b32 exec_lo, exec_lo, s1
	v_cmp_gt_u32_e32 vcc_lo, 31, v0
	s_and_b32 exec_lo, exec_lo, vcc_lo
	s_cbranch_execnz .LBB158_40
.LBB158_38:
	s_nop 0
	s_sendmsg sendmsg(MSG_DEALLOC_VGPRS)
	s_endpgm
.LBB158_39:
	v_lshlrev_b32_e32 v7, 3, v7
	ds_load_b64 v[5:6], v8
	ds_load_b64 v[7:8], v7
	s_waitcnt lgkmcnt(0)
	v_add_f64 v[5:6], v[5:6], v[7:8]
	s_or_b32 exec_lo, exec_lo, s1
	v_cmp_gt_u32_e32 vcc_lo, 31, v0
	s_and_b32 exec_lo, exec_lo, vcc_lo
	s_cbranch_execz .LBB158_38
.LBB158_40:
	s_delay_alu instid0(VALU_DEP_2)
	v_mul_f64 v[3:4], v[3:4], v[5:6]
	s_mul_i32 s0, s9, 0xf8
	s_mul_hi_u32 s1, s8, 0xf8
	s_mul_i32 s2, s8, 0xf8
	s_mov_b32 s3, exec_lo
	v_cmpx_eq_f64_e32 0, v[1:2]
	s_xor_b32 s3, exec_lo, s3
	s_cbranch_execz .LBB158_42
; %bb.41:
	v_lshlrev_b32_e32 v0, 3, v0
	s_add_i32 s5, s1, s0
	s_add_u32 s4, s10, s2
	s_addc_u32 s5, s11, s5
                                        ; implicit-def: $vgpr1_vgpr2
	global_store_b64 v0, v[3:4], s[4:5]
                                        ; implicit-def: $vgpr0
                                        ; implicit-def: $vgpr3_vgpr4
.LBB158_42:
	s_and_not1_saveexec_b32 s3, s3
	s_cbranch_execz .LBB158_38
; %bb.43:
	v_lshlrev_b32_e32 v7, 3, v0
	s_add_i32 s1, s1, s0
	s_add_u32 s0, s10, s2
	s_addc_u32 s1, s11, s1
	global_load_b64 v[5:6], v7, s[0:1]
	s_waitcnt vmcnt(0)
	v_fma_f64 v[0:1], v[1:2], v[5:6], v[3:4]
	global_store_b64 v7, v[0:1], s[0:1]
	s_nop 0
	s_sendmsg sendmsg(MSG_DEALLOC_VGPRS)
	s_endpgm
	.section	.rodata,"a",@progbits
	.p2align	6, 0x0
	.amdhsa_kernel _ZN9rocsparseL20bsrxmvn_17_32_kernelILj31EdlldddEEvT2_20rocsparse_direction_NS_24const_host_device_scalarIT0_EES1_PKS1_PKT1_SA_S7_PKT3_PKT4_S5_PT5_21rocsparse_index_base_b
		.amdhsa_group_segment_fixed_size 7688
		.amdhsa_private_segment_fixed_size 0
		.amdhsa_kernarg_size 104
		.amdhsa_user_sgpr_count 15
		.amdhsa_user_sgpr_dispatch_ptr 0
		.amdhsa_user_sgpr_queue_ptr 0
		.amdhsa_user_sgpr_kernarg_segment_ptr 1
		.amdhsa_user_sgpr_dispatch_id 0
		.amdhsa_user_sgpr_private_segment_size 0
		.amdhsa_wavefront_size32 1
		.amdhsa_uses_dynamic_stack 0
		.amdhsa_enable_private_segment 0
		.amdhsa_system_sgpr_workgroup_id_x 1
		.amdhsa_system_sgpr_workgroup_id_y 0
		.amdhsa_system_sgpr_workgroup_id_z 0
		.amdhsa_system_sgpr_workgroup_info 0
		.amdhsa_system_vgpr_workitem_id 0
		.amdhsa_next_free_vgpr 21
		.amdhsa_next_free_sgpr 20
		.amdhsa_reserve_vcc 1
		.amdhsa_float_round_mode_32 0
		.amdhsa_float_round_mode_16_64 0
		.amdhsa_float_denorm_mode_32 3
		.amdhsa_float_denorm_mode_16_64 3
		.amdhsa_dx10_clamp 1
		.amdhsa_ieee_mode 1
		.amdhsa_fp16_overflow 0
		.amdhsa_workgroup_processor_mode 1
		.amdhsa_memory_ordered 1
		.amdhsa_forward_progress 0
		.amdhsa_shared_vgpr_count 0
		.amdhsa_exception_fp_ieee_invalid_op 0
		.amdhsa_exception_fp_denorm_src 0
		.amdhsa_exception_fp_ieee_div_zero 0
		.amdhsa_exception_fp_ieee_overflow 0
		.amdhsa_exception_fp_ieee_underflow 0
		.amdhsa_exception_fp_ieee_inexact 0
		.amdhsa_exception_int_div_zero 0
	.end_amdhsa_kernel
	.section	.text._ZN9rocsparseL20bsrxmvn_17_32_kernelILj31EdlldddEEvT2_20rocsparse_direction_NS_24const_host_device_scalarIT0_EES1_PKS1_PKT1_SA_S7_PKT3_PKT4_S5_PT5_21rocsparse_index_base_b,"axG",@progbits,_ZN9rocsparseL20bsrxmvn_17_32_kernelILj31EdlldddEEvT2_20rocsparse_direction_NS_24const_host_device_scalarIT0_EES1_PKS1_PKT1_SA_S7_PKT3_PKT4_S5_PT5_21rocsparse_index_base_b,comdat
.Lfunc_end158:
	.size	_ZN9rocsparseL20bsrxmvn_17_32_kernelILj31EdlldddEEvT2_20rocsparse_direction_NS_24const_host_device_scalarIT0_EES1_PKS1_PKT1_SA_S7_PKT3_PKT4_S5_PT5_21rocsparse_index_base_b, .Lfunc_end158-_ZN9rocsparseL20bsrxmvn_17_32_kernelILj31EdlldddEEvT2_20rocsparse_direction_NS_24const_host_device_scalarIT0_EES1_PKS1_PKT1_SA_S7_PKT3_PKT4_S5_PT5_21rocsparse_index_base_b
                                        ; -- End function
	.section	.AMDGPU.csdata,"",@progbits
; Kernel info:
; codeLenInByte = 1708
; NumSgprs: 22
; NumVgprs: 21
; ScratchSize: 0
; MemoryBound: 1
; FloatMode: 240
; IeeeMode: 1
; LDSByteSize: 7688 bytes/workgroup (compile time only)
; SGPRBlocks: 2
; VGPRBlocks: 2
; NumSGPRsForWavesPerEU: 22
; NumVGPRsForWavesPerEU: 21
; Occupancy: 16
; WaveLimiterHint : 1
; COMPUTE_PGM_RSRC2:SCRATCH_EN: 0
; COMPUTE_PGM_RSRC2:USER_SGPR: 15
; COMPUTE_PGM_RSRC2:TRAP_HANDLER: 0
; COMPUTE_PGM_RSRC2:TGID_X_EN: 1
; COMPUTE_PGM_RSRC2:TGID_Y_EN: 0
; COMPUTE_PGM_RSRC2:TGID_Z_EN: 0
; COMPUTE_PGM_RSRC2:TIDIG_COMP_CNT: 0
	.section	.text._ZN9rocsparseL20bsrxmvn_17_32_kernelILj32EdlldddEEvT2_20rocsparse_direction_NS_24const_host_device_scalarIT0_EES1_PKS1_PKT1_SA_S7_PKT3_PKT4_S5_PT5_21rocsparse_index_base_b,"axG",@progbits,_ZN9rocsparseL20bsrxmvn_17_32_kernelILj32EdlldddEEvT2_20rocsparse_direction_NS_24const_host_device_scalarIT0_EES1_PKS1_PKT1_SA_S7_PKT3_PKT4_S5_PT5_21rocsparse_index_base_b,comdat
	.globl	_ZN9rocsparseL20bsrxmvn_17_32_kernelILj32EdlldddEEvT2_20rocsparse_direction_NS_24const_host_device_scalarIT0_EES1_PKS1_PKT1_SA_S7_PKT3_PKT4_S5_PT5_21rocsparse_index_base_b ; -- Begin function _ZN9rocsparseL20bsrxmvn_17_32_kernelILj32EdlldddEEvT2_20rocsparse_direction_NS_24const_host_device_scalarIT0_EES1_PKS1_PKT1_SA_S7_PKT3_PKT4_S5_PT5_21rocsparse_index_base_b
	.p2align	8
	.type	_ZN9rocsparseL20bsrxmvn_17_32_kernelILj32EdlldddEEvT2_20rocsparse_direction_NS_24const_host_device_scalarIT0_EES1_PKS1_PKT1_SA_S7_PKT3_PKT4_S5_PT5_21rocsparse_index_base_b,@function
_ZN9rocsparseL20bsrxmvn_17_32_kernelILj32EdlldddEEvT2_20rocsparse_direction_NS_24const_host_device_scalarIT0_EES1_PKS1_PKT1_SA_S7_PKT3_PKT4_S5_PT5_21rocsparse_index_base_b: ; @_ZN9rocsparseL20bsrxmvn_17_32_kernelILj32EdlldddEEvT2_20rocsparse_direction_NS_24const_host_device_scalarIT0_EES1_PKS1_PKT1_SA_S7_PKT3_PKT4_S5_PT5_21rocsparse_index_base_b
; %bb.0:
	s_clause 0x2
	s_load_b64 s[10:11], s[0:1], 0x60
	s_load_b64 s[4:5], s[0:1], 0x10
	;; [unrolled: 1-line block ×3, first 2 shown]
	s_mov_b32 s8, s15
	s_waitcnt lgkmcnt(0)
	s_bitcmp1_b32 s11, 0
	v_dual_mov_b32 v3, s4 :: v_dual_mov_b32 v4, s5
	s_cselect_b32 s6, -1, 0
	s_delay_alu instid0(SALU_CYCLE_1)
	s_and_b32 vcc_lo, exec_lo, s6
	s_xor_b32 s6, s6, -1
	s_cbranch_vccnz .LBB159_2
; %bb.1:
	v_dual_mov_b32 v1, s4 :: v_dual_mov_b32 v2, s5
	flat_load_b64 v[3:4], v[1:2]
.LBB159_2:
	v_dual_mov_b32 v1, s2 :: v_dual_mov_b32 v2, s3
	s_and_not1_b32 vcc_lo, exec_lo, s6
	s_cbranch_vccnz .LBB159_4
; %bb.3:
	v_dual_mov_b32 v1, s2 :: v_dual_mov_b32 v2, s3
	flat_load_b64 v[1:2], v[1:2]
.LBB159_4:
	s_waitcnt vmcnt(0) lgkmcnt(0)
	v_cmp_neq_f64_e32 vcc_lo, 0, v[3:4]
	v_cmp_neq_f64_e64 s2, 1.0, v[1:2]
	s_delay_alu instid0(VALU_DEP_1) | instskip(NEXT) | instid1(SALU_CYCLE_1)
	s_or_b32 s2, vcc_lo, s2
	s_and_saveexec_b32 s3, s2
	s_cbranch_execz .LBB159_36
; %bb.5:
	s_clause 0x1
	s_load_b128 s[4:7], s[0:1], 0x20
	s_load_b64 s[12:13], s[0:1], 0x30
	s_mov_b32 s9, 0
	s_delay_alu instid0(SALU_CYCLE_1)
	s_mov_b32 s11, s9
	s_waitcnt lgkmcnt(0)
	s_cmp_eq_u64 s[4:5], 0
	s_cbranch_scc1 .LBB159_7
; %bb.6:
	s_lshl_b64 s[2:3], s[8:9], 3
	s_delay_alu instid0(SALU_CYCLE_1)
	s_add_u32 s2, s4, s2
	s_addc_u32 s3, s5, s3
	s_load_b64 s[2:3], s[2:3], 0x0
	s_waitcnt lgkmcnt(0)
	s_sub_u32 s8, s2, s10
	s_subb_u32 s9, s3, 0
.LBB159_7:
	s_load_b32 s3, s[0:1], 0x8
	v_mov_b32_e32 v5, 0
	v_dual_mov_b32 v6, 0 :: v_dual_and_b32 v9, 31, v0
	s_waitcnt lgkmcnt(0)
	s_cmp_eq_u32 s3, 1
	s_cselect_b32 s2, -1, 0
	s_cmp_lg_u32 s3, 1
	s_cselect_b32 s14, -1, 0
	s_lshl_b64 s[4:5], s[8:9], 3
	s_delay_alu instid0(SALU_CYCLE_1)
	s_add_u32 s6, s6, s4
	s_addc_u32 s7, s7, s5
	s_add_u32 s3, s6, 8
	s_addc_u32 s15, s7, 0
	;; [unrolled: 2-line block ×3, first 2 shown]
	s_cmp_eq_u64 s[12:13], 0
	s_cselect_b32 s5, s15, s5
	s_cselect_b32 s4, s3, s4
	s_load_b64 s[6:7], s[6:7], 0x0
	s_load_b64 s[12:13], s[4:5], 0x0
	s_load_b64 s[4:5], s[0:1], 0x58
	s_waitcnt lgkmcnt(0)
	v_cmp_ge_i64_e64 s3, s[6:7], s[12:13]
	s_delay_alu instid0(VALU_DEP_1)
	s_and_b32 vcc_lo, exec_lo, s3
	s_cbranch_vccnz .LBB159_10
; %bb.8:
	s_clause 0x1
	s_load_b64 s[20:21], s[0:1], 0x48
	s_load_b128 s[16:19], s[0:1], 0x38
	v_lshrrev_b32_e32 v5, 5, v0
	s_sub_u32 s0, s12, s10
	s_subb_u32 s1, s13, 0
	s_delay_alu instid0(VALU_DEP_1) | instskip(SKIP_4) | instid1(SALU_CYCLE_1)
	v_cndmask_b32_e64 v5, v9, v5, s2
	s_sub_u32 s2, s6, s10
	s_subb_u32 s3, s7, 0
	s_lshl_b64 s[6:7], s[6:7], 3
	s_lshl_b64 s[12:13], s[2:3], 13
	v_dual_mov_b32 v8, s13 :: v_dual_lshlrev_b32 v5, 3, v5
	v_lshl_or_b32 v6, v0, 3, s12
	s_waitcnt lgkmcnt(0)
	s_delay_alu instid0(VALU_DEP_2) | instskip(NEXT) | instid1(VALU_DEP_1)
	v_add_co_u32 v10, s12, s20, v5
	v_add_co_ci_u32_e64 v11, null, s21, 0, s12
	s_delay_alu instid0(VALU_DEP_3)
	v_add_co_u32 v7, vcc_lo, s18, v6
	s_lshl_b64 s[12:13], s[10:11], 3
	v_mov_b32_e32 v5, 0
	v_add_co_ci_u32_e32 v8, vcc_lo, s19, v8, vcc_lo
	v_mov_b32_e32 v6, 0
	s_sub_u32 s6, s6, s12
	s_subb_u32 s7, s7, s13
	s_add_u32 s6, s16, s6
	s_addc_u32 s7, s17, s7
	.p2align	6
.LBB159_9:                              ; =>This Inner Loop Header: Depth=1
	s_load_b64 s[12:13], s[6:7], 0x0
	s_waitcnt lgkmcnt(0)
	s_sub_u32 s12, s12, s10
	s_subb_u32 s13, s13, 0
	s_delay_alu instid0(SALU_CYCLE_1)
	s_lshl_b64 s[12:13], s[12:13], 8
	s_add_u32 s2, s2, 1
	v_add_co_u32 v12, vcc_lo, v10, s12
	v_add_co_ci_u32_e32 v13, vcc_lo, s13, v11, vcc_lo
	s_addc_u32 s3, s3, 0
	s_add_u32 s6, s6, 8
	global_load_b64 v[14:15], v[7:8], off
	global_load_b64 v[12:13], v[12:13], off
	v_cmp_lt_i64_e64 s11, s[2:3], s[0:1]
	v_add_co_u32 v7, vcc_lo, 0x2000, v7
	v_add_co_ci_u32_e32 v8, vcc_lo, 0, v8, vcc_lo
	s_addc_u32 s7, s7, 0
	s_delay_alu instid0(VALU_DEP_3)
	s_and_b32 vcc_lo, exec_lo, s11
	s_waitcnt vmcnt(0)
	v_fma_f64 v[5:6], v[14:15], v[12:13], v[5:6]
	s_cbranch_vccnz .LBB159_9
.LBB159_10:
	v_lshlrev_b32_e32 v7, 3, v0
	s_and_b32 vcc_lo, exec_lo, s14
	ds_store_b64 v7, v[5:6]
	s_waitcnt lgkmcnt(0)
	s_barrier
	buffer_gl0_inv
	s_cbranch_vccz .LBB159_22
; %bb.11:
	s_mov_b32 s0, exec_lo
	v_cmpx_gt_u32_e32 16, v9
	s_cbranch_execz .LBB159_13
; %bb.12:
	ds_load_2addr_b64 v[10:13], v7 offset1:16
	s_waitcnt lgkmcnt(0)
	v_add_f64 v[10:11], v[12:13], v[10:11]
	ds_store_b64 v7, v[10:11]
.LBB159_13:
	s_or_b32 exec_lo, exec_lo, s0
	s_delay_alu instid0(SALU_CYCLE_1)
	s_mov_b32 s0, exec_lo
	s_waitcnt lgkmcnt(0)
	s_barrier
	buffer_gl0_inv
	v_cmpx_gt_u32_e32 8, v9
	s_cbranch_execz .LBB159_15
; %bb.14:
	ds_load_2addr_b64 v[10:13], v7 offset1:8
	s_waitcnt lgkmcnt(0)
	v_add_f64 v[10:11], v[12:13], v[10:11]
	ds_store_b64 v7, v[10:11]
.LBB159_15:
	s_or_b32 exec_lo, exec_lo, s0
	s_delay_alu instid0(SALU_CYCLE_1)
	s_mov_b32 s0, exec_lo
	s_waitcnt lgkmcnt(0)
	s_barrier
	buffer_gl0_inv
	;; [unrolled: 14-line block ×3, first 2 shown]
	v_cmpx_gt_u32_e32 2, v9
	s_cbranch_execz .LBB159_19
; %bb.18:
	ds_load_2addr_b64 v[8:11], v7 offset1:2
	s_waitcnt lgkmcnt(0)
	v_add_f64 v[8:9], v[10:11], v[8:9]
	ds_store_b64 v7, v[8:9]
.LBB159_19:
	s_or_b32 exec_lo, exec_lo, s0
	s_mov_b32 s1, 0
	s_mov_b32 s0, 0
	s_mov_b32 s2, exec_lo
	s_waitcnt lgkmcnt(0)
	s_barrier
	buffer_gl0_inv
                                        ; implicit-def: $vgpr8
                                        ; implicit-def: $vgpr9
	v_cmpx_gt_u32_e32 32, v0
	s_xor_b32 s2, exec_lo, s2
; %bb.20:
	v_lshl_or_b32 v8, v0, 5, 1
	v_mad_u32_u24 v9, 0xf8, v0, v7
	s_mov_b32 s0, exec_lo
; %bb.21:
	s_or_b32 exec_lo, exec_lo, s2
	s_delay_alu instid0(SALU_CYCLE_1)
	s_and_b32 vcc_lo, exec_lo, s1
	s_cbranch_vccnz .LBB159_23
	s_branch .LBB159_34
.LBB159_22:
	s_mov_b32 s0, 0
                                        ; implicit-def: $vgpr8
                                        ; implicit-def: $vgpr9
	s_cbranch_execz .LBB159_34
.LBB159_23:
	s_mov_b32 s1, exec_lo
	v_cmpx_gt_u32_e32 0x200, v0
	s_cbranch_execz .LBB159_25
; %bb.24:
	ds_load_2addr_stride64_b64 v[8:11], v7 offset1:8
	s_waitcnt lgkmcnt(0)
	v_add_f64 v[8:9], v[10:11], v[8:9]
	ds_store_b64 v7, v[8:9]
.LBB159_25:
	s_or_b32 exec_lo, exec_lo, s1
	s_delay_alu instid0(SALU_CYCLE_1)
	s_mov_b32 s1, exec_lo
	s_waitcnt lgkmcnt(0)
	s_barrier
	buffer_gl0_inv
	v_cmpx_gt_u32_e32 0x100, v0
	s_cbranch_execz .LBB159_27
; %bb.26:
	ds_load_2addr_stride64_b64 v[8:11], v7 offset1:4
	s_waitcnt lgkmcnt(0)
	v_add_f64 v[8:9], v[10:11], v[8:9]
	ds_store_b64 v7, v[8:9]
.LBB159_27:
	s_or_b32 exec_lo, exec_lo, s1
	s_delay_alu instid0(SALU_CYCLE_1)
	s_mov_b32 s1, exec_lo
	s_waitcnt lgkmcnt(0)
	s_barrier
	buffer_gl0_inv
	;; [unrolled: 14-line block ×3, first 2 shown]
	v_cmpx_gt_u32_e32 64, v0
	s_cbranch_execz .LBB159_31
; %bb.30:
	ds_load_2addr_stride64_b64 v[8:11], v7 offset1:1
	s_waitcnt lgkmcnt(0)
	v_add_f64 v[8:9], v[10:11], v[8:9]
	ds_store_b64 v7, v[8:9]
.LBB159_31:
	s_or_b32 exec_lo, exec_lo, s1
	s_delay_alu instid0(SALU_CYCLE_1)
	s_mov_b32 s1, exec_lo
	s_waitcnt lgkmcnt(0)
	buffer_gl0_inv
                                        ; implicit-def: $vgpr8
	v_cmpx_gt_u32_e32 32, v0
; %bb.32:
	v_or_b32_e32 v8, 32, v0
	s_or_b32 s0, s0, exec_lo
                                        ; implicit-def: $vgpr5_vgpr6
; %bb.33:
	s_or_b32 exec_lo, exec_lo, s1
	v_mov_b32_e32 v9, v7
.LBB159_34:
	s_and_saveexec_b32 s1, s0
	s_cbranch_execnz .LBB159_37
; %bb.35:
	s_or_b32 exec_lo, exec_lo, s1
	v_cmp_gt_u32_e32 vcc_lo, 32, v0
	s_and_b32 exec_lo, exec_lo, vcc_lo
	s_cbranch_execnz .LBB159_38
.LBB159_36:
	s_nop 0
	s_sendmsg sendmsg(MSG_DEALLOC_VGPRS)
	s_endpgm
.LBB159_37:
	v_lshlrev_b32_e32 v7, 3, v8
	ds_load_b64 v[5:6], v9
	ds_load_b64 v[7:8], v7
	s_waitcnt lgkmcnt(0)
	v_add_f64 v[5:6], v[5:6], v[7:8]
	s_or_b32 exec_lo, exec_lo, s1
	v_cmp_gt_u32_e32 vcc_lo, 32, v0
	s_and_b32 exec_lo, exec_lo, vcc_lo
	s_cbranch_execz .LBB159_36
.LBB159_38:
	s_delay_alu instid0(VALU_DEP_2)
	v_mul_f64 v[3:4], v[3:4], v[5:6]
	s_mov_b32 s0, exec_lo
	v_cmpx_eq_f64_e32 0, v[1:2]
	s_xor_b32 s0, exec_lo, s0
	s_cbranch_execz .LBB159_40
; %bb.39:
	s_lshl_b64 s[2:3], s[8:9], 8
	v_lshlrev_b32_e32 v0, 3, v0
	s_add_u32 s2, s4, s2
	s_addc_u32 s3, s5, s3
                                        ; implicit-def: $vgpr1_vgpr2
	global_store_b64 v0, v[3:4], s[2:3]
                                        ; implicit-def: $vgpr0
                                        ; implicit-def: $vgpr3_vgpr4
.LBB159_40:
	s_and_not1_saveexec_b32 s0, s0
	s_cbranch_execz .LBB159_36
; %bb.41:
	s_lshl_b64 s[0:1], s[8:9], 8
	v_lshlrev_b32_e32 v7, 3, v0
	s_add_u32 s0, s4, s0
	s_addc_u32 s1, s5, s1
	global_load_b64 v[5:6], v7, s[0:1]
	s_waitcnt vmcnt(0)
	v_fma_f64 v[0:1], v[1:2], v[5:6], v[3:4]
	global_store_b64 v7, v[0:1], s[0:1]
	s_nop 0
	s_sendmsg sendmsg(MSG_DEALLOC_VGPRS)
	s_endpgm
	.section	.rodata,"a",@progbits
	.p2align	6, 0x0
	.amdhsa_kernel _ZN9rocsparseL20bsrxmvn_17_32_kernelILj32EdlldddEEvT2_20rocsparse_direction_NS_24const_host_device_scalarIT0_EES1_PKS1_PKT1_SA_S7_PKT3_PKT4_S5_PT5_21rocsparse_index_base_b
		.amdhsa_group_segment_fixed_size 8192
		.amdhsa_private_segment_fixed_size 0
		.amdhsa_kernarg_size 104
		.amdhsa_user_sgpr_count 15
		.amdhsa_user_sgpr_dispatch_ptr 0
		.amdhsa_user_sgpr_queue_ptr 0
		.amdhsa_user_sgpr_kernarg_segment_ptr 1
		.amdhsa_user_sgpr_dispatch_id 0
		.amdhsa_user_sgpr_private_segment_size 0
		.amdhsa_wavefront_size32 1
		.amdhsa_uses_dynamic_stack 0
		.amdhsa_enable_private_segment 0
		.amdhsa_system_sgpr_workgroup_id_x 1
		.amdhsa_system_sgpr_workgroup_id_y 0
		.amdhsa_system_sgpr_workgroup_id_z 0
		.amdhsa_system_sgpr_workgroup_info 0
		.amdhsa_system_vgpr_workitem_id 0
		.amdhsa_next_free_vgpr 16
		.amdhsa_next_free_sgpr 22
		.amdhsa_reserve_vcc 1
		.amdhsa_float_round_mode_32 0
		.amdhsa_float_round_mode_16_64 0
		.amdhsa_float_denorm_mode_32 3
		.amdhsa_float_denorm_mode_16_64 3
		.amdhsa_dx10_clamp 1
		.amdhsa_ieee_mode 1
		.amdhsa_fp16_overflow 0
		.amdhsa_workgroup_processor_mode 1
		.amdhsa_memory_ordered 1
		.amdhsa_forward_progress 0
		.amdhsa_shared_vgpr_count 0
		.amdhsa_exception_fp_ieee_invalid_op 0
		.amdhsa_exception_fp_denorm_src 0
		.amdhsa_exception_fp_ieee_div_zero 0
		.amdhsa_exception_fp_ieee_overflow 0
		.amdhsa_exception_fp_ieee_underflow 0
		.amdhsa_exception_fp_ieee_inexact 0
		.amdhsa_exception_int_div_zero 0
	.end_amdhsa_kernel
	.section	.text._ZN9rocsparseL20bsrxmvn_17_32_kernelILj32EdlldddEEvT2_20rocsparse_direction_NS_24const_host_device_scalarIT0_EES1_PKS1_PKT1_SA_S7_PKT3_PKT4_S5_PT5_21rocsparse_index_base_b,"axG",@progbits,_ZN9rocsparseL20bsrxmvn_17_32_kernelILj32EdlldddEEvT2_20rocsparse_direction_NS_24const_host_device_scalarIT0_EES1_PKS1_PKT1_SA_S7_PKT3_PKT4_S5_PT5_21rocsparse_index_base_b,comdat
.Lfunc_end159:
	.size	_ZN9rocsparseL20bsrxmvn_17_32_kernelILj32EdlldddEEvT2_20rocsparse_direction_NS_24const_host_device_scalarIT0_EES1_PKS1_PKT1_SA_S7_PKT3_PKT4_S5_PT5_21rocsparse_index_base_b, .Lfunc_end159-_ZN9rocsparseL20bsrxmvn_17_32_kernelILj32EdlldddEEvT2_20rocsparse_direction_NS_24const_host_device_scalarIT0_EES1_PKS1_PKT1_SA_S7_PKT3_PKT4_S5_PT5_21rocsparse_index_base_b
                                        ; -- End function
	.section	.AMDGPU.csdata,"",@progbits
; Kernel info:
; codeLenInByte = 1472
; NumSgprs: 24
; NumVgprs: 16
; ScratchSize: 0
; MemoryBound: 0
; FloatMode: 240
; IeeeMode: 1
; LDSByteSize: 8192 bytes/workgroup (compile time only)
; SGPRBlocks: 2
; VGPRBlocks: 1
; NumSGPRsForWavesPerEU: 24
; NumVGPRsForWavesPerEU: 16
; Occupancy: 16
; WaveLimiterHint : 1
; COMPUTE_PGM_RSRC2:SCRATCH_EN: 0
; COMPUTE_PGM_RSRC2:USER_SGPR: 15
; COMPUTE_PGM_RSRC2:TRAP_HANDLER: 0
; COMPUTE_PGM_RSRC2:TGID_X_EN: 1
; COMPUTE_PGM_RSRC2:TGID_Y_EN: 0
; COMPUTE_PGM_RSRC2:TGID_Z_EN: 0
; COMPUTE_PGM_RSRC2:TIDIG_COMP_CNT: 0
	.section	.text._ZN9rocsparseL20bsrxmvn_17_32_kernelILj17E21rocsparse_complex_numIfEllS2_S2_S2_EEvT2_20rocsparse_direction_NS_24const_host_device_scalarIT0_EES3_PKS3_PKT1_SC_S9_PKT3_PKT4_S7_PT5_21rocsparse_index_base_b,"axG",@progbits,_ZN9rocsparseL20bsrxmvn_17_32_kernelILj17E21rocsparse_complex_numIfEllS2_S2_S2_EEvT2_20rocsparse_direction_NS_24const_host_device_scalarIT0_EES3_PKS3_PKT1_SC_S9_PKT3_PKT4_S7_PT5_21rocsparse_index_base_b,comdat
	.globl	_ZN9rocsparseL20bsrxmvn_17_32_kernelILj17E21rocsparse_complex_numIfEllS2_S2_S2_EEvT2_20rocsparse_direction_NS_24const_host_device_scalarIT0_EES3_PKS3_PKT1_SC_S9_PKT3_PKT4_S7_PT5_21rocsparse_index_base_b ; -- Begin function _ZN9rocsparseL20bsrxmvn_17_32_kernelILj17E21rocsparse_complex_numIfEllS2_S2_S2_EEvT2_20rocsparse_direction_NS_24const_host_device_scalarIT0_EES3_PKS3_PKT1_SC_S9_PKT3_PKT4_S7_PT5_21rocsparse_index_base_b
	.p2align	8
	.type	_ZN9rocsparseL20bsrxmvn_17_32_kernelILj17E21rocsparse_complex_numIfEllS2_S2_S2_EEvT2_20rocsparse_direction_NS_24const_host_device_scalarIT0_EES3_PKS3_PKT1_SC_S9_PKT3_PKT4_S7_PT5_21rocsparse_index_base_b,@function
_ZN9rocsparseL20bsrxmvn_17_32_kernelILj17E21rocsparse_complex_numIfEllS2_S2_S2_EEvT2_20rocsparse_direction_NS_24const_host_device_scalarIT0_EES3_PKS3_PKT1_SC_S9_PKT3_PKT4_S7_PT5_21rocsparse_index_base_b: ; @_ZN9rocsparseL20bsrxmvn_17_32_kernelILj17E21rocsparse_complex_numIfEllS2_S2_S2_EEvT2_20rocsparse_direction_NS_24const_host_device_scalarIT0_EES3_PKS3_PKT1_SC_S9_PKT3_PKT4_S7_PT5_21rocsparse_index_base_b
; %bb.0:
	s_clause 0x2
	s_load_b64 s[12:13], s[0:1], 0x60
	s_load_b64 s[4:5], s[0:1], 0x10
	s_load_b64 s[2:3], s[0:1], 0x50
	s_mov_b32 s8, s15
	s_waitcnt lgkmcnt(0)
	s_bitcmp1_b32 s13, 0
	v_mov_b32_e32 v11, s4
	s_cselect_b32 s6, -1, 0
	s_delay_alu instid0(SALU_CYCLE_1)
	s_and_b32 vcc_lo, exec_lo, s6
	s_xor_b32 s6, s6, -1
	s_cbranch_vccz .LBB160_15
; %bb.1:
	v_cndmask_b32_e64 v1, 0, 1, s6
	v_mov_b32_e32 v12, s5
	s_and_not1_b32 vcc_lo, exec_lo, s6
	s_cbranch_vccz .LBB160_16
.LBB160_2:
	s_delay_alu instid0(VALU_DEP_2)
	v_cmp_ne_u32_e32 vcc_lo, 1, v1
	v_mov_b32_e32 v9, s2
	s_cbranch_vccz .LBB160_17
.LBB160_3:
	v_cmp_ne_u32_e32 vcc_lo, 1, v1
	v_mov_b32_e32 v10, s3
	s_cbranch_vccnz .LBB160_5
.LBB160_4:
	v_dual_mov_b32 v1, s2 :: v_dual_mov_b32 v2, s3
	flat_load_b32 v10, v[1:2] offset:4
.LBB160_5:
	s_waitcnt vmcnt(0) lgkmcnt(0)
	v_cmp_eq_f32_e32 vcc_lo, 0, v11
	v_cmp_eq_f32_e64 s2, 0, v12
	s_delay_alu instid0(VALU_DEP_1)
	s_and_b32 s4, vcc_lo, s2
	s_mov_b32 s2, -1
	s_and_saveexec_b32 s3, s4
; %bb.6:
	v_cmp_neq_f32_e32 vcc_lo, 1.0, v9
	v_cmp_neq_f32_e64 s2, 0, v10
	s_delay_alu instid0(VALU_DEP_1) | instskip(NEXT) | instid1(SALU_CYCLE_1)
	s_or_b32 s2, vcc_lo, s2
	s_or_not1_b32 s2, s2, exec_lo
; %bb.7:
	s_or_b32 exec_lo, exec_lo, s3
	s_and_saveexec_b32 s3, s2
	s_cbranch_execz .LBB160_44
; %bb.8:
	s_clause 0x1
	s_load_b128 s[4:7], s[0:1], 0x20
	s_load_b64 s[10:11], s[0:1], 0x30
	s_mov_b32 s9, 0
	s_waitcnt lgkmcnt(0)
	s_cmp_eq_u64 s[4:5], 0
	s_cbranch_scc1 .LBB160_10
; %bb.9:
	s_lshl_b64 s[2:3], s[8:9], 3
	s_delay_alu instid0(SALU_CYCLE_1)
	s_add_u32 s2, s4, s2
	s_addc_u32 s3, s5, s3
	s_load_b64 s[2:3], s[2:3], 0x0
	s_waitcnt lgkmcnt(0)
	s_sub_u32 s8, s2, s12
	s_subb_u32 s9, s3, 0
.LBB160_10:
	s_load_b32 s3, s[0:1], 0x8
	v_mul_u32_u24_e32 v1, 0xf10, v0
	v_dual_mov_b32 v2, 0 :: v_dual_lshlrev_b32 v13, 3, v0
	s_delay_alu instid0(VALU_DEP_2) | instskip(NEXT) | instid1(VALU_DEP_1)
	v_lshrrev_b32_e32 v3, 16, v1
	v_mul_lo_u16 v1, v3, 17
	s_delay_alu instid0(VALU_DEP_1)
	v_sub_nc_u16 v14, v0, v1
	v_mov_b32_e32 v1, 0
	s_waitcnt lgkmcnt(0)
	s_cmp_eq_u32 s3, 1
	s_cselect_b32 s2, -1, 0
	s_cmp_lg_u32 s3, 1
	s_cselect_b32 s3, -1, 0
	s_lshl_b64 s[4:5], s[8:9], 3
	s_delay_alu instid0(SALU_CYCLE_1)
	s_add_u32 s6, s6, s4
	s_addc_u32 s7, s7, s5
	s_add_u32 s13, s6, 8
	s_addc_u32 s14, s7, 0
	s_add_u32 s4, s10, s4
	s_addc_u32 s5, s11, s5
	s_cmp_eq_u64 s[10:11], 0
	s_load_b64 s[10:11], s[0:1], 0x58
	s_cselect_b32 s5, s14, s5
	s_cselect_b32 s4, s13, s4
	s_load_b64 s[16:17], s[6:7], 0x0
	s_load_b64 s[14:15], s[4:5], 0x0
	s_waitcnt lgkmcnt(0)
	v_cmp_ge_i64_e64 s4, s[16:17], s[14:15]
	s_delay_alu instid0(VALU_DEP_1)
	s_and_b32 vcc_lo, exec_lo, s4
	s_cbranch_vccnz .LBB160_18
; %bb.11:
	v_mul_lo_u16 v1, v3, 31
	v_dual_mov_b32 v2, 0 :: v_dual_and_b32 v5, 0xffff, v0
	v_and_b32_e32 v4, 0xffff, v14
	s_clause 0x1
	s_load_b128 s[4:7], s[0:1], 0x38
	s_load_b64 s[18:19], s[0:1], 0x48
	v_lshrrev_b16 v1, 9, v1
	s_sub_u32 s0, s14, s12
	s_subb_u32 s1, s15, 0
	s_sub_u32 s14, s16, s12
	s_subb_u32 s15, s17, 0
	v_mul_lo_u16 v1, v1, 17
	v_lshlrev_b32_e32 v16, 3, v0
	s_mul_hi_u32 s13, s14, 0x908
	s_mul_i32 s20, s15, 0x908
	s_mul_i32 s21, s14, 0x908
	v_sub_nc_u16 v1, v3, v1
	v_mul_u32_u24_e32 v3, 0xe3, v5
	s_add_i32 s13, s13, s20
	s_delay_alu instid0(VALU_DEP_2) | instskip(NEXT) | instid1(VALU_DEP_2)
	v_and_b32_e32 v1, 0xff, v1
	v_lshrrev_b32_e32 v15, 16, v3
	s_delay_alu instid0(VALU_DEP_2) | instskip(NEXT) | instid1(VALU_DEP_2)
	v_cndmask_b32_e64 v1, v4, v1, s2
	v_add_co_u32 v3, s2, s16, v15
	s_delay_alu instid0(VALU_DEP_1) | instskip(NEXT) | instid1(VALU_DEP_3)
	v_add_co_ci_u32_e64 v4, null, s17, 0, s2
	v_lshlrev_b32_e32 v1, 3, v1
	s_delay_alu instid0(VALU_DEP_3) | instskip(NEXT) | instid1(VALU_DEP_3)
	v_sub_co_u32 v5, vcc_lo, v3, s12
	v_subrev_co_ci_u32_e32 v6, vcc_lo, 0, v4, vcc_lo
	s_waitcnt lgkmcnt(0)
	s_add_u32 s2, s6, s21
	v_add_co_u32 v3, s6, s18, v1
	v_mov_b32_e32 v1, v2
	v_lshlrev_b64 v[7:8], 3, v[5:6]
	v_add_co_ci_u32_e64 v4, null, s19, 0, s6
	s_addc_u32 s6, s7, s13
	v_add_co_u32 v5, s2, s2, v16
	s_delay_alu instid0(VALU_DEP_3)
	v_add_co_u32 v7, vcc_lo, s4, v7
	v_add_co_ci_u32_e64 v6, null, s6, 0, s2
	v_add_co_ci_u32_e32 v8, vcc_lo, s5, v8, vcc_lo
	s_set_inst_prefetch_distance 0x1
	s_branch .LBB160_13
	.p2align	6
.LBB160_12:                             ;   in Loop: Header=BB160_13 Depth=1
	s_or_b32 exec_lo, exec_lo, s2
	s_add_u32 s14, s14, 1
	s_addc_u32 s15, s15, 0
	v_add_co_u32 v7, vcc_lo, v7, 8
	v_cmp_lt_i64_e64 s2, s[14:15], s[0:1]
	v_add_co_ci_u32_e32 v8, vcc_lo, 0, v8, vcc_lo
	s_delay_alu instid0(VALU_DEP_2)
	s_and_b32 vcc_lo, exec_lo, s2
	s_cbranch_vccz .LBB160_18
.LBB160_13:                             ; =>This Inner Loop Header: Depth=1
	v_add_co_u32 v16, s2, v15, s14
	s_delay_alu instid0(VALU_DEP_1) | instskip(SKIP_1) | instid1(VALU_DEP_1)
	v_add_co_ci_u32_e64 v17, null, 0, s15, s2
	s_mov_b32 s2, exec_lo
	v_cmpx_gt_i64_e64 s[0:1], v[16:17]
	s_cbranch_execz .LBB160_12
; %bb.14:                               ;   in Loop: Header=BB160_13 Depth=1
	global_load_b64 v[16:17], v[7:8], off
	s_waitcnt vmcnt(0)
	v_sub_co_u32 v18, vcc_lo, v16, s12
	v_subrev_co_ci_u32_e32 v20, vcc_lo, 0, v17, vcc_lo
	s_delay_alu instid0(VALU_DEP_2) | instskip(NEXT) | instid1(VALU_DEP_1)
	v_mad_u64_u32 v[16:17], null, 0x88, v18, v[3:4]
	v_mad_u64_u32 v[18:19], null, 0x88, v20, v[17:18]
	s_delay_alu instid0(VALU_DEP_1)
	v_mov_b32_e32 v17, v18
	global_load_b64 v[18:19], v[5:6], off
	global_load_b64 v[16:17], v[16:17], off
	v_add_co_u32 v5, vcc_lo, 0x908, v5
	v_add_co_ci_u32_e32 v6, vcc_lo, 0, v6, vcc_lo
	s_waitcnt vmcnt(0)
	v_fmac_f32_e32 v2, v19, v16
	v_fmac_f32_e32 v1, v18, v16
	s_delay_alu instid0(VALU_DEP_2) | instskip(NEXT) | instid1(VALU_DEP_2)
	v_fmac_f32_e32 v2, v18, v17
	v_fma_f32 v1, -v19, v17, v1
	s_branch .LBB160_12
.LBB160_15:
	v_dual_mov_b32 v1, s4 :: v_dual_mov_b32 v2, s5
	flat_load_b32 v11, v[1:2]
	v_cndmask_b32_e64 v1, 0, 1, s6
	v_mov_b32_e32 v12, s5
	s_and_not1_b32 vcc_lo, exec_lo, s6
	s_cbranch_vccnz .LBB160_2
.LBB160_16:
	v_dual_mov_b32 v2, s4 :: v_dual_mov_b32 v3, s5
	flat_load_b32 v12, v[2:3] offset:4
	v_cmp_ne_u32_e32 vcc_lo, 1, v1
	v_mov_b32_e32 v9, s2
	s_cbranch_vccnz .LBB160_3
.LBB160_17:
	v_dual_mov_b32 v2, s2 :: v_dual_mov_b32 v3, s3
	flat_load_b32 v9, v[2:3]
	v_cmp_ne_u32_e32 vcc_lo, 1, v1
	v_mov_b32_e32 v10, s3
	s_cbranch_vccz .LBB160_4
	s_branch .LBB160_5
.LBB160_18:
	s_set_inst_prefetch_distance 0x2
	s_and_b32 vcc_lo, exec_lo, s3
	ds_store_b64 v13, v[1:2]
	s_waitcnt lgkmcnt(0)
	s_barrier
	buffer_gl0_inv
	s_cbranch_vccz .LBB160_30
; %bb.19:
	s_mov_b32 s0, exec_lo
	v_cmpx_eq_u16_e32 0, v14
	s_cbranch_execz .LBB160_21
; %bb.20:
	ds_load_2addr_b64 v[3:6], v13 offset1:16
	s_waitcnt lgkmcnt(0)
	v_dual_add_f32 v3, v5, v3 :: v_dual_add_f32 v4, v6, v4
	ds_store_b64 v13, v[3:4]
.LBB160_21:
	s_or_b32 exec_lo, exec_lo, s0
	s_delay_alu instid0(SALU_CYCLE_1)
	s_mov_b32 s0, exec_lo
	s_waitcnt lgkmcnt(0)
	s_barrier
	buffer_gl0_inv
	v_cmpx_gt_u16_e32 8, v14
	s_cbranch_execz .LBB160_23
; %bb.22:
	ds_load_2addr_b64 v[3:6], v13 offset1:8
	s_waitcnt lgkmcnt(0)
	v_dual_add_f32 v3, v5, v3 :: v_dual_add_f32 v4, v6, v4
	ds_store_b64 v13, v[3:4]
.LBB160_23:
	s_or_b32 exec_lo, exec_lo, s0
	s_delay_alu instid0(SALU_CYCLE_1)
	s_mov_b32 s0, exec_lo
	s_waitcnt lgkmcnt(0)
	s_barrier
	buffer_gl0_inv
	v_cmpx_gt_u16_e32 4, v14
	;; [unrolled: 14-line block ×3, first 2 shown]
	s_cbranch_execz .LBB160_27
; %bb.26:
	ds_load_2addr_b64 v[3:6], v13 offset1:2
	s_waitcnt lgkmcnt(0)
	v_dual_add_f32 v3, v5, v3 :: v_dual_add_f32 v4, v6, v4
	ds_store_b64 v13, v[3:4]
.LBB160_27:
	s_or_b32 exec_lo, exec_lo, s0
	s_mov_b32 s0, 0
	s_mov_b32 s1, 0
	s_mov_b32 s2, exec_lo
	s_waitcnt lgkmcnt(0)
	s_barrier
	buffer_gl0_inv
                                        ; implicit-def: $vgpr4
                                        ; implicit-def: $vgpr3
	v_cmpx_gt_u32_e32 17, v0
	s_xor_b32 s2, exec_lo, s2
; %bb.28:
	v_mul_u32_u24_e32 v3, 17, v0
	s_mov_b32 s1, exec_lo
	s_delay_alu instid0(VALU_DEP_1)
	v_lshlrev_b32_e32 v4, 3, v3
	v_mad_u32_u24 v3, v0, 17, 1
; %bb.29:
	s_or_b32 exec_lo, exec_lo, s2
	s_delay_alu instid0(SALU_CYCLE_1)
	s_and_b32 vcc_lo, exec_lo, s0
	v_cmp_gt_u32_e64 s0, 17, v0
	s_cbranch_vccnz .LBB160_31
	s_branch .LBB160_42
.LBB160_30:
	s_mov_b32 s1, 0
                                        ; implicit-def: $vgpr4
                                        ; implicit-def: $vgpr3
	v_cmp_gt_u32_e64 s0, 17, v0
	s_cbranch_execz .LBB160_42
.LBB160_31:
	s_delay_alu instid0(VALU_DEP_1)
	s_and_saveexec_b32 s2, s0
	s_cbranch_execz .LBB160_33
; %bb.32:
	ds_load_b64 v[3:4], v13 offset:2176
	ds_load_b64 v[5:6], v13
	s_waitcnt lgkmcnt(0)
	v_dual_add_f32 v3, v3, v5 :: v_dual_add_f32 v4, v4, v6
	ds_store_b64 v13, v[3:4]
.LBB160_33:
	s_or_b32 exec_lo, exec_lo, s2
	s_delay_alu instid0(SALU_CYCLE_1)
	s_mov_b32 s2, exec_lo
	s_waitcnt lgkmcnt(0)
	s_barrier
	buffer_gl0_inv
	v_cmpx_gt_u32_e32 0x88, v0
	s_cbranch_execz .LBB160_35
; %bb.34:
	ds_load_2addr_b64 v[3:6], v13 offset1:136
	s_waitcnt lgkmcnt(0)
	v_dual_add_f32 v3, v5, v3 :: v_dual_add_f32 v4, v6, v4
	ds_store_b64 v13, v[3:4]
.LBB160_35:
	s_or_b32 exec_lo, exec_lo, s2
	s_delay_alu instid0(SALU_CYCLE_1)
	s_mov_b32 s2, exec_lo
	s_waitcnt lgkmcnt(0)
	s_barrier
	buffer_gl0_inv
	v_cmpx_gt_u32_e32 0x44, v0
	s_cbranch_execz .LBB160_37
; %bb.36:
	ds_load_2addr_b64 v[3:6], v13 offset1:68
	s_waitcnt lgkmcnt(0)
	v_dual_add_f32 v3, v5, v3 :: v_dual_add_f32 v4, v6, v4
	ds_store_b64 v13, v[3:4]
.LBB160_37:
	;; [unrolled: 14-line block ×3, first 2 shown]
	s_or_b32 exec_lo, exec_lo, s2
	s_waitcnt lgkmcnt(0)
	buffer_gl0_inv
                                        ; implicit-def: $vgpr3
	s_and_saveexec_b32 s2, s0
; %bb.40:
	v_add_nc_u32_e32 v3, 17, v0
	s_or_b32 s1, s1, exec_lo
                                        ; implicit-def: $vgpr2
; %bb.41:
	s_or_b32 exec_lo, exec_lo, s2
	v_mov_b32_e32 v4, v13
.LBB160_42:
	s_and_saveexec_b32 s0, s1
	s_cbranch_execnz .LBB160_45
; %bb.43:
	s_or_b32 exec_lo, exec_lo, s0
	v_cmp_gt_u32_e32 vcc_lo, 17, v0
	s_and_b32 exec_lo, exec_lo, vcc_lo
	s_cbranch_execnz .LBB160_46
.LBB160_44:
	s_nop 0
	s_sendmsg sendmsg(MSG_DEALLOC_VGPRS)
	s_endpgm
.LBB160_45:
	v_lshlrev_b32_e32 v3, 3, v3
	ds_load_2addr_b32 v[1:2], v4 offset1:1
	ds_load_b64 v[3:4], v3
	s_waitcnt lgkmcnt(0)
	v_dual_add_f32 v2, v4, v2 :: v_dual_add_f32 v1, v3, v1
	s_or_b32 exec_lo, exec_lo, s0
	v_cmp_gt_u32_e32 vcc_lo, 17, v0
	s_and_b32 exec_lo, exec_lo, vcc_lo
	s_cbranch_execz .LBB160_44
.LBB160_46:
	v_mul_f32_e64 v3, v2, -v12
	v_mul_f32_e32 v4, v2, v11
	v_cmp_eq_f32_e32 vcc_lo, 0, v9
	v_cmp_eq_f32_e64 s0, 0, v10
	s_mul_hi_u32 s1, s8, 0x88
	v_fmac_f32_e32 v3, v11, v1
	v_fmac_f32_e32 v4, v12, v1
	s_mul_i32 s2, s8, 0x88
	s_and_b32 s3, vcc_lo, s0
	s_mul_i32 s0, s9, 0x88
	s_and_saveexec_b32 s4, s3
	s_delay_alu instid0(SALU_CYCLE_1)
	s_xor_b32 s3, exec_lo, s4
	s_cbranch_execz .LBB160_48
; %bb.47:
	v_lshlrev_b32_e32 v0, 3, v0
	s_add_i32 s5, s1, s0
	s_add_u32 s4, s10, s2
	s_addc_u32 s5, s11, s5
                                        ; implicit-def: $vgpr9
                                        ; implicit-def: $vgpr10
	global_store_b64 v0, v[3:4], s[4:5]
                                        ; implicit-def: $vgpr0
                                        ; implicit-def: $vgpr3
.LBB160_48:
	s_and_not1_saveexec_b32 s3, s3
	s_cbranch_execz .LBB160_44
; %bb.49:
	v_lshlrev_b32_e32 v2, 3, v0
	s_add_i32 s1, s1, s0
	s_add_u32 s0, s10, s2
	s_addc_u32 s1, s11, s1
	global_load_b64 v[0:1], v2, s[0:1]
	s_waitcnt vmcnt(0)
	v_fmac_f32_e32 v3, v9, v0
	v_fmac_f32_e32 v4, v10, v0
	s_delay_alu instid0(VALU_DEP_2) | instskip(NEXT) | instid1(VALU_DEP_2)
	v_fma_f32 v3, -v10, v1, v3
	v_fmac_f32_e32 v4, v9, v1
	global_store_b64 v2, v[3:4], s[0:1]
	s_nop 0
	s_sendmsg sendmsg(MSG_DEALLOC_VGPRS)
	s_endpgm
	.section	.rodata,"a",@progbits
	.p2align	6, 0x0
	.amdhsa_kernel _ZN9rocsparseL20bsrxmvn_17_32_kernelILj17E21rocsparse_complex_numIfEllS2_S2_S2_EEvT2_20rocsparse_direction_NS_24const_host_device_scalarIT0_EES3_PKS3_PKT1_SC_S9_PKT3_PKT4_S7_PT5_21rocsparse_index_base_b
		.amdhsa_group_segment_fixed_size 2312
		.amdhsa_private_segment_fixed_size 0
		.amdhsa_kernarg_size 104
		.amdhsa_user_sgpr_count 15
		.amdhsa_user_sgpr_dispatch_ptr 0
		.amdhsa_user_sgpr_queue_ptr 0
		.amdhsa_user_sgpr_kernarg_segment_ptr 1
		.amdhsa_user_sgpr_dispatch_id 0
		.amdhsa_user_sgpr_private_segment_size 0
		.amdhsa_wavefront_size32 1
		.amdhsa_uses_dynamic_stack 0
		.amdhsa_enable_private_segment 0
		.amdhsa_system_sgpr_workgroup_id_x 1
		.amdhsa_system_sgpr_workgroup_id_y 0
		.amdhsa_system_sgpr_workgroup_id_z 0
		.amdhsa_system_sgpr_workgroup_info 0
		.amdhsa_system_vgpr_workitem_id 0
		.amdhsa_next_free_vgpr 21
		.amdhsa_next_free_sgpr 22
		.amdhsa_reserve_vcc 1
		.amdhsa_float_round_mode_32 0
		.amdhsa_float_round_mode_16_64 0
		.amdhsa_float_denorm_mode_32 3
		.amdhsa_float_denorm_mode_16_64 3
		.amdhsa_dx10_clamp 1
		.amdhsa_ieee_mode 1
		.amdhsa_fp16_overflow 0
		.amdhsa_workgroup_processor_mode 1
		.amdhsa_memory_ordered 1
		.amdhsa_forward_progress 0
		.amdhsa_shared_vgpr_count 0
		.amdhsa_exception_fp_ieee_invalid_op 0
		.amdhsa_exception_fp_denorm_src 0
		.amdhsa_exception_fp_ieee_div_zero 0
		.amdhsa_exception_fp_ieee_overflow 0
		.amdhsa_exception_fp_ieee_underflow 0
		.amdhsa_exception_fp_ieee_inexact 0
		.amdhsa_exception_int_div_zero 0
	.end_amdhsa_kernel
	.section	.text._ZN9rocsparseL20bsrxmvn_17_32_kernelILj17E21rocsparse_complex_numIfEllS2_S2_S2_EEvT2_20rocsparse_direction_NS_24const_host_device_scalarIT0_EES3_PKS3_PKT1_SC_S9_PKT3_PKT4_S7_PT5_21rocsparse_index_base_b,"axG",@progbits,_ZN9rocsparseL20bsrxmvn_17_32_kernelILj17E21rocsparse_complex_numIfEllS2_S2_S2_EEvT2_20rocsparse_direction_NS_24const_host_device_scalarIT0_EES3_PKS3_PKT1_SC_S9_PKT3_PKT4_S7_PT5_21rocsparse_index_base_b,comdat
.Lfunc_end160:
	.size	_ZN9rocsparseL20bsrxmvn_17_32_kernelILj17E21rocsparse_complex_numIfEllS2_S2_S2_EEvT2_20rocsparse_direction_NS_24const_host_device_scalarIT0_EES3_PKS3_PKT1_SC_S9_PKT3_PKT4_S7_PT5_21rocsparse_index_base_b, .Lfunc_end160-_ZN9rocsparseL20bsrxmvn_17_32_kernelILj17E21rocsparse_complex_numIfEllS2_S2_S2_EEvT2_20rocsparse_direction_NS_24const_host_device_scalarIT0_EES3_PKS3_PKT1_SC_S9_PKT3_PKT4_S7_PT5_21rocsparse_index_base_b
                                        ; -- End function
	.section	.AMDGPU.csdata,"",@progbits
; Kernel info:
; codeLenInByte = 1936
; NumSgprs: 24
; NumVgprs: 21
; ScratchSize: 0
; MemoryBound: 0
; FloatMode: 240
; IeeeMode: 1
; LDSByteSize: 2312 bytes/workgroup (compile time only)
; SGPRBlocks: 2
; VGPRBlocks: 2
; NumSGPRsForWavesPerEU: 24
; NumVGPRsForWavesPerEU: 21
; Occupancy: 15
; WaveLimiterHint : 1
; COMPUTE_PGM_RSRC2:SCRATCH_EN: 0
; COMPUTE_PGM_RSRC2:USER_SGPR: 15
; COMPUTE_PGM_RSRC2:TRAP_HANDLER: 0
; COMPUTE_PGM_RSRC2:TGID_X_EN: 1
; COMPUTE_PGM_RSRC2:TGID_Y_EN: 0
; COMPUTE_PGM_RSRC2:TGID_Z_EN: 0
; COMPUTE_PGM_RSRC2:TIDIG_COMP_CNT: 0
	.section	.text._ZN9rocsparseL20bsrxmvn_17_32_kernelILj18E21rocsparse_complex_numIfEllS2_S2_S2_EEvT2_20rocsparse_direction_NS_24const_host_device_scalarIT0_EES3_PKS3_PKT1_SC_S9_PKT3_PKT4_S7_PT5_21rocsparse_index_base_b,"axG",@progbits,_ZN9rocsparseL20bsrxmvn_17_32_kernelILj18E21rocsparse_complex_numIfEllS2_S2_S2_EEvT2_20rocsparse_direction_NS_24const_host_device_scalarIT0_EES3_PKS3_PKT1_SC_S9_PKT3_PKT4_S7_PT5_21rocsparse_index_base_b,comdat
	.globl	_ZN9rocsparseL20bsrxmvn_17_32_kernelILj18E21rocsparse_complex_numIfEllS2_S2_S2_EEvT2_20rocsparse_direction_NS_24const_host_device_scalarIT0_EES3_PKS3_PKT1_SC_S9_PKT3_PKT4_S7_PT5_21rocsparse_index_base_b ; -- Begin function _ZN9rocsparseL20bsrxmvn_17_32_kernelILj18E21rocsparse_complex_numIfEllS2_S2_S2_EEvT2_20rocsparse_direction_NS_24const_host_device_scalarIT0_EES3_PKS3_PKT1_SC_S9_PKT3_PKT4_S7_PT5_21rocsparse_index_base_b
	.p2align	8
	.type	_ZN9rocsparseL20bsrxmvn_17_32_kernelILj18E21rocsparse_complex_numIfEllS2_S2_S2_EEvT2_20rocsparse_direction_NS_24const_host_device_scalarIT0_EES3_PKS3_PKT1_SC_S9_PKT3_PKT4_S7_PT5_21rocsparse_index_base_b,@function
_ZN9rocsparseL20bsrxmvn_17_32_kernelILj18E21rocsparse_complex_numIfEllS2_S2_S2_EEvT2_20rocsparse_direction_NS_24const_host_device_scalarIT0_EES3_PKS3_PKT1_SC_S9_PKT3_PKT4_S7_PT5_21rocsparse_index_base_b: ; @_ZN9rocsparseL20bsrxmvn_17_32_kernelILj18E21rocsparse_complex_numIfEllS2_S2_S2_EEvT2_20rocsparse_direction_NS_24const_host_device_scalarIT0_EES3_PKS3_PKT1_SC_S9_PKT3_PKT4_S7_PT5_21rocsparse_index_base_b
; %bb.0:
	s_clause 0x2
	s_load_b64 s[12:13], s[0:1], 0x60
	s_load_b64 s[4:5], s[0:1], 0x10
	;; [unrolled: 1-line block ×3, first 2 shown]
	s_mov_b32 s8, s15
	s_waitcnt lgkmcnt(0)
	s_bitcmp1_b32 s13, 0
	v_mov_b32_e32 v11, s4
	s_cselect_b32 s6, -1, 0
	s_delay_alu instid0(SALU_CYCLE_1)
	s_and_b32 vcc_lo, exec_lo, s6
	s_xor_b32 s6, s6, -1
	s_cbranch_vccz .LBB161_15
; %bb.1:
	v_cndmask_b32_e64 v1, 0, 1, s6
	v_mov_b32_e32 v12, s5
	s_and_not1_b32 vcc_lo, exec_lo, s6
	s_cbranch_vccz .LBB161_16
.LBB161_2:
	s_delay_alu instid0(VALU_DEP_2)
	v_cmp_ne_u32_e32 vcc_lo, 1, v1
	v_mov_b32_e32 v9, s2
	s_cbranch_vccz .LBB161_17
.LBB161_3:
	v_cmp_ne_u32_e32 vcc_lo, 1, v1
	v_mov_b32_e32 v10, s3
	s_cbranch_vccnz .LBB161_5
.LBB161_4:
	v_dual_mov_b32 v1, s2 :: v_dual_mov_b32 v2, s3
	flat_load_b32 v10, v[1:2] offset:4
.LBB161_5:
	s_waitcnt vmcnt(0) lgkmcnt(0)
	v_cmp_eq_f32_e32 vcc_lo, 0, v11
	v_cmp_eq_f32_e64 s2, 0, v12
	s_delay_alu instid0(VALU_DEP_1)
	s_and_b32 s4, vcc_lo, s2
	s_mov_b32 s2, -1
	s_and_saveexec_b32 s3, s4
; %bb.6:
	v_cmp_neq_f32_e32 vcc_lo, 1.0, v9
	v_cmp_neq_f32_e64 s2, 0, v10
	s_delay_alu instid0(VALU_DEP_1) | instskip(NEXT) | instid1(SALU_CYCLE_1)
	s_or_b32 s2, vcc_lo, s2
	s_or_not1_b32 s2, s2, exec_lo
; %bb.7:
	s_or_b32 exec_lo, exec_lo, s3
	s_and_saveexec_b32 s3, s2
	s_cbranch_execz .LBB161_44
; %bb.8:
	s_clause 0x1
	s_load_b128 s[4:7], s[0:1], 0x20
	s_load_b64 s[10:11], s[0:1], 0x30
	s_mov_b32 s9, 0
	s_waitcnt lgkmcnt(0)
	s_cmp_eq_u64 s[4:5], 0
	s_cbranch_scc1 .LBB161_10
; %bb.9:
	s_lshl_b64 s[2:3], s[8:9], 3
	s_delay_alu instid0(SALU_CYCLE_1)
	s_add_u32 s2, s4, s2
	s_addc_u32 s3, s5, s3
	s_load_b64 s[2:3], s[2:3], 0x0
	s_waitcnt lgkmcnt(0)
	s_sub_u32 s8, s2, s12
	s_subb_u32 s9, s3, 0
.LBB161_10:
	s_load_b32 s3, s[0:1], 0x8
	v_mul_u32_u24_e32 v1, 0xe39, v0
	v_dual_mov_b32 v2, 0 :: v_dual_lshlrev_b32 v13, 3, v0
	s_delay_alu instid0(VALU_DEP_2) | instskip(NEXT) | instid1(VALU_DEP_1)
	v_lshrrev_b32_e32 v3, 16, v1
	v_mul_lo_u16 v1, v3, 18
	s_delay_alu instid0(VALU_DEP_1)
	v_sub_nc_u16 v14, v0, v1
	v_mov_b32_e32 v1, 0
	s_waitcnt lgkmcnt(0)
	s_cmp_eq_u32 s3, 1
	s_cselect_b32 s2, -1, 0
	s_cmp_lg_u32 s3, 1
	s_cselect_b32 s3, -1, 0
	s_lshl_b64 s[4:5], s[8:9], 3
	s_delay_alu instid0(SALU_CYCLE_1)
	s_add_u32 s6, s6, s4
	s_addc_u32 s7, s7, s5
	s_add_u32 s13, s6, 8
	s_addc_u32 s14, s7, 0
	;; [unrolled: 2-line block ×3, first 2 shown]
	s_cmp_eq_u64 s[10:11], 0
	s_load_b64 s[10:11], s[0:1], 0x58
	s_cselect_b32 s5, s14, s5
	s_cselect_b32 s4, s13, s4
	s_load_b64 s[16:17], s[6:7], 0x0
	s_load_b64 s[14:15], s[4:5], 0x0
	s_waitcnt lgkmcnt(0)
	v_cmp_ge_i64_e64 s4, s[16:17], s[14:15]
	s_delay_alu instid0(VALU_DEP_1)
	s_and_b32 vcc_lo, exec_lo, s4
	s_cbranch_vccnz .LBB161_18
; %bb.11:
	v_mul_lo_u16 v1, v3, 15
	v_dual_mov_b32 v2, 0 :: v_dual_and_b32 v5, 0xffff, v0
	v_and_b32_e32 v4, 0xffff, v14
	s_clause 0x1
	s_load_b128 s[4:7], s[0:1], 0x38
	s_load_b64 s[18:19], s[0:1], 0x48
	v_lshrrev_b16 v1, 8, v1
	s_sub_u32 s0, s14, s12
	s_subb_u32 s1, s15, 0
	s_sub_u32 s14, s16, s12
	s_subb_u32 s15, s17, 0
	v_mul_lo_u16 v1, v1, 18
	v_lshlrev_b32_e32 v16, 3, v0
	s_mul_hi_u32 s13, s14, 0xa20
	s_mul_i32 s20, s15, 0xa20
	s_mul_i32 s21, s14, 0xa20
	v_sub_nc_u16 v1, v3, v1
	v_mul_u32_u24_e32 v3, 0x195, v5
	s_add_i32 s13, s13, s20
	s_delay_alu instid0(VALU_DEP_2) | instskip(NEXT) | instid1(VALU_DEP_2)
	v_and_b32_e32 v1, 0xff, v1
	v_lshrrev_b32_e32 v15, 17, v3
	s_delay_alu instid0(VALU_DEP_2) | instskip(NEXT) | instid1(VALU_DEP_2)
	v_cndmask_b32_e64 v1, v4, v1, s2
	v_add_co_u32 v3, s2, s16, v15
	s_delay_alu instid0(VALU_DEP_1) | instskip(NEXT) | instid1(VALU_DEP_3)
	v_add_co_ci_u32_e64 v4, null, s17, 0, s2
	v_lshlrev_b32_e32 v1, 3, v1
	s_delay_alu instid0(VALU_DEP_3) | instskip(NEXT) | instid1(VALU_DEP_3)
	v_sub_co_u32 v5, vcc_lo, v3, s12
	v_subrev_co_ci_u32_e32 v6, vcc_lo, 0, v4, vcc_lo
	s_waitcnt lgkmcnt(0)
	s_add_u32 s2, s6, s21
	v_add_co_u32 v3, s6, s18, v1
	v_mov_b32_e32 v1, v2
	v_lshlrev_b64 v[7:8], 3, v[5:6]
	v_add_co_ci_u32_e64 v4, null, s19, 0, s6
	s_addc_u32 s6, s7, s13
	v_add_co_u32 v5, s2, s2, v16
	s_delay_alu instid0(VALU_DEP_3)
	v_add_co_u32 v7, vcc_lo, s4, v7
	v_add_co_ci_u32_e64 v6, null, s6, 0, s2
	v_add_co_ci_u32_e32 v8, vcc_lo, s5, v8, vcc_lo
	s_set_inst_prefetch_distance 0x1
	s_branch .LBB161_13
	.p2align	6
.LBB161_12:                             ;   in Loop: Header=BB161_13 Depth=1
	s_or_b32 exec_lo, exec_lo, s2
	s_add_u32 s14, s14, 1
	s_addc_u32 s15, s15, 0
	v_add_co_u32 v7, vcc_lo, v7, 8
	v_cmp_lt_i64_e64 s2, s[14:15], s[0:1]
	v_add_co_ci_u32_e32 v8, vcc_lo, 0, v8, vcc_lo
	s_delay_alu instid0(VALU_DEP_2)
	s_and_b32 vcc_lo, exec_lo, s2
	s_cbranch_vccz .LBB161_18
.LBB161_13:                             ; =>This Inner Loop Header: Depth=1
	v_add_co_u32 v16, s2, v15, s14
	s_delay_alu instid0(VALU_DEP_1) | instskip(SKIP_1) | instid1(VALU_DEP_1)
	v_add_co_ci_u32_e64 v17, null, 0, s15, s2
	s_mov_b32 s2, exec_lo
	v_cmpx_gt_i64_e64 s[0:1], v[16:17]
	s_cbranch_execz .LBB161_12
; %bb.14:                               ;   in Loop: Header=BB161_13 Depth=1
	global_load_b64 v[16:17], v[7:8], off
	s_waitcnt vmcnt(0)
	v_sub_co_u32 v18, vcc_lo, v16, s12
	v_subrev_co_ci_u32_e32 v20, vcc_lo, 0, v17, vcc_lo
	s_delay_alu instid0(VALU_DEP_2) | instskip(NEXT) | instid1(VALU_DEP_1)
	v_mad_u64_u32 v[16:17], null, 0x90, v18, v[3:4]
	v_mad_u64_u32 v[18:19], null, 0x90, v20, v[17:18]
	s_delay_alu instid0(VALU_DEP_1)
	v_mov_b32_e32 v17, v18
	global_load_b64 v[18:19], v[5:6], off
	global_load_b64 v[16:17], v[16:17], off
	v_add_co_u32 v5, vcc_lo, 0xa20, v5
	v_add_co_ci_u32_e32 v6, vcc_lo, 0, v6, vcc_lo
	s_waitcnt vmcnt(0)
	v_fmac_f32_e32 v2, v19, v16
	v_fmac_f32_e32 v1, v18, v16
	s_delay_alu instid0(VALU_DEP_2) | instskip(NEXT) | instid1(VALU_DEP_2)
	v_fmac_f32_e32 v2, v18, v17
	v_fma_f32 v1, -v19, v17, v1
	s_branch .LBB161_12
.LBB161_15:
	v_dual_mov_b32 v1, s4 :: v_dual_mov_b32 v2, s5
	flat_load_b32 v11, v[1:2]
	v_cndmask_b32_e64 v1, 0, 1, s6
	v_mov_b32_e32 v12, s5
	s_and_not1_b32 vcc_lo, exec_lo, s6
	s_cbranch_vccnz .LBB161_2
.LBB161_16:
	v_dual_mov_b32 v2, s4 :: v_dual_mov_b32 v3, s5
	flat_load_b32 v12, v[2:3] offset:4
	v_cmp_ne_u32_e32 vcc_lo, 1, v1
	v_mov_b32_e32 v9, s2
	s_cbranch_vccnz .LBB161_3
.LBB161_17:
	v_dual_mov_b32 v2, s2 :: v_dual_mov_b32 v3, s3
	flat_load_b32 v9, v[2:3]
	v_cmp_ne_u32_e32 vcc_lo, 1, v1
	v_mov_b32_e32 v10, s3
	s_cbranch_vccz .LBB161_4
	s_branch .LBB161_5
.LBB161_18:
	s_set_inst_prefetch_distance 0x2
	s_and_b32 vcc_lo, exec_lo, s3
	ds_store_b64 v13, v[1:2]
	s_waitcnt lgkmcnt(0)
	s_barrier
	buffer_gl0_inv
	s_cbranch_vccz .LBB161_30
; %bb.19:
	v_cmp_gt_u16_e32 vcc_lo, 2, v14
	s_and_saveexec_b32 s0, vcc_lo
	s_cbranch_execz .LBB161_21
; %bb.20:
	ds_load_2addr_b64 v[3:6], v13 offset1:16
	s_waitcnt lgkmcnt(0)
	v_dual_add_f32 v3, v5, v3 :: v_dual_add_f32 v4, v6, v4
	ds_store_b64 v13, v[3:4]
.LBB161_21:
	s_or_b32 exec_lo, exec_lo, s0
	s_delay_alu instid0(SALU_CYCLE_1)
	s_mov_b32 s1, exec_lo
	s_waitcnt lgkmcnt(0)
	s_barrier
	buffer_gl0_inv
	v_cmpx_gt_u16_e32 8, v14
	s_cbranch_execz .LBB161_23
; %bb.22:
	ds_load_2addr_b64 v[3:6], v13 offset1:8
	s_waitcnt lgkmcnt(0)
	v_dual_add_f32 v3, v5, v3 :: v_dual_add_f32 v4, v6, v4
	ds_store_b64 v13, v[3:4]
.LBB161_23:
	s_or_b32 exec_lo, exec_lo, s1
	s_delay_alu instid0(SALU_CYCLE_1)
	s_mov_b32 s1, exec_lo
	s_waitcnt lgkmcnt(0)
	s_barrier
	buffer_gl0_inv
	v_cmpx_gt_u16_e32 4, v14
	s_cbranch_execz .LBB161_25
; %bb.24:
	ds_load_2addr_b64 v[3:6], v13 offset1:4
	s_waitcnt lgkmcnt(0)
	v_dual_add_f32 v3, v5, v3 :: v_dual_add_f32 v4, v6, v4
	ds_store_b64 v13, v[3:4]
.LBB161_25:
	s_or_b32 exec_lo, exec_lo, s1
	s_waitcnt lgkmcnt(0)
	s_barrier
	buffer_gl0_inv
	s_and_saveexec_b32 s0, vcc_lo
	s_cbranch_execz .LBB161_27
; %bb.26:
	ds_load_2addr_b64 v[3:6], v13 offset1:2
	s_waitcnt lgkmcnt(0)
	v_dual_add_f32 v3, v5, v3 :: v_dual_add_f32 v4, v6, v4
	ds_store_b64 v13, v[3:4]
.LBB161_27:
	s_or_b32 exec_lo, exec_lo, s0
	s_mov_b32 s0, 0
	s_mov_b32 s1, 0
	s_mov_b32 s2, exec_lo
	s_waitcnt lgkmcnt(0)
	s_barrier
	buffer_gl0_inv
                                        ; implicit-def: $vgpr4
                                        ; implicit-def: $vgpr3
	v_cmpx_gt_u32_e32 18, v0
	s_xor_b32 s2, exec_lo, s2
; %bb.28:
	v_mul_u32_u24_e32 v3, 18, v0
	s_mov_b32 s1, exec_lo
	s_delay_alu instid0(VALU_DEP_1)
	v_lshlrev_b32_e32 v4, 3, v3
	v_or_b32_e32 v3, 1, v3
; %bb.29:
	s_or_b32 exec_lo, exec_lo, s2
	s_delay_alu instid0(SALU_CYCLE_1)
	s_and_b32 vcc_lo, exec_lo, s0
	s_cbranch_vccnz .LBB161_31
	s_branch .LBB161_42
.LBB161_30:
	s_mov_b32 s1, 0
                                        ; implicit-def: $vgpr4
                                        ; implicit-def: $vgpr3
	s_cbranch_execz .LBB161_42
.LBB161_31:
	v_cmp_gt_u32_e32 vcc_lo, 36, v0
	s_and_saveexec_b32 s0, vcc_lo
	s_cbranch_execz .LBB161_33
; %bb.32:
	ds_load_b64 v[3:4], v13 offset:2304
	ds_load_b64 v[5:6], v13
	s_waitcnt lgkmcnt(0)
	v_dual_add_f32 v3, v3, v5 :: v_dual_add_f32 v4, v4, v6
	ds_store_b64 v13, v[3:4]
.LBB161_33:
	s_or_b32 exec_lo, exec_lo, s0
	s_delay_alu instid0(SALU_CYCLE_1)
	s_mov_b32 s2, exec_lo
	s_waitcnt lgkmcnt(0)
	s_barrier
	buffer_gl0_inv
	v_cmpx_gt_u32_e32 0x90, v0
	s_cbranch_execz .LBB161_35
; %bb.34:
	ds_load_2addr_b64 v[3:6], v13 offset1:144
	s_waitcnt lgkmcnt(0)
	v_dual_add_f32 v3, v5, v3 :: v_dual_add_f32 v4, v6, v4
	ds_store_b64 v13, v[3:4]
.LBB161_35:
	s_or_b32 exec_lo, exec_lo, s2
	s_delay_alu instid0(SALU_CYCLE_1)
	s_mov_b32 s2, exec_lo
	s_waitcnt lgkmcnt(0)
	s_barrier
	buffer_gl0_inv
	v_cmpx_gt_u32_e32 0x48, v0
	s_cbranch_execz .LBB161_37
; %bb.36:
	ds_load_2addr_b64 v[3:6], v13 offset1:72
	s_waitcnt lgkmcnt(0)
	v_dual_add_f32 v3, v5, v3 :: v_dual_add_f32 v4, v6, v4
	ds_store_b64 v13, v[3:4]
.LBB161_37:
	s_or_b32 exec_lo, exec_lo, s2
	s_waitcnt lgkmcnt(0)
	s_barrier
	buffer_gl0_inv
	s_and_saveexec_b32 s0, vcc_lo
	s_cbranch_execz .LBB161_39
; %bb.38:
	ds_load_2addr_b64 v[3:6], v13 offset1:36
	s_waitcnt lgkmcnt(0)
	v_dual_add_f32 v3, v5, v3 :: v_dual_add_f32 v4, v6, v4
	ds_store_b64 v13, v[3:4]
.LBB161_39:
	s_or_b32 exec_lo, exec_lo, s0
	s_delay_alu instid0(SALU_CYCLE_1)
	s_mov_b32 s0, exec_lo
	s_waitcnt lgkmcnt(0)
	buffer_gl0_inv
                                        ; implicit-def: $vgpr3
	v_cmpx_gt_u32_e32 18, v0
; %bb.40:
	v_add_nc_u32_e32 v3, 18, v0
	s_or_b32 s1, s1, exec_lo
                                        ; implicit-def: $vgpr2
; %bb.41:
	s_or_b32 exec_lo, exec_lo, s0
	v_mov_b32_e32 v4, v13
.LBB161_42:
	s_and_saveexec_b32 s0, s1
	s_cbranch_execnz .LBB161_45
; %bb.43:
	s_or_b32 exec_lo, exec_lo, s0
	v_cmp_gt_u32_e32 vcc_lo, 18, v0
	s_and_b32 exec_lo, exec_lo, vcc_lo
	s_cbranch_execnz .LBB161_46
.LBB161_44:
	s_nop 0
	s_sendmsg sendmsg(MSG_DEALLOC_VGPRS)
	s_endpgm
.LBB161_45:
	v_lshlrev_b32_e32 v3, 3, v3
	ds_load_2addr_b32 v[1:2], v4 offset1:1
	ds_load_b64 v[3:4], v3
	s_waitcnt lgkmcnt(0)
	v_dual_add_f32 v2, v4, v2 :: v_dual_add_f32 v1, v3, v1
	s_or_b32 exec_lo, exec_lo, s0
	v_cmp_gt_u32_e32 vcc_lo, 18, v0
	s_and_b32 exec_lo, exec_lo, vcc_lo
	s_cbranch_execz .LBB161_44
.LBB161_46:
	v_mul_f32_e64 v3, v2, -v12
	v_mul_f32_e32 v4, v2, v11
	v_cmp_eq_f32_e32 vcc_lo, 0, v9
	v_cmp_eq_f32_e64 s0, 0, v10
	s_mul_hi_u32 s1, s8, 0x90
	v_fmac_f32_e32 v3, v11, v1
	v_fmac_f32_e32 v4, v12, v1
	s_mul_i32 s2, s8, 0x90
	s_and_b32 s3, vcc_lo, s0
	s_mul_i32 s0, s9, 0x90
	s_and_saveexec_b32 s4, s3
	s_delay_alu instid0(SALU_CYCLE_1)
	s_xor_b32 s3, exec_lo, s4
	s_cbranch_execz .LBB161_48
; %bb.47:
	v_lshlrev_b32_e32 v0, 3, v0
	s_add_i32 s5, s1, s0
	s_add_u32 s4, s10, s2
	s_addc_u32 s5, s11, s5
                                        ; implicit-def: $vgpr9
                                        ; implicit-def: $vgpr10
	global_store_b64 v0, v[3:4], s[4:5]
                                        ; implicit-def: $vgpr0
                                        ; implicit-def: $vgpr3
.LBB161_48:
	s_and_not1_saveexec_b32 s3, s3
	s_cbranch_execz .LBB161_44
; %bb.49:
	v_lshlrev_b32_e32 v2, 3, v0
	s_add_i32 s1, s1, s0
	s_add_u32 s0, s10, s2
	s_addc_u32 s1, s11, s1
	global_load_b64 v[0:1], v2, s[0:1]
	s_waitcnt vmcnt(0)
	v_fmac_f32_e32 v3, v9, v0
	v_fmac_f32_e32 v4, v10, v0
	s_delay_alu instid0(VALU_DEP_2) | instskip(NEXT) | instid1(VALU_DEP_2)
	v_fma_f32 v3, -v10, v1, v3
	v_fmac_f32_e32 v4, v9, v1
	global_store_b64 v2, v[3:4], s[0:1]
	s_nop 0
	s_sendmsg sendmsg(MSG_DEALLOC_VGPRS)
	s_endpgm
	.section	.rodata,"a",@progbits
	.p2align	6, 0x0
	.amdhsa_kernel _ZN9rocsparseL20bsrxmvn_17_32_kernelILj18E21rocsparse_complex_numIfEllS2_S2_S2_EEvT2_20rocsparse_direction_NS_24const_host_device_scalarIT0_EES3_PKS3_PKT1_SC_S9_PKT3_PKT4_S7_PT5_21rocsparse_index_base_b
		.amdhsa_group_segment_fixed_size 2592
		.amdhsa_private_segment_fixed_size 0
		.amdhsa_kernarg_size 104
		.amdhsa_user_sgpr_count 15
		.amdhsa_user_sgpr_dispatch_ptr 0
		.amdhsa_user_sgpr_queue_ptr 0
		.amdhsa_user_sgpr_kernarg_segment_ptr 1
		.amdhsa_user_sgpr_dispatch_id 0
		.amdhsa_user_sgpr_private_segment_size 0
		.amdhsa_wavefront_size32 1
		.amdhsa_uses_dynamic_stack 0
		.amdhsa_enable_private_segment 0
		.amdhsa_system_sgpr_workgroup_id_x 1
		.amdhsa_system_sgpr_workgroup_id_y 0
		.amdhsa_system_sgpr_workgroup_id_z 0
		.amdhsa_system_sgpr_workgroup_info 0
		.amdhsa_system_vgpr_workitem_id 0
		.amdhsa_next_free_vgpr 21
		.amdhsa_next_free_sgpr 22
		.amdhsa_reserve_vcc 1
		.amdhsa_float_round_mode_32 0
		.amdhsa_float_round_mode_16_64 0
		.amdhsa_float_denorm_mode_32 3
		.amdhsa_float_denorm_mode_16_64 3
		.amdhsa_dx10_clamp 1
		.amdhsa_ieee_mode 1
		.amdhsa_fp16_overflow 0
		.amdhsa_workgroup_processor_mode 1
		.amdhsa_memory_ordered 1
		.amdhsa_forward_progress 0
		.amdhsa_shared_vgpr_count 0
		.amdhsa_exception_fp_ieee_invalid_op 0
		.amdhsa_exception_fp_denorm_src 0
		.amdhsa_exception_fp_ieee_div_zero 0
		.amdhsa_exception_fp_ieee_overflow 0
		.amdhsa_exception_fp_ieee_underflow 0
		.amdhsa_exception_fp_ieee_inexact 0
		.amdhsa_exception_int_div_zero 0
	.end_amdhsa_kernel
	.section	.text._ZN9rocsparseL20bsrxmvn_17_32_kernelILj18E21rocsparse_complex_numIfEllS2_S2_S2_EEvT2_20rocsparse_direction_NS_24const_host_device_scalarIT0_EES3_PKS3_PKT1_SC_S9_PKT3_PKT4_S7_PT5_21rocsparse_index_base_b,"axG",@progbits,_ZN9rocsparseL20bsrxmvn_17_32_kernelILj18E21rocsparse_complex_numIfEllS2_S2_S2_EEvT2_20rocsparse_direction_NS_24const_host_device_scalarIT0_EES3_PKS3_PKT1_SC_S9_PKT3_PKT4_S7_PT5_21rocsparse_index_base_b,comdat
.Lfunc_end161:
	.size	_ZN9rocsparseL20bsrxmvn_17_32_kernelILj18E21rocsparse_complex_numIfEllS2_S2_S2_EEvT2_20rocsparse_direction_NS_24const_host_device_scalarIT0_EES3_PKS3_PKT1_SC_S9_PKT3_PKT4_S7_PT5_21rocsparse_index_base_b, .Lfunc_end161-_ZN9rocsparseL20bsrxmvn_17_32_kernelILj18E21rocsparse_complex_numIfEllS2_S2_S2_EEvT2_20rocsparse_direction_NS_24const_host_device_scalarIT0_EES3_PKS3_PKT1_SC_S9_PKT3_PKT4_S7_PT5_21rocsparse_index_base_b
                                        ; -- End function
	.section	.AMDGPU.csdata,"",@progbits
; Kernel info:
; codeLenInByte = 1908
; NumSgprs: 24
; NumVgprs: 21
; ScratchSize: 0
; MemoryBound: 0
; FloatMode: 240
; IeeeMode: 1
; LDSByteSize: 2592 bytes/workgroup (compile time only)
; SGPRBlocks: 2
; VGPRBlocks: 2
; NumSGPRsForWavesPerEU: 24
; NumVGPRsForWavesPerEU: 21
; Occupancy: 14
; WaveLimiterHint : 1
; COMPUTE_PGM_RSRC2:SCRATCH_EN: 0
; COMPUTE_PGM_RSRC2:USER_SGPR: 15
; COMPUTE_PGM_RSRC2:TRAP_HANDLER: 0
; COMPUTE_PGM_RSRC2:TGID_X_EN: 1
; COMPUTE_PGM_RSRC2:TGID_Y_EN: 0
; COMPUTE_PGM_RSRC2:TGID_Z_EN: 0
; COMPUTE_PGM_RSRC2:TIDIG_COMP_CNT: 0
	.section	.text._ZN9rocsparseL20bsrxmvn_17_32_kernelILj19E21rocsparse_complex_numIfEllS2_S2_S2_EEvT2_20rocsparse_direction_NS_24const_host_device_scalarIT0_EES3_PKS3_PKT1_SC_S9_PKT3_PKT4_S7_PT5_21rocsparse_index_base_b,"axG",@progbits,_ZN9rocsparseL20bsrxmvn_17_32_kernelILj19E21rocsparse_complex_numIfEllS2_S2_S2_EEvT2_20rocsparse_direction_NS_24const_host_device_scalarIT0_EES3_PKS3_PKT1_SC_S9_PKT3_PKT4_S7_PT5_21rocsparse_index_base_b,comdat
	.globl	_ZN9rocsparseL20bsrxmvn_17_32_kernelILj19E21rocsparse_complex_numIfEllS2_S2_S2_EEvT2_20rocsparse_direction_NS_24const_host_device_scalarIT0_EES3_PKS3_PKT1_SC_S9_PKT3_PKT4_S7_PT5_21rocsparse_index_base_b ; -- Begin function _ZN9rocsparseL20bsrxmvn_17_32_kernelILj19E21rocsparse_complex_numIfEllS2_S2_S2_EEvT2_20rocsparse_direction_NS_24const_host_device_scalarIT0_EES3_PKS3_PKT1_SC_S9_PKT3_PKT4_S7_PT5_21rocsparse_index_base_b
	.p2align	8
	.type	_ZN9rocsparseL20bsrxmvn_17_32_kernelILj19E21rocsparse_complex_numIfEllS2_S2_S2_EEvT2_20rocsparse_direction_NS_24const_host_device_scalarIT0_EES3_PKS3_PKT1_SC_S9_PKT3_PKT4_S7_PT5_21rocsparse_index_base_b,@function
_ZN9rocsparseL20bsrxmvn_17_32_kernelILj19E21rocsparse_complex_numIfEllS2_S2_S2_EEvT2_20rocsparse_direction_NS_24const_host_device_scalarIT0_EES3_PKS3_PKT1_SC_S9_PKT3_PKT4_S7_PT5_21rocsparse_index_base_b: ; @_ZN9rocsparseL20bsrxmvn_17_32_kernelILj19E21rocsparse_complex_numIfEllS2_S2_S2_EEvT2_20rocsparse_direction_NS_24const_host_device_scalarIT0_EES3_PKS3_PKT1_SC_S9_PKT3_PKT4_S7_PT5_21rocsparse_index_base_b
; %bb.0:
	s_clause 0x2
	s_load_b64 s[12:13], s[0:1], 0x60
	s_load_b64 s[4:5], s[0:1], 0x10
	;; [unrolled: 1-line block ×3, first 2 shown]
	s_mov_b32 s8, s15
	s_waitcnt lgkmcnt(0)
	s_bitcmp1_b32 s13, 0
	v_mov_b32_e32 v11, s4
	s_cselect_b32 s6, -1, 0
	s_delay_alu instid0(SALU_CYCLE_1)
	s_and_b32 vcc_lo, exec_lo, s6
	s_xor_b32 s6, s6, -1
	s_cbranch_vccz .LBB162_15
; %bb.1:
	v_cndmask_b32_e64 v1, 0, 1, s6
	v_mov_b32_e32 v12, s5
	s_and_not1_b32 vcc_lo, exec_lo, s6
	s_cbranch_vccz .LBB162_16
.LBB162_2:
	s_delay_alu instid0(VALU_DEP_2)
	v_cmp_ne_u32_e32 vcc_lo, 1, v1
	v_mov_b32_e32 v9, s2
	s_cbranch_vccz .LBB162_17
.LBB162_3:
	v_cmp_ne_u32_e32 vcc_lo, 1, v1
	v_mov_b32_e32 v10, s3
	s_cbranch_vccnz .LBB162_5
.LBB162_4:
	v_dual_mov_b32 v1, s2 :: v_dual_mov_b32 v2, s3
	flat_load_b32 v10, v[1:2] offset:4
.LBB162_5:
	s_waitcnt vmcnt(0) lgkmcnt(0)
	v_cmp_eq_f32_e32 vcc_lo, 0, v11
	v_cmp_eq_f32_e64 s2, 0, v12
	s_delay_alu instid0(VALU_DEP_1)
	s_and_b32 s4, vcc_lo, s2
	s_mov_b32 s2, -1
	s_and_saveexec_b32 s3, s4
; %bb.6:
	v_cmp_neq_f32_e32 vcc_lo, 1.0, v9
	v_cmp_neq_f32_e64 s2, 0, v10
	s_delay_alu instid0(VALU_DEP_1) | instskip(NEXT) | instid1(SALU_CYCLE_1)
	s_or_b32 s2, vcc_lo, s2
	s_or_not1_b32 s2, s2, exec_lo
; %bb.7:
	s_or_b32 exec_lo, exec_lo, s3
	s_and_saveexec_b32 s3, s2
	s_cbranch_execz .LBB162_44
; %bb.8:
	s_clause 0x1
	s_load_b128 s[4:7], s[0:1], 0x20
	s_load_b64 s[10:11], s[0:1], 0x30
	s_mov_b32 s9, 0
	s_waitcnt lgkmcnt(0)
	s_cmp_eq_u64 s[4:5], 0
	s_cbranch_scc1 .LBB162_10
; %bb.9:
	s_lshl_b64 s[2:3], s[8:9], 3
	s_delay_alu instid0(SALU_CYCLE_1)
	s_add_u32 s2, s4, s2
	s_addc_u32 s3, s5, s3
	s_load_b64 s[2:3], s[2:3], 0x0
	s_waitcnt lgkmcnt(0)
	s_sub_u32 s8, s2, s12
	s_subb_u32 s9, s3, 0
.LBB162_10:
	s_load_b32 s3, s[0:1], 0x8
	v_mul_u32_u24_e32 v1, 0xd7a, v0
	v_dual_mov_b32 v2, 0 :: v_dual_lshlrev_b32 v13, 3, v0
	s_delay_alu instid0(VALU_DEP_2) | instskip(NEXT) | instid1(VALU_DEP_1)
	v_lshrrev_b32_e32 v3, 16, v1
	v_mul_lo_u16 v1, v3, 19
	s_delay_alu instid0(VALU_DEP_1)
	v_sub_nc_u16 v14, v0, v1
	v_mov_b32_e32 v1, 0
	s_waitcnt lgkmcnt(0)
	s_cmp_eq_u32 s3, 1
	s_cselect_b32 s2, -1, 0
	s_cmp_lg_u32 s3, 1
	s_cselect_b32 s3, -1, 0
	s_lshl_b64 s[4:5], s[8:9], 3
	s_delay_alu instid0(SALU_CYCLE_1)
	s_add_u32 s6, s6, s4
	s_addc_u32 s7, s7, s5
	s_add_u32 s13, s6, 8
	s_addc_u32 s14, s7, 0
	;; [unrolled: 2-line block ×3, first 2 shown]
	s_cmp_eq_u64 s[10:11], 0
	s_load_b64 s[10:11], s[0:1], 0x58
	s_cselect_b32 s5, s14, s5
	s_cselect_b32 s4, s13, s4
	s_load_b64 s[16:17], s[6:7], 0x0
	s_load_b64 s[14:15], s[4:5], 0x0
	s_waitcnt lgkmcnt(0)
	v_cmp_ge_i64_e64 s4, s[16:17], s[14:15]
	s_delay_alu instid0(VALU_DEP_1)
	s_and_b32 vcc_lo, exec_lo, s4
	s_cbranch_vccnz .LBB162_18
; %bb.11:
	v_mul_lo_u16 v1, v3, 14
	v_dual_mov_b32 v2, 0 :: v_dual_and_b32 v5, 0xffff, v0
	v_and_b32_e32 v4, 0xffff, v14
	s_clause 0x1
	s_load_b128 s[4:7], s[0:1], 0x38
	s_load_b64 s[18:19], s[0:1], 0x48
	v_lshrrev_b16 v1, 8, v1
	s_sub_u32 s0, s14, s12
	s_subb_u32 s1, s15, 0
	s_sub_u32 s14, s16, s12
	s_subb_u32 s15, s17, 0
	v_mul_lo_u16 v1, v1, 19
	v_lshlrev_b32_e32 v16, 3, v0
	s_mul_hi_u32 s13, s14, 0xb48
	s_mul_i32 s20, s15, 0xb48
	s_mul_i32 s21, s14, 0xb48
	v_sub_nc_u16 v1, v3, v1
	v_mul_u32_u24_e32 v3, 0xb6, v5
	s_add_i32 s13, s13, s20
	s_delay_alu instid0(VALU_DEP_2) | instskip(NEXT) | instid1(VALU_DEP_2)
	v_and_b32_e32 v1, 0xff, v1
	v_lshrrev_b32_e32 v15, 16, v3
	s_delay_alu instid0(VALU_DEP_2) | instskip(NEXT) | instid1(VALU_DEP_2)
	v_cndmask_b32_e64 v1, v4, v1, s2
	v_add_co_u32 v3, s2, s16, v15
	s_delay_alu instid0(VALU_DEP_1) | instskip(NEXT) | instid1(VALU_DEP_3)
	v_add_co_ci_u32_e64 v4, null, s17, 0, s2
	v_lshlrev_b32_e32 v1, 3, v1
	s_delay_alu instid0(VALU_DEP_3) | instskip(NEXT) | instid1(VALU_DEP_3)
	v_sub_co_u32 v5, vcc_lo, v3, s12
	v_subrev_co_ci_u32_e32 v6, vcc_lo, 0, v4, vcc_lo
	s_waitcnt lgkmcnt(0)
	s_add_u32 s2, s6, s21
	v_add_co_u32 v3, s6, s18, v1
	v_mov_b32_e32 v1, v2
	v_lshlrev_b64 v[7:8], 3, v[5:6]
	v_add_co_ci_u32_e64 v4, null, s19, 0, s6
	s_addc_u32 s6, s7, s13
	v_add_co_u32 v5, s2, s2, v16
	s_delay_alu instid0(VALU_DEP_3)
	v_add_co_u32 v7, vcc_lo, s4, v7
	v_add_co_ci_u32_e64 v6, null, s6, 0, s2
	v_add_co_ci_u32_e32 v8, vcc_lo, s5, v8, vcc_lo
	s_set_inst_prefetch_distance 0x1
	s_branch .LBB162_13
	.p2align	6
.LBB162_12:                             ;   in Loop: Header=BB162_13 Depth=1
	s_or_b32 exec_lo, exec_lo, s2
	s_add_u32 s14, s14, 1
	s_addc_u32 s15, s15, 0
	v_add_co_u32 v7, vcc_lo, v7, 8
	v_cmp_lt_i64_e64 s2, s[14:15], s[0:1]
	v_add_co_ci_u32_e32 v8, vcc_lo, 0, v8, vcc_lo
	s_delay_alu instid0(VALU_DEP_2)
	s_and_b32 vcc_lo, exec_lo, s2
	s_cbranch_vccz .LBB162_18
.LBB162_13:                             ; =>This Inner Loop Header: Depth=1
	v_add_co_u32 v16, s2, v15, s14
	s_delay_alu instid0(VALU_DEP_1) | instskip(SKIP_1) | instid1(VALU_DEP_1)
	v_add_co_ci_u32_e64 v17, null, 0, s15, s2
	s_mov_b32 s2, exec_lo
	v_cmpx_gt_i64_e64 s[0:1], v[16:17]
	s_cbranch_execz .LBB162_12
; %bb.14:                               ;   in Loop: Header=BB162_13 Depth=1
	global_load_b64 v[16:17], v[7:8], off
	s_waitcnt vmcnt(0)
	v_sub_co_u32 v18, vcc_lo, v16, s12
	v_subrev_co_ci_u32_e32 v20, vcc_lo, 0, v17, vcc_lo
	s_delay_alu instid0(VALU_DEP_2) | instskip(NEXT) | instid1(VALU_DEP_1)
	v_mad_u64_u32 v[16:17], null, 0x98, v18, v[3:4]
	v_mad_u64_u32 v[18:19], null, 0x98, v20, v[17:18]
	s_delay_alu instid0(VALU_DEP_1)
	v_mov_b32_e32 v17, v18
	global_load_b64 v[18:19], v[5:6], off
	global_load_b64 v[16:17], v[16:17], off
	v_add_co_u32 v5, vcc_lo, 0xb48, v5
	v_add_co_ci_u32_e32 v6, vcc_lo, 0, v6, vcc_lo
	s_waitcnt vmcnt(0)
	v_fmac_f32_e32 v2, v19, v16
	v_fmac_f32_e32 v1, v18, v16
	s_delay_alu instid0(VALU_DEP_2) | instskip(NEXT) | instid1(VALU_DEP_2)
	v_fmac_f32_e32 v2, v18, v17
	v_fma_f32 v1, -v19, v17, v1
	s_branch .LBB162_12
.LBB162_15:
	v_dual_mov_b32 v1, s4 :: v_dual_mov_b32 v2, s5
	flat_load_b32 v11, v[1:2]
	v_cndmask_b32_e64 v1, 0, 1, s6
	v_mov_b32_e32 v12, s5
	s_and_not1_b32 vcc_lo, exec_lo, s6
	s_cbranch_vccnz .LBB162_2
.LBB162_16:
	v_dual_mov_b32 v2, s4 :: v_dual_mov_b32 v3, s5
	flat_load_b32 v12, v[2:3] offset:4
	v_cmp_ne_u32_e32 vcc_lo, 1, v1
	v_mov_b32_e32 v9, s2
	s_cbranch_vccnz .LBB162_3
.LBB162_17:
	v_dual_mov_b32 v2, s2 :: v_dual_mov_b32 v3, s3
	flat_load_b32 v9, v[2:3]
	v_cmp_ne_u32_e32 vcc_lo, 1, v1
	v_mov_b32_e32 v10, s3
	s_cbranch_vccz .LBB162_4
	s_branch .LBB162_5
.LBB162_18:
	s_set_inst_prefetch_distance 0x2
	s_and_b32 vcc_lo, exec_lo, s3
	ds_store_b64 v13, v[1:2]
	s_waitcnt lgkmcnt(0)
	s_barrier
	buffer_gl0_inv
	s_cbranch_vccz .LBB162_30
; %bb.19:
	s_mov_b32 s0, exec_lo
	v_cmpx_gt_u16_e32 3, v14
	s_cbranch_execz .LBB162_21
; %bb.20:
	ds_load_2addr_b64 v[3:6], v13 offset1:16
	s_waitcnt lgkmcnt(0)
	v_dual_add_f32 v3, v5, v3 :: v_dual_add_f32 v4, v6, v4
	ds_store_b64 v13, v[3:4]
.LBB162_21:
	s_or_b32 exec_lo, exec_lo, s0
	s_delay_alu instid0(SALU_CYCLE_1)
	s_mov_b32 s0, exec_lo
	s_waitcnt lgkmcnt(0)
	s_barrier
	buffer_gl0_inv
	v_cmpx_gt_u16_e32 8, v14
	s_cbranch_execz .LBB162_23
; %bb.22:
	ds_load_2addr_b64 v[3:6], v13 offset1:8
	s_waitcnt lgkmcnt(0)
	v_dual_add_f32 v3, v5, v3 :: v_dual_add_f32 v4, v6, v4
	ds_store_b64 v13, v[3:4]
.LBB162_23:
	s_or_b32 exec_lo, exec_lo, s0
	s_delay_alu instid0(SALU_CYCLE_1)
	s_mov_b32 s0, exec_lo
	s_waitcnt lgkmcnt(0)
	s_barrier
	buffer_gl0_inv
	;; [unrolled: 14-line block ×3, first 2 shown]
	v_cmpx_gt_u16_e32 2, v14
	s_cbranch_execz .LBB162_27
; %bb.26:
	ds_load_2addr_b64 v[3:6], v13 offset1:2
	s_waitcnt lgkmcnt(0)
	v_dual_add_f32 v3, v5, v3 :: v_dual_add_f32 v4, v6, v4
	ds_store_b64 v13, v[3:4]
.LBB162_27:
	s_or_b32 exec_lo, exec_lo, s0
	s_mov_b32 s1, 0
	s_mov_b32 s0, 0
	s_mov_b32 s2, exec_lo
	s_waitcnt lgkmcnt(0)
	s_barrier
	buffer_gl0_inv
                                        ; implicit-def: $vgpr4
                                        ; implicit-def: $vgpr3
	v_cmpx_gt_u32_e32 19, v0
	s_xor_b32 s2, exec_lo, s2
; %bb.28:
	v_mul_u32_u24_e32 v3, 19, v0
	s_mov_b32 s0, exec_lo
	s_delay_alu instid0(VALU_DEP_1)
	v_lshlrev_b32_e32 v4, 3, v3
	v_mad_u32_u24 v3, v0, 19, 1
; %bb.29:
	s_or_b32 exec_lo, exec_lo, s2
	s_delay_alu instid0(SALU_CYCLE_1)
	s_and_b32 vcc_lo, exec_lo, s1
	s_cbranch_vccnz .LBB162_31
	s_branch .LBB162_42
.LBB162_30:
	s_mov_b32 s0, 0
                                        ; implicit-def: $vgpr4
                                        ; implicit-def: $vgpr3
	s_cbranch_execz .LBB162_42
.LBB162_31:
	s_mov_b32 s1, exec_lo
	v_cmpx_gt_u32_e32 57, v0
	s_cbranch_execz .LBB162_33
; %bb.32:
	ds_load_b64 v[3:4], v13 offset:2432
	ds_load_b64 v[5:6], v13
	s_waitcnt lgkmcnt(0)
	v_dual_add_f32 v3, v3, v5 :: v_dual_add_f32 v4, v4, v6
	ds_store_b64 v13, v[3:4]
.LBB162_33:
	s_or_b32 exec_lo, exec_lo, s1
	s_delay_alu instid0(SALU_CYCLE_1)
	s_mov_b32 s1, exec_lo
	s_waitcnt lgkmcnt(0)
	s_barrier
	buffer_gl0_inv
	v_cmpx_gt_u32_e32 0x98, v0
	s_cbranch_execz .LBB162_35
; %bb.34:
	ds_load_2addr_b64 v[3:6], v13 offset1:152
	s_waitcnt lgkmcnt(0)
	v_dual_add_f32 v3, v5, v3 :: v_dual_add_f32 v4, v6, v4
	ds_store_b64 v13, v[3:4]
.LBB162_35:
	s_or_b32 exec_lo, exec_lo, s1
	s_delay_alu instid0(SALU_CYCLE_1)
	s_mov_b32 s1, exec_lo
	s_waitcnt lgkmcnt(0)
	s_barrier
	buffer_gl0_inv
	v_cmpx_gt_u32_e32 0x4c, v0
	s_cbranch_execz .LBB162_37
; %bb.36:
	ds_load_2addr_b64 v[3:6], v13 offset1:76
	s_waitcnt lgkmcnt(0)
	v_dual_add_f32 v3, v5, v3 :: v_dual_add_f32 v4, v6, v4
	ds_store_b64 v13, v[3:4]
.LBB162_37:
	;; [unrolled: 14-line block ×3, first 2 shown]
	s_or_b32 exec_lo, exec_lo, s1
	s_delay_alu instid0(SALU_CYCLE_1)
	s_mov_b32 s1, exec_lo
	s_waitcnt lgkmcnt(0)
	buffer_gl0_inv
                                        ; implicit-def: $vgpr3
	v_cmpx_gt_u32_e32 19, v0
; %bb.40:
	v_add_nc_u32_e32 v3, 19, v0
	s_or_b32 s0, s0, exec_lo
                                        ; implicit-def: $vgpr2
; %bb.41:
	s_or_b32 exec_lo, exec_lo, s1
	v_mov_b32_e32 v4, v13
.LBB162_42:
	s_and_saveexec_b32 s1, s0
	s_cbranch_execnz .LBB162_45
; %bb.43:
	s_or_b32 exec_lo, exec_lo, s1
	v_cmp_gt_u32_e32 vcc_lo, 19, v0
	s_and_b32 exec_lo, exec_lo, vcc_lo
	s_cbranch_execnz .LBB162_46
.LBB162_44:
	s_nop 0
	s_sendmsg sendmsg(MSG_DEALLOC_VGPRS)
	s_endpgm
.LBB162_45:
	v_lshlrev_b32_e32 v3, 3, v3
	ds_load_2addr_b32 v[1:2], v4 offset1:1
	ds_load_b64 v[3:4], v3
	s_waitcnt lgkmcnt(0)
	v_dual_add_f32 v2, v4, v2 :: v_dual_add_f32 v1, v3, v1
	s_or_b32 exec_lo, exec_lo, s1
	v_cmp_gt_u32_e32 vcc_lo, 19, v0
	s_and_b32 exec_lo, exec_lo, vcc_lo
	s_cbranch_execz .LBB162_44
.LBB162_46:
	v_mul_f32_e64 v3, v2, -v12
	v_mul_f32_e32 v4, v2, v11
	v_cmp_eq_f32_e32 vcc_lo, 0, v9
	v_cmp_eq_f32_e64 s0, 0, v10
	s_mul_hi_u32 s1, s8, 0x98
	v_fmac_f32_e32 v3, v11, v1
	v_fmac_f32_e32 v4, v12, v1
	s_mul_i32 s2, s8, 0x98
	s_and_b32 s3, vcc_lo, s0
	s_mul_i32 s0, s9, 0x98
	s_and_saveexec_b32 s4, s3
	s_delay_alu instid0(SALU_CYCLE_1)
	s_xor_b32 s3, exec_lo, s4
	s_cbranch_execz .LBB162_48
; %bb.47:
	v_lshlrev_b32_e32 v0, 3, v0
	s_add_i32 s5, s1, s0
	s_add_u32 s4, s10, s2
	s_addc_u32 s5, s11, s5
                                        ; implicit-def: $vgpr9
                                        ; implicit-def: $vgpr10
	global_store_b64 v0, v[3:4], s[4:5]
                                        ; implicit-def: $vgpr0
                                        ; implicit-def: $vgpr3
.LBB162_48:
	s_and_not1_saveexec_b32 s3, s3
	s_cbranch_execz .LBB162_44
; %bb.49:
	v_lshlrev_b32_e32 v2, 3, v0
	s_add_i32 s1, s1, s0
	s_add_u32 s0, s10, s2
	s_addc_u32 s1, s11, s1
	global_load_b64 v[0:1], v2, s[0:1]
	s_waitcnt vmcnt(0)
	v_fmac_f32_e32 v3, v9, v0
	v_fmac_f32_e32 v4, v10, v0
	s_delay_alu instid0(VALU_DEP_2) | instskip(NEXT) | instid1(VALU_DEP_2)
	v_fma_f32 v3, -v10, v1, v3
	v_fmac_f32_e32 v4, v9, v1
	global_store_b64 v2, v[3:4], s[0:1]
	s_nop 0
	s_sendmsg sendmsg(MSG_DEALLOC_VGPRS)
	s_endpgm
	.section	.rodata,"a",@progbits
	.p2align	6, 0x0
	.amdhsa_kernel _ZN9rocsparseL20bsrxmvn_17_32_kernelILj19E21rocsparse_complex_numIfEllS2_S2_S2_EEvT2_20rocsparse_direction_NS_24const_host_device_scalarIT0_EES3_PKS3_PKT1_SC_S9_PKT3_PKT4_S7_PT5_21rocsparse_index_base_b
		.amdhsa_group_segment_fixed_size 2888
		.amdhsa_private_segment_fixed_size 0
		.amdhsa_kernarg_size 104
		.amdhsa_user_sgpr_count 15
		.amdhsa_user_sgpr_dispatch_ptr 0
		.amdhsa_user_sgpr_queue_ptr 0
		.amdhsa_user_sgpr_kernarg_segment_ptr 1
		.amdhsa_user_sgpr_dispatch_id 0
		.amdhsa_user_sgpr_private_segment_size 0
		.amdhsa_wavefront_size32 1
		.amdhsa_uses_dynamic_stack 0
		.amdhsa_enable_private_segment 0
		.amdhsa_system_sgpr_workgroup_id_x 1
		.amdhsa_system_sgpr_workgroup_id_y 0
		.amdhsa_system_sgpr_workgroup_id_z 0
		.amdhsa_system_sgpr_workgroup_info 0
		.amdhsa_system_vgpr_workitem_id 0
		.amdhsa_next_free_vgpr 21
		.amdhsa_next_free_sgpr 22
		.amdhsa_reserve_vcc 1
		.amdhsa_float_round_mode_32 0
		.amdhsa_float_round_mode_16_64 0
		.amdhsa_float_denorm_mode_32 3
		.amdhsa_float_denorm_mode_16_64 3
		.amdhsa_dx10_clamp 1
		.amdhsa_ieee_mode 1
		.amdhsa_fp16_overflow 0
		.amdhsa_workgroup_processor_mode 1
		.amdhsa_memory_ordered 1
		.amdhsa_forward_progress 0
		.amdhsa_shared_vgpr_count 0
		.amdhsa_exception_fp_ieee_invalid_op 0
		.amdhsa_exception_fp_denorm_src 0
		.amdhsa_exception_fp_ieee_div_zero 0
		.amdhsa_exception_fp_ieee_overflow 0
		.amdhsa_exception_fp_ieee_underflow 0
		.amdhsa_exception_fp_ieee_inexact 0
		.amdhsa_exception_int_div_zero 0
	.end_amdhsa_kernel
	.section	.text._ZN9rocsparseL20bsrxmvn_17_32_kernelILj19E21rocsparse_complex_numIfEllS2_S2_S2_EEvT2_20rocsparse_direction_NS_24const_host_device_scalarIT0_EES3_PKS3_PKT1_SC_S9_PKT3_PKT4_S7_PT5_21rocsparse_index_base_b,"axG",@progbits,_ZN9rocsparseL20bsrxmvn_17_32_kernelILj19E21rocsparse_complex_numIfEllS2_S2_S2_EEvT2_20rocsparse_direction_NS_24const_host_device_scalarIT0_EES3_PKS3_PKT1_SC_S9_PKT3_PKT4_S7_PT5_21rocsparse_index_base_b,comdat
.Lfunc_end162:
	.size	_ZN9rocsparseL20bsrxmvn_17_32_kernelILj19E21rocsparse_complex_numIfEllS2_S2_S2_EEvT2_20rocsparse_direction_NS_24const_host_device_scalarIT0_EES3_PKS3_PKT1_SC_S9_PKT3_PKT4_S7_PT5_21rocsparse_index_base_b, .Lfunc_end162-_ZN9rocsparseL20bsrxmvn_17_32_kernelILj19E21rocsparse_complex_numIfEllS2_S2_S2_EEvT2_20rocsparse_direction_NS_24const_host_device_scalarIT0_EES3_PKS3_PKT1_SC_S9_PKT3_PKT4_S7_PT5_21rocsparse_index_base_b
                                        ; -- End function
	.section	.AMDGPU.csdata,"",@progbits
; Kernel info:
; codeLenInByte = 1928
; NumSgprs: 24
; NumVgprs: 21
; ScratchSize: 0
; MemoryBound: 0
; FloatMode: 240
; IeeeMode: 1
; LDSByteSize: 2888 bytes/workgroup (compile time only)
; SGPRBlocks: 2
; VGPRBlocks: 2
; NumSGPRsForWavesPerEU: 24
; NumVGPRsForWavesPerEU: 21
; Occupancy: 15
; WaveLimiterHint : 1
; COMPUTE_PGM_RSRC2:SCRATCH_EN: 0
; COMPUTE_PGM_RSRC2:USER_SGPR: 15
; COMPUTE_PGM_RSRC2:TRAP_HANDLER: 0
; COMPUTE_PGM_RSRC2:TGID_X_EN: 1
; COMPUTE_PGM_RSRC2:TGID_Y_EN: 0
; COMPUTE_PGM_RSRC2:TGID_Z_EN: 0
; COMPUTE_PGM_RSRC2:TIDIG_COMP_CNT: 0
	.section	.text._ZN9rocsparseL20bsrxmvn_17_32_kernelILj20E21rocsparse_complex_numIfEllS2_S2_S2_EEvT2_20rocsparse_direction_NS_24const_host_device_scalarIT0_EES3_PKS3_PKT1_SC_S9_PKT3_PKT4_S7_PT5_21rocsparse_index_base_b,"axG",@progbits,_ZN9rocsparseL20bsrxmvn_17_32_kernelILj20E21rocsparse_complex_numIfEllS2_S2_S2_EEvT2_20rocsparse_direction_NS_24const_host_device_scalarIT0_EES3_PKS3_PKT1_SC_S9_PKT3_PKT4_S7_PT5_21rocsparse_index_base_b,comdat
	.globl	_ZN9rocsparseL20bsrxmvn_17_32_kernelILj20E21rocsparse_complex_numIfEllS2_S2_S2_EEvT2_20rocsparse_direction_NS_24const_host_device_scalarIT0_EES3_PKS3_PKT1_SC_S9_PKT3_PKT4_S7_PT5_21rocsparse_index_base_b ; -- Begin function _ZN9rocsparseL20bsrxmvn_17_32_kernelILj20E21rocsparse_complex_numIfEllS2_S2_S2_EEvT2_20rocsparse_direction_NS_24const_host_device_scalarIT0_EES3_PKS3_PKT1_SC_S9_PKT3_PKT4_S7_PT5_21rocsparse_index_base_b
	.p2align	8
	.type	_ZN9rocsparseL20bsrxmvn_17_32_kernelILj20E21rocsparse_complex_numIfEllS2_S2_S2_EEvT2_20rocsparse_direction_NS_24const_host_device_scalarIT0_EES3_PKS3_PKT1_SC_S9_PKT3_PKT4_S7_PT5_21rocsparse_index_base_b,@function
_ZN9rocsparseL20bsrxmvn_17_32_kernelILj20E21rocsparse_complex_numIfEllS2_S2_S2_EEvT2_20rocsparse_direction_NS_24const_host_device_scalarIT0_EES3_PKS3_PKT1_SC_S9_PKT3_PKT4_S7_PT5_21rocsparse_index_base_b: ; @_ZN9rocsparseL20bsrxmvn_17_32_kernelILj20E21rocsparse_complex_numIfEllS2_S2_S2_EEvT2_20rocsparse_direction_NS_24const_host_device_scalarIT0_EES3_PKS3_PKT1_SC_S9_PKT3_PKT4_S7_PT5_21rocsparse_index_base_b
; %bb.0:
	s_clause 0x2
	s_load_b64 s[12:13], s[0:1], 0x60
	s_load_b64 s[4:5], s[0:1], 0x10
	;; [unrolled: 1-line block ×3, first 2 shown]
	s_mov_b32 s8, s15
	s_waitcnt lgkmcnt(0)
	s_bitcmp1_b32 s13, 0
	v_mov_b32_e32 v11, s4
	s_cselect_b32 s6, -1, 0
	s_delay_alu instid0(SALU_CYCLE_1)
	s_and_b32 vcc_lo, exec_lo, s6
	s_xor_b32 s6, s6, -1
	s_cbranch_vccz .LBB163_15
; %bb.1:
	v_cndmask_b32_e64 v1, 0, 1, s6
	v_mov_b32_e32 v12, s5
	s_and_not1_b32 vcc_lo, exec_lo, s6
	s_cbranch_vccz .LBB163_16
.LBB163_2:
	s_delay_alu instid0(VALU_DEP_2)
	v_cmp_ne_u32_e32 vcc_lo, 1, v1
	v_mov_b32_e32 v9, s2
	s_cbranch_vccz .LBB163_17
.LBB163_3:
	v_cmp_ne_u32_e32 vcc_lo, 1, v1
	v_mov_b32_e32 v10, s3
	s_cbranch_vccnz .LBB163_5
.LBB163_4:
	v_dual_mov_b32 v1, s2 :: v_dual_mov_b32 v2, s3
	flat_load_b32 v10, v[1:2] offset:4
.LBB163_5:
	s_waitcnt vmcnt(0) lgkmcnt(0)
	v_cmp_eq_f32_e32 vcc_lo, 0, v11
	v_cmp_eq_f32_e64 s2, 0, v12
	s_delay_alu instid0(VALU_DEP_1)
	s_and_b32 s4, vcc_lo, s2
	s_mov_b32 s2, -1
	s_and_saveexec_b32 s3, s4
; %bb.6:
	v_cmp_neq_f32_e32 vcc_lo, 1.0, v9
	v_cmp_neq_f32_e64 s2, 0, v10
	s_delay_alu instid0(VALU_DEP_1) | instskip(NEXT) | instid1(SALU_CYCLE_1)
	s_or_b32 s2, vcc_lo, s2
	s_or_not1_b32 s2, s2, exec_lo
; %bb.7:
	s_or_b32 exec_lo, exec_lo, s3
	s_and_saveexec_b32 s3, s2
	s_cbranch_execz .LBB163_44
; %bb.8:
	s_clause 0x1
	s_load_b128 s[4:7], s[0:1], 0x20
	s_load_b64 s[10:11], s[0:1], 0x30
	s_mov_b32 s9, 0
	s_waitcnt lgkmcnt(0)
	s_cmp_eq_u64 s[4:5], 0
	s_cbranch_scc1 .LBB163_10
; %bb.9:
	s_lshl_b64 s[2:3], s[8:9], 3
	s_delay_alu instid0(SALU_CYCLE_1)
	s_add_u32 s2, s4, s2
	s_addc_u32 s3, s5, s3
	s_load_b64 s[2:3], s[2:3], 0x0
	s_waitcnt lgkmcnt(0)
	s_sub_u32 s8, s2, s12
	s_subb_u32 s9, s3, 0
.LBB163_10:
	s_load_b32 s3, s[0:1], 0x8
	v_mul_u32_u24_e32 v1, 0xccd, v0
	v_dual_mov_b32 v2, 0 :: v_dual_lshlrev_b32 v13, 3, v0
	s_delay_alu instid0(VALU_DEP_2) | instskip(NEXT) | instid1(VALU_DEP_1)
	v_lshrrev_b32_e32 v3, 16, v1
	v_mul_lo_u16 v1, v3, 20
	s_delay_alu instid0(VALU_DEP_1)
	v_sub_nc_u16 v14, v0, v1
	v_mov_b32_e32 v1, 0
	s_waitcnt lgkmcnt(0)
	s_cmp_eq_u32 s3, 1
	s_cselect_b32 s2, -1, 0
	s_cmp_lg_u32 s3, 1
	s_cselect_b32 s3, -1, 0
	s_lshl_b64 s[4:5], s[8:9], 3
	s_delay_alu instid0(SALU_CYCLE_1)
	s_add_u32 s6, s6, s4
	s_addc_u32 s7, s7, s5
	s_add_u32 s13, s6, 8
	s_addc_u32 s14, s7, 0
	;; [unrolled: 2-line block ×3, first 2 shown]
	s_cmp_eq_u64 s[10:11], 0
	s_load_b64 s[10:11], s[0:1], 0x58
	s_cselect_b32 s5, s14, s5
	s_cselect_b32 s4, s13, s4
	s_load_b64 s[16:17], s[6:7], 0x0
	s_load_b64 s[14:15], s[4:5], 0x0
	s_waitcnt lgkmcnt(0)
	v_cmp_ge_i64_e64 s4, s[16:17], s[14:15]
	s_delay_alu instid0(VALU_DEP_1)
	s_and_b32 vcc_lo, exec_lo, s4
	s_cbranch_vccnz .LBB163_18
; %bb.11:
	v_mul_lo_u16 v1, v3, 13
	v_dual_mov_b32 v2, 0 :: v_dual_and_b32 v5, 0xffff, v0
	v_and_b32_e32 v4, 0xffff, v14
	s_clause 0x1
	s_load_b128 s[4:7], s[0:1], 0x38
	s_load_b64 s[18:19], s[0:1], 0x48
	v_lshrrev_b16 v1, 8, v1
	s_sub_u32 s0, s14, s12
	s_subb_u32 s1, s15, 0
	s_sub_u32 s14, s16, s12
	s_subb_u32 s15, s17, 0
	v_mul_lo_u16 v1, v1, 20
	v_lshlrev_b32_e32 v16, 3, v0
	s_mul_hi_u32 s13, s14, 0xc80
	s_mul_i32 s20, s15, 0xc80
	s_mul_i32 s21, s14, 0xc80
	v_sub_nc_u16 v1, v3, v1
	v_mul_u32_u24_e32 v3, 0xa4, v5
	s_add_i32 s13, s13, s20
	s_delay_alu instid0(VALU_DEP_2) | instskip(NEXT) | instid1(VALU_DEP_2)
	v_and_b32_e32 v1, 0xff, v1
	v_lshrrev_b32_e32 v15, 16, v3
	s_delay_alu instid0(VALU_DEP_2) | instskip(NEXT) | instid1(VALU_DEP_2)
	v_cndmask_b32_e64 v1, v4, v1, s2
	v_add_co_u32 v3, s2, s16, v15
	s_delay_alu instid0(VALU_DEP_1) | instskip(NEXT) | instid1(VALU_DEP_3)
	v_add_co_ci_u32_e64 v4, null, s17, 0, s2
	v_lshlrev_b32_e32 v1, 3, v1
	s_delay_alu instid0(VALU_DEP_3) | instskip(NEXT) | instid1(VALU_DEP_3)
	v_sub_co_u32 v5, vcc_lo, v3, s12
	v_subrev_co_ci_u32_e32 v6, vcc_lo, 0, v4, vcc_lo
	s_waitcnt lgkmcnt(0)
	s_add_u32 s2, s6, s21
	v_add_co_u32 v3, s6, s18, v1
	v_mov_b32_e32 v1, v2
	v_lshlrev_b64 v[7:8], 3, v[5:6]
	v_add_co_ci_u32_e64 v4, null, s19, 0, s6
	s_addc_u32 s6, s7, s13
	v_add_co_u32 v5, s2, s2, v16
	s_delay_alu instid0(VALU_DEP_3)
	v_add_co_u32 v7, vcc_lo, s4, v7
	v_add_co_ci_u32_e64 v6, null, s6, 0, s2
	v_add_co_ci_u32_e32 v8, vcc_lo, s5, v8, vcc_lo
	s_set_inst_prefetch_distance 0x1
	s_branch .LBB163_13
	.p2align	6
.LBB163_12:                             ;   in Loop: Header=BB163_13 Depth=1
	s_or_b32 exec_lo, exec_lo, s2
	s_add_u32 s14, s14, 1
	s_addc_u32 s15, s15, 0
	v_add_co_u32 v7, vcc_lo, v7, 8
	v_cmp_lt_i64_e64 s2, s[14:15], s[0:1]
	v_add_co_ci_u32_e32 v8, vcc_lo, 0, v8, vcc_lo
	s_delay_alu instid0(VALU_DEP_2)
	s_and_b32 vcc_lo, exec_lo, s2
	s_cbranch_vccz .LBB163_18
.LBB163_13:                             ; =>This Inner Loop Header: Depth=1
	v_add_co_u32 v16, s2, v15, s14
	s_delay_alu instid0(VALU_DEP_1) | instskip(SKIP_1) | instid1(VALU_DEP_1)
	v_add_co_ci_u32_e64 v17, null, 0, s15, s2
	s_mov_b32 s2, exec_lo
	v_cmpx_gt_i64_e64 s[0:1], v[16:17]
	s_cbranch_execz .LBB163_12
; %bb.14:                               ;   in Loop: Header=BB163_13 Depth=1
	global_load_b64 v[16:17], v[7:8], off
	s_waitcnt vmcnt(0)
	v_sub_co_u32 v18, vcc_lo, v16, s12
	v_subrev_co_ci_u32_e32 v20, vcc_lo, 0, v17, vcc_lo
	s_delay_alu instid0(VALU_DEP_2) | instskip(NEXT) | instid1(VALU_DEP_1)
	v_mad_u64_u32 v[16:17], null, 0xa0, v18, v[3:4]
	v_mad_u64_u32 v[18:19], null, 0xa0, v20, v[17:18]
	s_delay_alu instid0(VALU_DEP_1)
	v_mov_b32_e32 v17, v18
	global_load_b64 v[18:19], v[5:6], off
	global_load_b64 v[16:17], v[16:17], off
	v_add_co_u32 v5, vcc_lo, 0xc80, v5
	v_add_co_ci_u32_e32 v6, vcc_lo, 0, v6, vcc_lo
	s_waitcnt vmcnt(0)
	v_fmac_f32_e32 v2, v19, v16
	v_fmac_f32_e32 v1, v18, v16
	s_delay_alu instid0(VALU_DEP_2) | instskip(NEXT) | instid1(VALU_DEP_2)
	v_fmac_f32_e32 v2, v18, v17
	v_fma_f32 v1, -v19, v17, v1
	s_branch .LBB163_12
.LBB163_15:
	v_dual_mov_b32 v1, s4 :: v_dual_mov_b32 v2, s5
	flat_load_b32 v11, v[1:2]
	v_cndmask_b32_e64 v1, 0, 1, s6
	v_mov_b32_e32 v12, s5
	s_and_not1_b32 vcc_lo, exec_lo, s6
	s_cbranch_vccnz .LBB163_2
.LBB163_16:
	v_dual_mov_b32 v2, s4 :: v_dual_mov_b32 v3, s5
	flat_load_b32 v12, v[2:3] offset:4
	v_cmp_ne_u32_e32 vcc_lo, 1, v1
	v_mov_b32_e32 v9, s2
	s_cbranch_vccnz .LBB163_3
.LBB163_17:
	v_dual_mov_b32 v2, s2 :: v_dual_mov_b32 v3, s3
	flat_load_b32 v9, v[2:3]
	v_cmp_ne_u32_e32 vcc_lo, 1, v1
	v_mov_b32_e32 v10, s3
	s_cbranch_vccz .LBB163_4
	s_branch .LBB163_5
.LBB163_18:
	s_set_inst_prefetch_distance 0x2
	s_and_b32 vcc_lo, exec_lo, s3
	ds_store_b64 v13, v[1:2]
	s_waitcnt lgkmcnt(0)
	s_barrier
	buffer_gl0_inv
	s_cbranch_vccz .LBB163_30
; %bb.19:
	v_cmp_gt_u16_e32 vcc_lo, 4, v14
	s_and_saveexec_b32 s0, vcc_lo
	s_cbranch_execz .LBB163_21
; %bb.20:
	ds_load_2addr_b64 v[3:6], v13 offset1:16
	s_waitcnt lgkmcnt(0)
	v_dual_add_f32 v3, v5, v3 :: v_dual_add_f32 v4, v6, v4
	ds_store_b64 v13, v[3:4]
.LBB163_21:
	s_or_b32 exec_lo, exec_lo, s0
	s_delay_alu instid0(SALU_CYCLE_1)
	s_mov_b32 s1, exec_lo
	s_waitcnt lgkmcnt(0)
	s_barrier
	buffer_gl0_inv
	v_cmpx_gt_u16_e32 8, v14
	s_cbranch_execz .LBB163_23
; %bb.22:
	ds_load_2addr_b64 v[3:6], v13 offset1:8
	s_waitcnt lgkmcnt(0)
	v_dual_add_f32 v3, v5, v3 :: v_dual_add_f32 v4, v6, v4
	ds_store_b64 v13, v[3:4]
.LBB163_23:
	s_or_b32 exec_lo, exec_lo, s1
	s_waitcnt lgkmcnt(0)
	s_barrier
	buffer_gl0_inv
	s_and_saveexec_b32 s0, vcc_lo
	s_cbranch_execz .LBB163_25
; %bb.24:
	ds_load_2addr_b64 v[3:6], v13 offset1:4
	s_waitcnt lgkmcnt(0)
	v_dual_add_f32 v3, v5, v3 :: v_dual_add_f32 v4, v6, v4
	ds_store_b64 v13, v[3:4]
.LBB163_25:
	s_or_b32 exec_lo, exec_lo, s0
	s_delay_alu instid0(SALU_CYCLE_1)
	s_mov_b32 s0, exec_lo
	s_waitcnt lgkmcnt(0)
	s_barrier
	buffer_gl0_inv
	v_cmpx_gt_u16_e32 2, v14
	s_cbranch_execz .LBB163_27
; %bb.26:
	ds_load_2addr_b64 v[3:6], v13 offset1:2
	s_waitcnt lgkmcnt(0)
	v_dual_add_f32 v3, v5, v3 :: v_dual_add_f32 v4, v6, v4
	ds_store_b64 v13, v[3:4]
.LBB163_27:
	s_or_b32 exec_lo, exec_lo, s0
	s_mov_b32 s0, 0
	s_mov_b32 s1, 0
	s_mov_b32 s2, exec_lo
	s_waitcnt lgkmcnt(0)
	s_barrier
	buffer_gl0_inv
                                        ; implicit-def: $vgpr4
                                        ; implicit-def: $vgpr3
	v_cmpx_gt_u32_e32 20, v0
	s_xor_b32 s2, exec_lo, s2
; %bb.28:
	v_mul_u32_u24_e32 v3, 20, v0
	s_mov_b32 s1, exec_lo
	s_delay_alu instid0(VALU_DEP_1)
	v_lshlrev_b32_e32 v4, 3, v3
	v_or_b32_e32 v3, 1, v3
; %bb.29:
	s_or_b32 exec_lo, exec_lo, s2
	s_delay_alu instid0(SALU_CYCLE_1)
	s_and_b32 vcc_lo, exec_lo, s0
	s_cbranch_vccnz .LBB163_31
	s_branch .LBB163_42
.LBB163_30:
	s_mov_b32 s1, 0
                                        ; implicit-def: $vgpr4
                                        ; implicit-def: $vgpr3
	s_cbranch_execz .LBB163_42
.LBB163_31:
	v_cmp_gt_u32_e32 vcc_lo, 0x50, v0
	s_and_saveexec_b32 s0, vcc_lo
	s_cbranch_execz .LBB163_33
; %bb.32:
	ds_load_2addr_stride64_b64 v[3:6], v13 offset1:5
	s_waitcnt lgkmcnt(0)
	v_dual_add_f32 v3, v5, v3 :: v_dual_add_f32 v4, v6, v4
	ds_store_b64 v13, v[3:4]
.LBB163_33:
	s_or_b32 exec_lo, exec_lo, s0
	s_delay_alu instid0(SALU_CYCLE_1)
	s_mov_b32 s2, exec_lo
	s_waitcnt lgkmcnt(0)
	s_barrier
	buffer_gl0_inv
	v_cmpx_gt_u32_e32 0xa0, v0
	s_cbranch_execz .LBB163_35
; %bb.34:
	ds_load_2addr_b64 v[3:6], v13 offset1:160
	s_waitcnt lgkmcnt(0)
	v_dual_add_f32 v3, v5, v3 :: v_dual_add_f32 v4, v6, v4
	ds_store_b64 v13, v[3:4]
.LBB163_35:
	s_or_b32 exec_lo, exec_lo, s2
	s_waitcnt lgkmcnt(0)
	s_barrier
	buffer_gl0_inv
	s_and_saveexec_b32 s0, vcc_lo
	s_cbranch_execz .LBB163_37
; %bb.36:
	ds_load_2addr_b64 v[3:6], v13 offset1:80
	s_waitcnt lgkmcnt(0)
	v_dual_add_f32 v3, v5, v3 :: v_dual_add_f32 v4, v6, v4
	ds_store_b64 v13, v[3:4]
.LBB163_37:
	s_or_b32 exec_lo, exec_lo, s0
	s_delay_alu instid0(SALU_CYCLE_1)
	s_mov_b32 s0, exec_lo
	s_waitcnt lgkmcnt(0)
	s_barrier
	buffer_gl0_inv
	v_cmpx_gt_u32_e32 40, v0
	s_cbranch_execz .LBB163_39
; %bb.38:
	ds_load_2addr_b64 v[3:6], v13 offset1:40
	s_waitcnt lgkmcnt(0)
	v_dual_add_f32 v3, v5, v3 :: v_dual_add_f32 v4, v6, v4
	ds_store_b64 v13, v[3:4]
.LBB163_39:
	s_or_b32 exec_lo, exec_lo, s0
	s_delay_alu instid0(SALU_CYCLE_1)
	s_mov_b32 s0, exec_lo
	s_waitcnt lgkmcnt(0)
	buffer_gl0_inv
                                        ; implicit-def: $vgpr3
	v_cmpx_gt_u32_e32 20, v0
; %bb.40:
	v_add_nc_u32_e32 v3, 20, v0
	s_or_b32 s1, s1, exec_lo
                                        ; implicit-def: $vgpr2
; %bb.41:
	s_or_b32 exec_lo, exec_lo, s0
	v_mov_b32_e32 v4, v13
.LBB163_42:
	s_and_saveexec_b32 s0, s1
	s_cbranch_execnz .LBB163_45
; %bb.43:
	s_or_b32 exec_lo, exec_lo, s0
	v_cmp_gt_u32_e32 vcc_lo, 20, v0
	s_and_b32 exec_lo, exec_lo, vcc_lo
	s_cbranch_execnz .LBB163_46
.LBB163_44:
	s_nop 0
	s_sendmsg sendmsg(MSG_DEALLOC_VGPRS)
	s_endpgm
.LBB163_45:
	v_lshlrev_b32_e32 v3, 3, v3
	ds_load_2addr_b32 v[1:2], v4 offset1:1
	ds_load_b64 v[3:4], v3
	s_waitcnt lgkmcnt(0)
	v_dual_add_f32 v2, v4, v2 :: v_dual_add_f32 v1, v3, v1
	s_or_b32 exec_lo, exec_lo, s0
	v_cmp_gt_u32_e32 vcc_lo, 20, v0
	s_and_b32 exec_lo, exec_lo, vcc_lo
	s_cbranch_execz .LBB163_44
.LBB163_46:
	v_mul_f32_e64 v3, v2, -v12
	v_mul_f32_e32 v4, v2, v11
	v_cmp_eq_f32_e32 vcc_lo, 0, v9
	v_cmp_eq_f32_e64 s0, 0, v10
	s_mul_hi_u32 s1, s8, 0xa0
	v_fmac_f32_e32 v3, v11, v1
	v_fmac_f32_e32 v4, v12, v1
	s_mul_i32 s2, s8, 0xa0
	s_and_b32 s3, vcc_lo, s0
	s_mul_i32 s0, s9, 0xa0
	s_and_saveexec_b32 s4, s3
	s_delay_alu instid0(SALU_CYCLE_1)
	s_xor_b32 s3, exec_lo, s4
	s_cbranch_execz .LBB163_48
; %bb.47:
	v_lshlrev_b32_e32 v0, 3, v0
	s_add_i32 s5, s1, s0
	s_add_u32 s4, s10, s2
	s_addc_u32 s5, s11, s5
                                        ; implicit-def: $vgpr9
                                        ; implicit-def: $vgpr10
	global_store_b64 v0, v[3:4], s[4:5]
                                        ; implicit-def: $vgpr0
                                        ; implicit-def: $vgpr3
.LBB163_48:
	s_and_not1_saveexec_b32 s3, s3
	s_cbranch_execz .LBB163_44
; %bb.49:
	v_lshlrev_b32_e32 v2, 3, v0
	s_add_i32 s1, s1, s0
	s_add_u32 s0, s10, s2
	s_addc_u32 s1, s11, s1
	global_load_b64 v[0:1], v2, s[0:1]
	s_waitcnt vmcnt(0)
	v_fmac_f32_e32 v3, v9, v0
	v_fmac_f32_e32 v4, v10, v0
	s_delay_alu instid0(VALU_DEP_2) | instskip(NEXT) | instid1(VALU_DEP_2)
	v_fma_f32 v3, -v10, v1, v3
	v_fmac_f32_e32 v4, v9, v1
	global_store_b64 v2, v[3:4], s[0:1]
	s_nop 0
	s_sendmsg sendmsg(MSG_DEALLOC_VGPRS)
	s_endpgm
	.section	.rodata,"a",@progbits
	.p2align	6, 0x0
	.amdhsa_kernel _ZN9rocsparseL20bsrxmvn_17_32_kernelILj20E21rocsparse_complex_numIfEllS2_S2_S2_EEvT2_20rocsparse_direction_NS_24const_host_device_scalarIT0_EES3_PKS3_PKT1_SC_S9_PKT3_PKT4_S7_PT5_21rocsparse_index_base_b
		.amdhsa_group_segment_fixed_size 3200
		.amdhsa_private_segment_fixed_size 0
		.amdhsa_kernarg_size 104
		.amdhsa_user_sgpr_count 15
		.amdhsa_user_sgpr_dispatch_ptr 0
		.amdhsa_user_sgpr_queue_ptr 0
		.amdhsa_user_sgpr_kernarg_segment_ptr 1
		.amdhsa_user_sgpr_dispatch_id 0
		.amdhsa_user_sgpr_private_segment_size 0
		.amdhsa_wavefront_size32 1
		.amdhsa_uses_dynamic_stack 0
		.amdhsa_enable_private_segment 0
		.amdhsa_system_sgpr_workgroup_id_x 1
		.amdhsa_system_sgpr_workgroup_id_y 0
		.amdhsa_system_sgpr_workgroup_id_z 0
		.amdhsa_system_sgpr_workgroup_info 0
		.amdhsa_system_vgpr_workitem_id 0
		.amdhsa_next_free_vgpr 21
		.amdhsa_next_free_sgpr 22
		.amdhsa_reserve_vcc 1
		.amdhsa_float_round_mode_32 0
		.amdhsa_float_round_mode_16_64 0
		.amdhsa_float_denorm_mode_32 3
		.amdhsa_float_denorm_mode_16_64 3
		.amdhsa_dx10_clamp 1
		.amdhsa_ieee_mode 1
		.amdhsa_fp16_overflow 0
		.amdhsa_workgroup_processor_mode 1
		.amdhsa_memory_ordered 1
		.amdhsa_forward_progress 0
		.amdhsa_shared_vgpr_count 0
		.amdhsa_exception_fp_ieee_invalid_op 0
		.amdhsa_exception_fp_denorm_src 0
		.amdhsa_exception_fp_ieee_div_zero 0
		.amdhsa_exception_fp_ieee_overflow 0
		.amdhsa_exception_fp_ieee_underflow 0
		.amdhsa_exception_fp_ieee_inexact 0
		.amdhsa_exception_int_div_zero 0
	.end_amdhsa_kernel
	.section	.text._ZN9rocsparseL20bsrxmvn_17_32_kernelILj20E21rocsparse_complex_numIfEllS2_S2_S2_EEvT2_20rocsparse_direction_NS_24const_host_device_scalarIT0_EES3_PKS3_PKT1_SC_S9_PKT3_PKT4_S7_PT5_21rocsparse_index_base_b,"axG",@progbits,_ZN9rocsparseL20bsrxmvn_17_32_kernelILj20E21rocsparse_complex_numIfEllS2_S2_S2_EEvT2_20rocsparse_direction_NS_24const_host_device_scalarIT0_EES3_PKS3_PKT1_SC_S9_PKT3_PKT4_S7_PT5_21rocsparse_index_base_b,comdat
.Lfunc_end163:
	.size	_ZN9rocsparseL20bsrxmvn_17_32_kernelILj20E21rocsparse_complex_numIfEllS2_S2_S2_EEvT2_20rocsparse_direction_NS_24const_host_device_scalarIT0_EES3_PKS3_PKT1_SC_S9_PKT3_PKT4_S7_PT5_21rocsparse_index_base_b, .Lfunc_end163-_ZN9rocsparseL20bsrxmvn_17_32_kernelILj20E21rocsparse_complex_numIfEllS2_S2_S2_EEvT2_20rocsparse_direction_NS_24const_host_device_scalarIT0_EES3_PKS3_PKT1_SC_S9_PKT3_PKT4_S7_PT5_21rocsparse_index_base_b
                                        ; -- End function
	.section	.AMDGPU.csdata,"",@progbits
; Kernel info:
; codeLenInByte = 1900
; NumSgprs: 24
; NumVgprs: 21
; ScratchSize: 0
; MemoryBound: 0
; FloatMode: 240
; IeeeMode: 1
; LDSByteSize: 3200 bytes/workgroup (compile time only)
; SGPRBlocks: 2
; VGPRBlocks: 2
; NumSGPRsForWavesPerEU: 24
; NumVGPRsForWavesPerEU: 21
; Occupancy: 13
; WaveLimiterHint : 1
; COMPUTE_PGM_RSRC2:SCRATCH_EN: 0
; COMPUTE_PGM_RSRC2:USER_SGPR: 15
; COMPUTE_PGM_RSRC2:TRAP_HANDLER: 0
; COMPUTE_PGM_RSRC2:TGID_X_EN: 1
; COMPUTE_PGM_RSRC2:TGID_Y_EN: 0
; COMPUTE_PGM_RSRC2:TGID_Z_EN: 0
; COMPUTE_PGM_RSRC2:TIDIG_COMP_CNT: 0
	.section	.text._ZN9rocsparseL20bsrxmvn_17_32_kernelILj21E21rocsparse_complex_numIfEllS2_S2_S2_EEvT2_20rocsparse_direction_NS_24const_host_device_scalarIT0_EES3_PKS3_PKT1_SC_S9_PKT3_PKT4_S7_PT5_21rocsparse_index_base_b,"axG",@progbits,_ZN9rocsparseL20bsrxmvn_17_32_kernelILj21E21rocsparse_complex_numIfEllS2_S2_S2_EEvT2_20rocsparse_direction_NS_24const_host_device_scalarIT0_EES3_PKS3_PKT1_SC_S9_PKT3_PKT4_S7_PT5_21rocsparse_index_base_b,comdat
	.globl	_ZN9rocsparseL20bsrxmvn_17_32_kernelILj21E21rocsparse_complex_numIfEllS2_S2_S2_EEvT2_20rocsparse_direction_NS_24const_host_device_scalarIT0_EES3_PKS3_PKT1_SC_S9_PKT3_PKT4_S7_PT5_21rocsparse_index_base_b ; -- Begin function _ZN9rocsparseL20bsrxmvn_17_32_kernelILj21E21rocsparse_complex_numIfEllS2_S2_S2_EEvT2_20rocsparse_direction_NS_24const_host_device_scalarIT0_EES3_PKS3_PKT1_SC_S9_PKT3_PKT4_S7_PT5_21rocsparse_index_base_b
	.p2align	8
	.type	_ZN9rocsparseL20bsrxmvn_17_32_kernelILj21E21rocsparse_complex_numIfEllS2_S2_S2_EEvT2_20rocsparse_direction_NS_24const_host_device_scalarIT0_EES3_PKS3_PKT1_SC_S9_PKT3_PKT4_S7_PT5_21rocsparse_index_base_b,@function
_ZN9rocsparseL20bsrxmvn_17_32_kernelILj21E21rocsparse_complex_numIfEllS2_S2_S2_EEvT2_20rocsparse_direction_NS_24const_host_device_scalarIT0_EES3_PKS3_PKT1_SC_S9_PKT3_PKT4_S7_PT5_21rocsparse_index_base_b: ; @_ZN9rocsparseL20bsrxmvn_17_32_kernelILj21E21rocsparse_complex_numIfEllS2_S2_S2_EEvT2_20rocsparse_direction_NS_24const_host_device_scalarIT0_EES3_PKS3_PKT1_SC_S9_PKT3_PKT4_S7_PT5_21rocsparse_index_base_b
; %bb.0:
	s_clause 0x2
	s_load_b64 s[12:13], s[0:1], 0x60
	s_load_b64 s[4:5], s[0:1], 0x10
	;; [unrolled: 1-line block ×3, first 2 shown]
	s_mov_b32 s8, s15
	s_waitcnt lgkmcnt(0)
	s_bitcmp1_b32 s13, 0
	v_mov_b32_e32 v11, s4
	s_cselect_b32 s6, -1, 0
	s_delay_alu instid0(SALU_CYCLE_1)
	s_and_b32 vcc_lo, exec_lo, s6
	s_xor_b32 s6, s6, -1
	s_cbranch_vccz .LBB164_15
; %bb.1:
	v_cndmask_b32_e64 v1, 0, 1, s6
	v_mov_b32_e32 v12, s5
	s_and_not1_b32 vcc_lo, exec_lo, s6
	s_cbranch_vccz .LBB164_16
.LBB164_2:
	s_delay_alu instid0(VALU_DEP_2)
	v_cmp_ne_u32_e32 vcc_lo, 1, v1
	v_mov_b32_e32 v9, s2
	s_cbranch_vccz .LBB164_17
.LBB164_3:
	v_cmp_ne_u32_e32 vcc_lo, 1, v1
	v_mov_b32_e32 v10, s3
	s_cbranch_vccnz .LBB164_5
.LBB164_4:
	v_dual_mov_b32 v1, s2 :: v_dual_mov_b32 v2, s3
	flat_load_b32 v10, v[1:2] offset:4
.LBB164_5:
	s_waitcnt vmcnt(0) lgkmcnt(0)
	v_cmp_eq_f32_e32 vcc_lo, 0, v11
	v_cmp_eq_f32_e64 s2, 0, v12
	s_delay_alu instid0(VALU_DEP_1)
	s_and_b32 s4, vcc_lo, s2
	s_mov_b32 s2, -1
	s_and_saveexec_b32 s3, s4
; %bb.6:
	v_cmp_neq_f32_e32 vcc_lo, 1.0, v9
	v_cmp_neq_f32_e64 s2, 0, v10
	s_delay_alu instid0(VALU_DEP_1) | instskip(NEXT) | instid1(SALU_CYCLE_1)
	s_or_b32 s2, vcc_lo, s2
	s_or_not1_b32 s2, s2, exec_lo
; %bb.7:
	s_or_b32 exec_lo, exec_lo, s3
	s_and_saveexec_b32 s3, s2
	s_cbranch_execz .LBB164_44
; %bb.8:
	s_clause 0x1
	s_load_b128 s[4:7], s[0:1], 0x20
	s_load_b64 s[10:11], s[0:1], 0x30
	s_mov_b32 s9, 0
	s_waitcnt lgkmcnt(0)
	s_cmp_eq_u64 s[4:5], 0
	s_cbranch_scc1 .LBB164_10
; %bb.9:
	s_lshl_b64 s[2:3], s[8:9], 3
	s_delay_alu instid0(SALU_CYCLE_1)
	s_add_u32 s2, s4, s2
	s_addc_u32 s3, s5, s3
	s_load_b64 s[2:3], s[2:3], 0x0
	s_waitcnt lgkmcnt(0)
	s_sub_u32 s8, s2, s12
	s_subb_u32 s9, s3, 0
.LBB164_10:
	s_load_b32 s3, s[0:1], 0x8
	v_mul_u32_u24_e32 v1, 0xc31, v0
	v_dual_mov_b32 v2, 0 :: v_dual_lshlrev_b32 v13, 3, v0
	s_delay_alu instid0(VALU_DEP_2) | instskip(NEXT) | instid1(VALU_DEP_1)
	v_lshrrev_b32_e32 v3, 16, v1
	v_mul_lo_u16 v1, v3, 21
	s_delay_alu instid0(VALU_DEP_1)
	v_sub_nc_u16 v14, v0, v1
	v_mov_b32_e32 v1, 0
	s_waitcnt lgkmcnt(0)
	s_cmp_eq_u32 s3, 1
	s_cselect_b32 s2, -1, 0
	s_cmp_lg_u32 s3, 1
	s_cselect_b32 s3, -1, 0
	s_lshl_b64 s[4:5], s[8:9], 3
	s_delay_alu instid0(SALU_CYCLE_1)
	s_add_u32 s6, s6, s4
	s_addc_u32 s7, s7, s5
	s_add_u32 s13, s6, 8
	s_addc_u32 s14, s7, 0
	;; [unrolled: 2-line block ×3, first 2 shown]
	s_cmp_eq_u64 s[10:11], 0
	s_load_b64 s[10:11], s[0:1], 0x58
	s_cselect_b32 s5, s14, s5
	s_cselect_b32 s4, s13, s4
	s_load_b64 s[16:17], s[6:7], 0x0
	s_load_b64 s[14:15], s[4:5], 0x0
	s_waitcnt lgkmcnt(0)
	v_cmp_ge_i64_e64 s4, s[16:17], s[14:15]
	s_delay_alu instid0(VALU_DEP_1)
	s_and_b32 vcc_lo, exec_lo, s4
	s_cbranch_vccnz .LBB164_18
; %bb.11:
	v_mul_lo_u16 v1, v3, 25
	v_dual_mov_b32 v2, 0 :: v_dual_and_b32 v5, 0xffff, v0
	v_and_b32_e32 v4, 0xffff, v14
	s_clause 0x1
	s_load_b128 s[4:7], s[0:1], 0x38
	s_load_b64 s[18:19], s[0:1], 0x48
	v_lshrrev_b16 v1, 9, v1
	s_sub_u32 s0, s14, s12
	s_subb_u32 s1, s15, 0
	s_sub_u32 s14, s16, s12
	s_subb_u32 s15, s17, 0
	v_mul_lo_u16 v1, v1, 21
	v_lshlrev_b32_e32 v16, 3, v0
	s_mul_hi_u32 s13, s14, 0xdc8
	s_mul_i32 s20, s15, 0xdc8
	s_mul_i32 s21, s14, 0xdc8
	v_sub_nc_u16 v1, v3, v1
	v_mul_u32_u24_e32 v3, 0x253, v5
	s_add_i32 s13, s13, s20
	s_delay_alu instid0(VALU_DEP_2) | instskip(NEXT) | instid1(VALU_DEP_2)
	v_and_b32_e32 v1, 0xff, v1
	v_lshrrev_b32_e32 v15, 18, v3
	s_delay_alu instid0(VALU_DEP_2) | instskip(NEXT) | instid1(VALU_DEP_2)
	v_cndmask_b32_e64 v1, v4, v1, s2
	v_add_co_u32 v3, s2, s16, v15
	s_delay_alu instid0(VALU_DEP_1) | instskip(NEXT) | instid1(VALU_DEP_3)
	v_add_co_ci_u32_e64 v4, null, s17, 0, s2
	v_lshlrev_b32_e32 v1, 3, v1
	s_delay_alu instid0(VALU_DEP_3) | instskip(NEXT) | instid1(VALU_DEP_3)
	v_sub_co_u32 v5, vcc_lo, v3, s12
	v_subrev_co_ci_u32_e32 v6, vcc_lo, 0, v4, vcc_lo
	s_waitcnt lgkmcnt(0)
	s_add_u32 s2, s6, s21
	v_add_co_u32 v3, s6, s18, v1
	v_mov_b32_e32 v1, v2
	v_lshlrev_b64 v[7:8], 3, v[5:6]
	v_add_co_ci_u32_e64 v4, null, s19, 0, s6
	s_addc_u32 s6, s7, s13
	v_add_co_u32 v5, s2, s2, v16
	s_delay_alu instid0(VALU_DEP_3)
	v_add_co_u32 v7, vcc_lo, s4, v7
	v_add_co_ci_u32_e64 v6, null, s6, 0, s2
	v_add_co_ci_u32_e32 v8, vcc_lo, s5, v8, vcc_lo
	s_set_inst_prefetch_distance 0x1
	s_branch .LBB164_13
	.p2align	6
.LBB164_12:                             ;   in Loop: Header=BB164_13 Depth=1
	s_or_b32 exec_lo, exec_lo, s2
	s_add_u32 s14, s14, 1
	s_addc_u32 s15, s15, 0
	v_add_co_u32 v7, vcc_lo, v7, 8
	v_cmp_lt_i64_e64 s2, s[14:15], s[0:1]
	v_add_co_ci_u32_e32 v8, vcc_lo, 0, v8, vcc_lo
	s_delay_alu instid0(VALU_DEP_2)
	s_and_b32 vcc_lo, exec_lo, s2
	s_cbranch_vccz .LBB164_18
.LBB164_13:                             ; =>This Inner Loop Header: Depth=1
	v_add_co_u32 v16, s2, v15, s14
	s_delay_alu instid0(VALU_DEP_1) | instskip(SKIP_1) | instid1(VALU_DEP_1)
	v_add_co_ci_u32_e64 v17, null, 0, s15, s2
	s_mov_b32 s2, exec_lo
	v_cmpx_gt_i64_e64 s[0:1], v[16:17]
	s_cbranch_execz .LBB164_12
; %bb.14:                               ;   in Loop: Header=BB164_13 Depth=1
	global_load_b64 v[16:17], v[7:8], off
	s_waitcnt vmcnt(0)
	v_sub_co_u32 v18, vcc_lo, v16, s12
	v_subrev_co_ci_u32_e32 v20, vcc_lo, 0, v17, vcc_lo
	s_delay_alu instid0(VALU_DEP_2) | instskip(NEXT) | instid1(VALU_DEP_1)
	v_mad_u64_u32 v[16:17], null, 0xa8, v18, v[3:4]
	v_mad_u64_u32 v[18:19], null, 0xa8, v20, v[17:18]
	s_delay_alu instid0(VALU_DEP_1)
	v_mov_b32_e32 v17, v18
	global_load_b64 v[18:19], v[5:6], off
	global_load_b64 v[16:17], v[16:17], off
	v_add_co_u32 v5, vcc_lo, 0xdc8, v5
	v_add_co_ci_u32_e32 v6, vcc_lo, 0, v6, vcc_lo
	s_waitcnt vmcnt(0)
	v_fmac_f32_e32 v2, v19, v16
	v_fmac_f32_e32 v1, v18, v16
	s_delay_alu instid0(VALU_DEP_2) | instskip(NEXT) | instid1(VALU_DEP_2)
	v_fmac_f32_e32 v2, v18, v17
	v_fma_f32 v1, -v19, v17, v1
	s_branch .LBB164_12
.LBB164_15:
	v_dual_mov_b32 v1, s4 :: v_dual_mov_b32 v2, s5
	flat_load_b32 v11, v[1:2]
	v_cndmask_b32_e64 v1, 0, 1, s6
	v_mov_b32_e32 v12, s5
	s_and_not1_b32 vcc_lo, exec_lo, s6
	s_cbranch_vccnz .LBB164_2
.LBB164_16:
	v_dual_mov_b32 v2, s4 :: v_dual_mov_b32 v3, s5
	flat_load_b32 v12, v[2:3] offset:4
	v_cmp_ne_u32_e32 vcc_lo, 1, v1
	v_mov_b32_e32 v9, s2
	s_cbranch_vccnz .LBB164_3
.LBB164_17:
	v_dual_mov_b32 v2, s2 :: v_dual_mov_b32 v3, s3
	flat_load_b32 v9, v[2:3]
	v_cmp_ne_u32_e32 vcc_lo, 1, v1
	v_mov_b32_e32 v10, s3
	s_cbranch_vccz .LBB164_4
	s_branch .LBB164_5
.LBB164_18:
	s_set_inst_prefetch_distance 0x2
	s_and_b32 vcc_lo, exec_lo, s3
	ds_store_b64 v13, v[1:2]
	s_waitcnt lgkmcnt(0)
	s_barrier
	buffer_gl0_inv
	s_cbranch_vccz .LBB164_30
; %bb.19:
	s_mov_b32 s0, exec_lo
	v_cmpx_gt_u16_e32 5, v14
	s_cbranch_execz .LBB164_21
; %bb.20:
	ds_load_2addr_b64 v[3:6], v13 offset1:16
	s_waitcnt lgkmcnt(0)
	v_dual_add_f32 v3, v5, v3 :: v_dual_add_f32 v4, v6, v4
	ds_store_b64 v13, v[3:4]
.LBB164_21:
	s_or_b32 exec_lo, exec_lo, s0
	s_delay_alu instid0(SALU_CYCLE_1)
	s_mov_b32 s0, exec_lo
	s_waitcnt lgkmcnt(0)
	s_barrier
	buffer_gl0_inv
	v_cmpx_gt_u16_e32 8, v14
	s_cbranch_execz .LBB164_23
; %bb.22:
	ds_load_2addr_b64 v[3:6], v13 offset1:8
	s_waitcnt lgkmcnt(0)
	v_dual_add_f32 v3, v5, v3 :: v_dual_add_f32 v4, v6, v4
	ds_store_b64 v13, v[3:4]
.LBB164_23:
	s_or_b32 exec_lo, exec_lo, s0
	s_delay_alu instid0(SALU_CYCLE_1)
	s_mov_b32 s0, exec_lo
	s_waitcnt lgkmcnt(0)
	s_barrier
	buffer_gl0_inv
	;; [unrolled: 14-line block ×3, first 2 shown]
	v_cmpx_gt_u16_e32 2, v14
	s_cbranch_execz .LBB164_27
; %bb.26:
	ds_load_2addr_b64 v[3:6], v13 offset1:2
	s_waitcnt lgkmcnt(0)
	v_dual_add_f32 v3, v5, v3 :: v_dual_add_f32 v4, v6, v4
	ds_store_b64 v13, v[3:4]
.LBB164_27:
	s_or_b32 exec_lo, exec_lo, s0
	s_mov_b32 s1, 0
	s_mov_b32 s0, 0
	s_mov_b32 s2, exec_lo
	s_waitcnt lgkmcnt(0)
	s_barrier
	buffer_gl0_inv
                                        ; implicit-def: $vgpr4
                                        ; implicit-def: $vgpr3
	v_cmpx_gt_u32_e32 21, v0
	s_xor_b32 s2, exec_lo, s2
; %bb.28:
	v_mul_u32_u24_e32 v3, 21, v0
	s_mov_b32 s0, exec_lo
	s_delay_alu instid0(VALU_DEP_1)
	v_lshlrev_b32_e32 v4, 3, v3
	v_mad_u32_u24 v3, v0, 21, 1
; %bb.29:
	s_or_b32 exec_lo, exec_lo, s2
	s_delay_alu instid0(SALU_CYCLE_1)
	s_and_b32 vcc_lo, exec_lo, s1
	s_cbranch_vccnz .LBB164_31
	s_branch .LBB164_42
.LBB164_30:
	s_mov_b32 s0, 0
                                        ; implicit-def: $vgpr4
                                        ; implicit-def: $vgpr3
	s_cbranch_execz .LBB164_42
.LBB164_31:
	s_mov_b32 s1, exec_lo
	v_cmpx_gt_u32_e32 0x69, v0
	s_cbranch_execz .LBB164_33
; %bb.32:
	ds_load_b64 v[3:4], v13 offset:2688
	ds_load_b64 v[5:6], v13
	s_waitcnt lgkmcnt(0)
	v_dual_add_f32 v3, v3, v5 :: v_dual_add_f32 v4, v4, v6
	ds_store_b64 v13, v[3:4]
.LBB164_33:
	s_or_b32 exec_lo, exec_lo, s1
	s_delay_alu instid0(SALU_CYCLE_1)
	s_mov_b32 s1, exec_lo
	s_waitcnt lgkmcnt(0)
	s_barrier
	buffer_gl0_inv
	v_cmpx_gt_u32_e32 0xa8, v0
	s_cbranch_execz .LBB164_35
; %bb.34:
	ds_load_2addr_b64 v[3:6], v13 offset1:168
	s_waitcnt lgkmcnt(0)
	v_dual_add_f32 v3, v5, v3 :: v_dual_add_f32 v4, v6, v4
	ds_store_b64 v13, v[3:4]
.LBB164_35:
	s_or_b32 exec_lo, exec_lo, s1
	s_delay_alu instid0(SALU_CYCLE_1)
	s_mov_b32 s1, exec_lo
	s_waitcnt lgkmcnt(0)
	s_barrier
	buffer_gl0_inv
	v_cmpx_gt_u32_e32 0x54, v0
	s_cbranch_execz .LBB164_37
; %bb.36:
	ds_load_2addr_b64 v[3:6], v13 offset1:84
	s_waitcnt lgkmcnt(0)
	v_dual_add_f32 v3, v5, v3 :: v_dual_add_f32 v4, v6, v4
	ds_store_b64 v13, v[3:4]
.LBB164_37:
	s_or_b32 exec_lo, exec_lo, s1
	s_delay_alu instid0(SALU_CYCLE_1)
	s_mov_b32 s1, exec_lo
	s_waitcnt lgkmcnt(0)
	s_barrier
	buffer_gl0_inv
	v_cmpx_gt_u32_e32 42, v0
	s_cbranch_execz .LBB164_39
; %bb.38:
	ds_load_2addr_b64 v[3:6], v13 offset1:42
	s_waitcnt lgkmcnt(0)
	v_dual_add_f32 v3, v5, v3 :: v_dual_add_f32 v4, v6, v4
	ds_store_b64 v13, v[3:4]
.LBB164_39:
	s_or_b32 exec_lo, exec_lo, s1
	s_delay_alu instid0(SALU_CYCLE_1)
	s_mov_b32 s1, exec_lo
	s_waitcnt lgkmcnt(0)
	buffer_gl0_inv
                                        ; implicit-def: $vgpr3
	v_cmpx_gt_u32_e32 21, v0
; %bb.40:
	v_add_nc_u32_e32 v3, 21, v0
	s_or_b32 s0, s0, exec_lo
                                        ; implicit-def: $vgpr2
; %bb.41:
	s_or_b32 exec_lo, exec_lo, s1
	v_mov_b32_e32 v4, v13
.LBB164_42:
	s_and_saveexec_b32 s1, s0
	s_cbranch_execnz .LBB164_45
; %bb.43:
	s_or_b32 exec_lo, exec_lo, s1
	v_cmp_gt_u32_e32 vcc_lo, 21, v0
	s_and_b32 exec_lo, exec_lo, vcc_lo
	s_cbranch_execnz .LBB164_46
.LBB164_44:
	s_nop 0
	s_sendmsg sendmsg(MSG_DEALLOC_VGPRS)
	s_endpgm
.LBB164_45:
	v_lshlrev_b32_e32 v3, 3, v3
	ds_load_2addr_b32 v[1:2], v4 offset1:1
	ds_load_b64 v[3:4], v3
	s_waitcnt lgkmcnt(0)
	v_dual_add_f32 v2, v4, v2 :: v_dual_add_f32 v1, v3, v1
	s_or_b32 exec_lo, exec_lo, s1
	v_cmp_gt_u32_e32 vcc_lo, 21, v0
	s_and_b32 exec_lo, exec_lo, vcc_lo
	s_cbranch_execz .LBB164_44
.LBB164_46:
	v_mul_f32_e64 v3, v2, -v12
	v_mul_f32_e32 v4, v2, v11
	v_cmp_eq_f32_e32 vcc_lo, 0, v9
	v_cmp_eq_f32_e64 s0, 0, v10
	s_mul_hi_u32 s1, s8, 0xa8
	v_fmac_f32_e32 v3, v11, v1
	v_fmac_f32_e32 v4, v12, v1
	s_mul_i32 s2, s8, 0xa8
	s_and_b32 s3, vcc_lo, s0
	s_mul_i32 s0, s9, 0xa8
	s_and_saveexec_b32 s4, s3
	s_delay_alu instid0(SALU_CYCLE_1)
	s_xor_b32 s3, exec_lo, s4
	s_cbranch_execz .LBB164_48
; %bb.47:
	v_lshlrev_b32_e32 v0, 3, v0
	s_add_i32 s5, s1, s0
	s_add_u32 s4, s10, s2
	s_addc_u32 s5, s11, s5
                                        ; implicit-def: $vgpr9
                                        ; implicit-def: $vgpr10
	global_store_b64 v0, v[3:4], s[4:5]
                                        ; implicit-def: $vgpr0
                                        ; implicit-def: $vgpr3
.LBB164_48:
	s_and_not1_saveexec_b32 s3, s3
	s_cbranch_execz .LBB164_44
; %bb.49:
	v_lshlrev_b32_e32 v2, 3, v0
	s_add_i32 s1, s1, s0
	s_add_u32 s0, s10, s2
	s_addc_u32 s1, s11, s1
	global_load_b64 v[0:1], v2, s[0:1]
	s_waitcnt vmcnt(0)
	v_fmac_f32_e32 v3, v9, v0
	v_fmac_f32_e32 v4, v10, v0
	s_delay_alu instid0(VALU_DEP_2) | instskip(NEXT) | instid1(VALU_DEP_2)
	v_fma_f32 v3, -v10, v1, v3
	v_fmac_f32_e32 v4, v9, v1
	global_store_b64 v2, v[3:4], s[0:1]
	s_nop 0
	s_sendmsg sendmsg(MSG_DEALLOC_VGPRS)
	s_endpgm
	.section	.rodata,"a",@progbits
	.p2align	6, 0x0
	.amdhsa_kernel _ZN9rocsparseL20bsrxmvn_17_32_kernelILj21E21rocsparse_complex_numIfEllS2_S2_S2_EEvT2_20rocsparse_direction_NS_24const_host_device_scalarIT0_EES3_PKS3_PKT1_SC_S9_PKT3_PKT4_S7_PT5_21rocsparse_index_base_b
		.amdhsa_group_segment_fixed_size 3528
		.amdhsa_private_segment_fixed_size 0
		.amdhsa_kernarg_size 104
		.amdhsa_user_sgpr_count 15
		.amdhsa_user_sgpr_dispatch_ptr 0
		.amdhsa_user_sgpr_queue_ptr 0
		.amdhsa_user_sgpr_kernarg_segment_ptr 1
		.amdhsa_user_sgpr_dispatch_id 0
		.amdhsa_user_sgpr_private_segment_size 0
		.amdhsa_wavefront_size32 1
		.amdhsa_uses_dynamic_stack 0
		.amdhsa_enable_private_segment 0
		.amdhsa_system_sgpr_workgroup_id_x 1
		.amdhsa_system_sgpr_workgroup_id_y 0
		.amdhsa_system_sgpr_workgroup_id_z 0
		.amdhsa_system_sgpr_workgroup_info 0
		.amdhsa_system_vgpr_workitem_id 0
		.amdhsa_next_free_vgpr 21
		.amdhsa_next_free_sgpr 22
		.amdhsa_reserve_vcc 1
		.amdhsa_float_round_mode_32 0
		.amdhsa_float_round_mode_16_64 0
		.amdhsa_float_denorm_mode_32 3
		.amdhsa_float_denorm_mode_16_64 3
		.amdhsa_dx10_clamp 1
		.amdhsa_ieee_mode 1
		.amdhsa_fp16_overflow 0
		.amdhsa_workgroup_processor_mode 1
		.amdhsa_memory_ordered 1
		.amdhsa_forward_progress 0
		.amdhsa_shared_vgpr_count 0
		.amdhsa_exception_fp_ieee_invalid_op 0
		.amdhsa_exception_fp_denorm_src 0
		.amdhsa_exception_fp_ieee_div_zero 0
		.amdhsa_exception_fp_ieee_overflow 0
		.amdhsa_exception_fp_ieee_underflow 0
		.amdhsa_exception_fp_ieee_inexact 0
		.amdhsa_exception_int_div_zero 0
	.end_amdhsa_kernel
	.section	.text._ZN9rocsparseL20bsrxmvn_17_32_kernelILj21E21rocsparse_complex_numIfEllS2_S2_S2_EEvT2_20rocsparse_direction_NS_24const_host_device_scalarIT0_EES3_PKS3_PKT1_SC_S9_PKT3_PKT4_S7_PT5_21rocsparse_index_base_b,"axG",@progbits,_ZN9rocsparseL20bsrxmvn_17_32_kernelILj21E21rocsparse_complex_numIfEllS2_S2_S2_EEvT2_20rocsparse_direction_NS_24const_host_device_scalarIT0_EES3_PKS3_PKT1_SC_S9_PKT3_PKT4_S7_PT5_21rocsparse_index_base_b,comdat
.Lfunc_end164:
	.size	_ZN9rocsparseL20bsrxmvn_17_32_kernelILj21E21rocsparse_complex_numIfEllS2_S2_S2_EEvT2_20rocsparse_direction_NS_24const_host_device_scalarIT0_EES3_PKS3_PKT1_SC_S9_PKT3_PKT4_S7_PT5_21rocsparse_index_base_b, .Lfunc_end164-_ZN9rocsparseL20bsrxmvn_17_32_kernelILj21E21rocsparse_complex_numIfEllS2_S2_S2_EEvT2_20rocsparse_direction_NS_24const_host_device_scalarIT0_EES3_PKS3_PKT1_SC_S9_PKT3_PKT4_S7_PT5_21rocsparse_index_base_b
                                        ; -- End function
	.section	.AMDGPU.csdata,"",@progbits
; Kernel info:
; codeLenInByte = 1932
; NumSgprs: 24
; NumVgprs: 21
; ScratchSize: 0
; MemoryBound: 0
; FloatMode: 240
; IeeeMode: 1
; LDSByteSize: 3528 bytes/workgroup (compile time only)
; SGPRBlocks: 2
; VGPRBlocks: 2
; NumSGPRsForWavesPerEU: 24
; NumVGPRsForWavesPerEU: 21
; Occupancy: 14
; WaveLimiterHint : 1
; COMPUTE_PGM_RSRC2:SCRATCH_EN: 0
; COMPUTE_PGM_RSRC2:USER_SGPR: 15
; COMPUTE_PGM_RSRC2:TRAP_HANDLER: 0
; COMPUTE_PGM_RSRC2:TGID_X_EN: 1
; COMPUTE_PGM_RSRC2:TGID_Y_EN: 0
; COMPUTE_PGM_RSRC2:TGID_Z_EN: 0
; COMPUTE_PGM_RSRC2:TIDIG_COMP_CNT: 0
	.section	.text._ZN9rocsparseL20bsrxmvn_17_32_kernelILj22E21rocsparse_complex_numIfEllS2_S2_S2_EEvT2_20rocsparse_direction_NS_24const_host_device_scalarIT0_EES3_PKS3_PKT1_SC_S9_PKT3_PKT4_S7_PT5_21rocsparse_index_base_b,"axG",@progbits,_ZN9rocsparseL20bsrxmvn_17_32_kernelILj22E21rocsparse_complex_numIfEllS2_S2_S2_EEvT2_20rocsparse_direction_NS_24const_host_device_scalarIT0_EES3_PKS3_PKT1_SC_S9_PKT3_PKT4_S7_PT5_21rocsparse_index_base_b,comdat
	.globl	_ZN9rocsparseL20bsrxmvn_17_32_kernelILj22E21rocsparse_complex_numIfEllS2_S2_S2_EEvT2_20rocsparse_direction_NS_24const_host_device_scalarIT0_EES3_PKS3_PKT1_SC_S9_PKT3_PKT4_S7_PT5_21rocsparse_index_base_b ; -- Begin function _ZN9rocsparseL20bsrxmvn_17_32_kernelILj22E21rocsparse_complex_numIfEllS2_S2_S2_EEvT2_20rocsparse_direction_NS_24const_host_device_scalarIT0_EES3_PKS3_PKT1_SC_S9_PKT3_PKT4_S7_PT5_21rocsparse_index_base_b
	.p2align	8
	.type	_ZN9rocsparseL20bsrxmvn_17_32_kernelILj22E21rocsparse_complex_numIfEllS2_S2_S2_EEvT2_20rocsparse_direction_NS_24const_host_device_scalarIT0_EES3_PKS3_PKT1_SC_S9_PKT3_PKT4_S7_PT5_21rocsparse_index_base_b,@function
_ZN9rocsparseL20bsrxmvn_17_32_kernelILj22E21rocsparse_complex_numIfEllS2_S2_S2_EEvT2_20rocsparse_direction_NS_24const_host_device_scalarIT0_EES3_PKS3_PKT1_SC_S9_PKT3_PKT4_S7_PT5_21rocsparse_index_base_b: ; @_ZN9rocsparseL20bsrxmvn_17_32_kernelILj22E21rocsparse_complex_numIfEllS2_S2_S2_EEvT2_20rocsparse_direction_NS_24const_host_device_scalarIT0_EES3_PKS3_PKT1_SC_S9_PKT3_PKT4_S7_PT5_21rocsparse_index_base_b
; %bb.0:
	s_clause 0x2
	s_load_b64 s[12:13], s[0:1], 0x60
	s_load_b64 s[4:5], s[0:1], 0x10
	;; [unrolled: 1-line block ×3, first 2 shown]
	s_mov_b32 s8, s15
	s_waitcnt lgkmcnt(0)
	s_bitcmp1_b32 s13, 0
	v_mov_b32_e32 v11, s4
	s_cselect_b32 s6, -1, 0
	s_delay_alu instid0(SALU_CYCLE_1)
	s_and_b32 vcc_lo, exec_lo, s6
	s_xor_b32 s6, s6, -1
	s_cbranch_vccz .LBB165_15
; %bb.1:
	v_cndmask_b32_e64 v1, 0, 1, s6
	v_mov_b32_e32 v12, s5
	s_and_not1_b32 vcc_lo, exec_lo, s6
	s_cbranch_vccz .LBB165_16
.LBB165_2:
	s_delay_alu instid0(VALU_DEP_2)
	v_cmp_ne_u32_e32 vcc_lo, 1, v1
	v_mov_b32_e32 v9, s2
	s_cbranch_vccz .LBB165_17
.LBB165_3:
	v_cmp_ne_u32_e32 vcc_lo, 1, v1
	v_mov_b32_e32 v10, s3
	s_cbranch_vccnz .LBB165_5
.LBB165_4:
	v_dual_mov_b32 v1, s2 :: v_dual_mov_b32 v2, s3
	flat_load_b32 v10, v[1:2] offset:4
.LBB165_5:
	s_waitcnt vmcnt(0) lgkmcnt(0)
	v_cmp_eq_f32_e32 vcc_lo, 0, v11
	v_cmp_eq_f32_e64 s2, 0, v12
	s_delay_alu instid0(VALU_DEP_1)
	s_and_b32 s4, vcc_lo, s2
	s_mov_b32 s2, -1
	s_and_saveexec_b32 s3, s4
; %bb.6:
	v_cmp_neq_f32_e32 vcc_lo, 1.0, v9
	v_cmp_neq_f32_e64 s2, 0, v10
	s_delay_alu instid0(VALU_DEP_1) | instskip(NEXT) | instid1(SALU_CYCLE_1)
	s_or_b32 s2, vcc_lo, s2
	s_or_not1_b32 s2, s2, exec_lo
; %bb.7:
	s_or_b32 exec_lo, exec_lo, s3
	s_and_saveexec_b32 s3, s2
	s_cbranch_execz .LBB165_44
; %bb.8:
	s_clause 0x1
	s_load_b128 s[4:7], s[0:1], 0x20
	s_load_b64 s[10:11], s[0:1], 0x30
	s_mov_b32 s9, 0
	s_waitcnt lgkmcnt(0)
	s_cmp_eq_u64 s[4:5], 0
	s_cbranch_scc1 .LBB165_10
; %bb.9:
	s_lshl_b64 s[2:3], s[8:9], 3
	s_delay_alu instid0(SALU_CYCLE_1)
	s_add_u32 s2, s4, s2
	s_addc_u32 s3, s5, s3
	s_load_b64 s[2:3], s[2:3], 0x0
	s_waitcnt lgkmcnt(0)
	s_sub_u32 s8, s2, s12
	s_subb_u32 s9, s3, 0
.LBB165_10:
	s_load_b32 s3, s[0:1], 0x8
	v_mul_u32_u24_e32 v1, 0xba3, v0
	v_dual_mov_b32 v2, 0 :: v_dual_lshlrev_b32 v13, 3, v0
	s_delay_alu instid0(VALU_DEP_2) | instskip(NEXT) | instid1(VALU_DEP_1)
	v_lshrrev_b32_e32 v3, 16, v1
	v_mul_lo_u16 v1, v3, 22
	s_delay_alu instid0(VALU_DEP_1)
	v_sub_nc_u16 v14, v0, v1
	v_mov_b32_e32 v1, 0
	s_waitcnt lgkmcnt(0)
	s_cmp_eq_u32 s3, 1
	s_cselect_b32 s2, -1, 0
	s_cmp_lg_u32 s3, 1
	s_cselect_b32 s3, -1, 0
	s_lshl_b64 s[4:5], s[8:9], 3
	s_delay_alu instid0(SALU_CYCLE_1)
	s_add_u32 s6, s6, s4
	s_addc_u32 s7, s7, s5
	s_add_u32 s13, s6, 8
	s_addc_u32 s14, s7, 0
	;; [unrolled: 2-line block ×3, first 2 shown]
	s_cmp_eq_u64 s[10:11], 0
	s_load_b64 s[10:11], s[0:1], 0x58
	s_cselect_b32 s5, s14, s5
	s_cselect_b32 s4, s13, s4
	s_load_b64 s[16:17], s[6:7], 0x0
	s_load_b64 s[14:15], s[4:5], 0x0
	s_waitcnt lgkmcnt(0)
	v_cmp_ge_i64_e64 s4, s[16:17], s[14:15]
	s_delay_alu instid0(VALU_DEP_1)
	s_and_b32 vcc_lo, exec_lo, s4
	s_cbranch_vccnz .LBB165_18
; %bb.11:
	v_mul_lo_u16 v1, v3, 12
	v_dual_mov_b32 v2, 0 :: v_dual_and_b32 v5, 0xffff, v0
	v_and_b32_e32 v4, 0xffff, v14
	s_clause 0x1
	s_load_b128 s[4:7], s[0:1], 0x38
	s_load_b64 s[18:19], s[0:1], 0x48
	v_lshrrev_b16 v1, 8, v1
	s_sub_u32 s0, s14, s12
	s_subb_u32 s1, s15, 0
	s_sub_u32 s14, s16, s12
	s_subb_u32 s15, s17, 0
	v_mul_lo_u16 v1, v1, 22
	v_lshlrev_b32_e32 v16, 3, v0
	s_mul_hi_u32 s13, s14, 0xf20
	s_mul_i32 s20, s15, 0xf20
	s_mul_i32 s21, s14, 0xf20
	v_sub_nc_u16 v1, v3, v1
	v_mul_u32_u24_e32 v3, 0x10f, v5
	s_add_i32 s13, s13, s20
	s_delay_alu instid0(VALU_DEP_2) | instskip(NEXT) | instid1(VALU_DEP_2)
	v_and_b32_e32 v1, 0xff, v1
	v_lshrrev_b32_e32 v15, 17, v3
	s_delay_alu instid0(VALU_DEP_2) | instskip(NEXT) | instid1(VALU_DEP_2)
	v_cndmask_b32_e64 v1, v4, v1, s2
	v_add_co_u32 v3, s2, s16, v15
	s_delay_alu instid0(VALU_DEP_1) | instskip(NEXT) | instid1(VALU_DEP_3)
	v_add_co_ci_u32_e64 v4, null, s17, 0, s2
	v_lshlrev_b32_e32 v1, 3, v1
	s_delay_alu instid0(VALU_DEP_3) | instskip(NEXT) | instid1(VALU_DEP_3)
	v_sub_co_u32 v5, vcc_lo, v3, s12
	v_subrev_co_ci_u32_e32 v6, vcc_lo, 0, v4, vcc_lo
	s_waitcnt lgkmcnt(0)
	s_add_u32 s2, s6, s21
	v_add_co_u32 v3, s6, s18, v1
	v_mov_b32_e32 v1, v2
	v_lshlrev_b64 v[7:8], 3, v[5:6]
	v_add_co_ci_u32_e64 v4, null, s19, 0, s6
	s_addc_u32 s6, s7, s13
	v_add_co_u32 v5, s2, s2, v16
	s_delay_alu instid0(VALU_DEP_3)
	v_add_co_u32 v7, vcc_lo, s4, v7
	v_add_co_ci_u32_e64 v6, null, s6, 0, s2
	v_add_co_ci_u32_e32 v8, vcc_lo, s5, v8, vcc_lo
	s_set_inst_prefetch_distance 0x1
	s_branch .LBB165_13
	.p2align	6
.LBB165_12:                             ;   in Loop: Header=BB165_13 Depth=1
	s_or_b32 exec_lo, exec_lo, s2
	s_add_u32 s14, s14, 1
	s_addc_u32 s15, s15, 0
	v_add_co_u32 v7, vcc_lo, v7, 8
	v_cmp_lt_i64_e64 s2, s[14:15], s[0:1]
	v_add_co_ci_u32_e32 v8, vcc_lo, 0, v8, vcc_lo
	s_delay_alu instid0(VALU_DEP_2)
	s_and_b32 vcc_lo, exec_lo, s2
	s_cbranch_vccz .LBB165_18
.LBB165_13:                             ; =>This Inner Loop Header: Depth=1
	v_add_co_u32 v16, s2, v15, s14
	s_delay_alu instid0(VALU_DEP_1) | instskip(SKIP_1) | instid1(VALU_DEP_1)
	v_add_co_ci_u32_e64 v17, null, 0, s15, s2
	s_mov_b32 s2, exec_lo
	v_cmpx_gt_i64_e64 s[0:1], v[16:17]
	s_cbranch_execz .LBB165_12
; %bb.14:                               ;   in Loop: Header=BB165_13 Depth=1
	global_load_b64 v[16:17], v[7:8], off
	s_waitcnt vmcnt(0)
	v_sub_co_u32 v18, vcc_lo, v16, s12
	v_subrev_co_ci_u32_e32 v20, vcc_lo, 0, v17, vcc_lo
	s_delay_alu instid0(VALU_DEP_2) | instskip(NEXT) | instid1(VALU_DEP_1)
	v_mad_u64_u32 v[16:17], null, 0xb0, v18, v[3:4]
	v_mad_u64_u32 v[18:19], null, 0xb0, v20, v[17:18]
	s_delay_alu instid0(VALU_DEP_1)
	v_mov_b32_e32 v17, v18
	global_load_b64 v[18:19], v[5:6], off
	global_load_b64 v[16:17], v[16:17], off
	v_add_co_u32 v5, vcc_lo, 0xf20, v5
	v_add_co_ci_u32_e32 v6, vcc_lo, 0, v6, vcc_lo
	s_waitcnt vmcnt(0)
	v_fmac_f32_e32 v2, v19, v16
	v_fmac_f32_e32 v1, v18, v16
	s_delay_alu instid0(VALU_DEP_2) | instskip(NEXT) | instid1(VALU_DEP_2)
	v_fmac_f32_e32 v2, v18, v17
	v_fma_f32 v1, -v19, v17, v1
	s_branch .LBB165_12
.LBB165_15:
	v_dual_mov_b32 v1, s4 :: v_dual_mov_b32 v2, s5
	flat_load_b32 v11, v[1:2]
	v_cndmask_b32_e64 v1, 0, 1, s6
	v_mov_b32_e32 v12, s5
	s_and_not1_b32 vcc_lo, exec_lo, s6
	s_cbranch_vccnz .LBB165_2
.LBB165_16:
	v_dual_mov_b32 v2, s4 :: v_dual_mov_b32 v3, s5
	flat_load_b32 v12, v[2:3] offset:4
	v_cmp_ne_u32_e32 vcc_lo, 1, v1
	v_mov_b32_e32 v9, s2
	s_cbranch_vccnz .LBB165_3
.LBB165_17:
	v_dual_mov_b32 v2, s2 :: v_dual_mov_b32 v3, s3
	flat_load_b32 v9, v[2:3]
	v_cmp_ne_u32_e32 vcc_lo, 1, v1
	v_mov_b32_e32 v10, s3
	s_cbranch_vccz .LBB165_4
	s_branch .LBB165_5
.LBB165_18:
	s_set_inst_prefetch_distance 0x2
	s_and_b32 vcc_lo, exec_lo, s3
	ds_store_b64 v13, v[1:2]
	s_waitcnt lgkmcnt(0)
	s_barrier
	buffer_gl0_inv
	s_cbranch_vccz .LBB165_30
; %bb.19:
	s_mov_b32 s0, exec_lo
	v_cmpx_gt_u16_e32 6, v14
	s_cbranch_execz .LBB165_21
; %bb.20:
	ds_load_2addr_b64 v[3:6], v13 offset1:16
	s_waitcnt lgkmcnt(0)
	v_dual_add_f32 v3, v5, v3 :: v_dual_add_f32 v4, v6, v4
	ds_store_b64 v13, v[3:4]
.LBB165_21:
	s_or_b32 exec_lo, exec_lo, s0
	s_delay_alu instid0(SALU_CYCLE_1)
	s_mov_b32 s0, exec_lo
	s_waitcnt lgkmcnt(0)
	s_barrier
	buffer_gl0_inv
	v_cmpx_gt_u16_e32 8, v14
	s_cbranch_execz .LBB165_23
; %bb.22:
	ds_load_2addr_b64 v[3:6], v13 offset1:8
	s_waitcnt lgkmcnt(0)
	v_dual_add_f32 v3, v5, v3 :: v_dual_add_f32 v4, v6, v4
	ds_store_b64 v13, v[3:4]
.LBB165_23:
	s_or_b32 exec_lo, exec_lo, s0
	s_delay_alu instid0(SALU_CYCLE_1)
	s_mov_b32 s0, exec_lo
	s_waitcnt lgkmcnt(0)
	s_barrier
	buffer_gl0_inv
	;; [unrolled: 14-line block ×3, first 2 shown]
	v_cmpx_gt_u16_e32 2, v14
	s_cbranch_execz .LBB165_27
; %bb.26:
	ds_load_2addr_b64 v[3:6], v13 offset1:2
	s_waitcnt lgkmcnt(0)
	v_dual_add_f32 v3, v5, v3 :: v_dual_add_f32 v4, v6, v4
	ds_store_b64 v13, v[3:4]
.LBB165_27:
	s_or_b32 exec_lo, exec_lo, s0
	s_mov_b32 s1, 0
	s_mov_b32 s0, 0
	s_mov_b32 s2, exec_lo
	s_waitcnt lgkmcnt(0)
	s_barrier
	buffer_gl0_inv
                                        ; implicit-def: $vgpr4
                                        ; implicit-def: $vgpr3
	v_cmpx_gt_u32_e32 22, v0
	s_xor_b32 s2, exec_lo, s2
; %bb.28:
	v_mul_u32_u24_e32 v3, 22, v0
	s_mov_b32 s0, exec_lo
	s_delay_alu instid0(VALU_DEP_1)
	v_lshlrev_b32_e32 v4, 3, v3
	v_or_b32_e32 v3, 1, v3
; %bb.29:
	s_or_b32 exec_lo, exec_lo, s2
	s_delay_alu instid0(SALU_CYCLE_1)
	s_and_b32 vcc_lo, exec_lo, s1
	s_cbranch_vccnz .LBB165_31
	s_branch .LBB165_42
.LBB165_30:
	s_mov_b32 s0, 0
                                        ; implicit-def: $vgpr4
                                        ; implicit-def: $vgpr3
	s_cbranch_execz .LBB165_42
.LBB165_31:
	s_mov_b32 s1, exec_lo
	v_cmpx_gt_u32_e32 0x84, v0
	s_cbranch_execz .LBB165_33
; %bb.32:
	ds_load_b64 v[3:4], v13 offset:2816
	ds_load_b64 v[5:6], v13
	s_waitcnt lgkmcnt(0)
	v_dual_add_f32 v3, v3, v5 :: v_dual_add_f32 v4, v4, v6
	ds_store_b64 v13, v[3:4]
.LBB165_33:
	s_or_b32 exec_lo, exec_lo, s1
	s_delay_alu instid0(SALU_CYCLE_1)
	s_mov_b32 s1, exec_lo
	s_waitcnt lgkmcnt(0)
	s_barrier
	buffer_gl0_inv
	v_cmpx_gt_u32_e32 0xb0, v0
	s_cbranch_execz .LBB165_35
; %bb.34:
	ds_load_2addr_b64 v[3:6], v13 offset1:176
	s_waitcnt lgkmcnt(0)
	v_dual_add_f32 v3, v5, v3 :: v_dual_add_f32 v4, v6, v4
	ds_store_b64 v13, v[3:4]
.LBB165_35:
	s_or_b32 exec_lo, exec_lo, s1
	s_delay_alu instid0(SALU_CYCLE_1)
	s_mov_b32 s1, exec_lo
	s_waitcnt lgkmcnt(0)
	s_barrier
	buffer_gl0_inv
	v_cmpx_gt_u32_e32 0x58, v0
	s_cbranch_execz .LBB165_37
; %bb.36:
	ds_load_2addr_b64 v[3:6], v13 offset1:88
	s_waitcnt lgkmcnt(0)
	v_dual_add_f32 v3, v5, v3 :: v_dual_add_f32 v4, v6, v4
	ds_store_b64 v13, v[3:4]
.LBB165_37:
	;; [unrolled: 14-line block ×3, first 2 shown]
	s_or_b32 exec_lo, exec_lo, s1
	s_delay_alu instid0(SALU_CYCLE_1)
	s_mov_b32 s1, exec_lo
	s_waitcnt lgkmcnt(0)
	buffer_gl0_inv
                                        ; implicit-def: $vgpr3
	v_cmpx_gt_u32_e32 22, v0
; %bb.40:
	v_add_nc_u32_e32 v3, 22, v0
	s_or_b32 s0, s0, exec_lo
                                        ; implicit-def: $vgpr2
; %bb.41:
	s_or_b32 exec_lo, exec_lo, s1
	v_mov_b32_e32 v4, v13
.LBB165_42:
	s_and_saveexec_b32 s1, s0
	s_cbranch_execnz .LBB165_45
; %bb.43:
	s_or_b32 exec_lo, exec_lo, s1
	v_cmp_gt_u32_e32 vcc_lo, 22, v0
	s_and_b32 exec_lo, exec_lo, vcc_lo
	s_cbranch_execnz .LBB165_46
.LBB165_44:
	s_nop 0
	s_sendmsg sendmsg(MSG_DEALLOC_VGPRS)
	s_endpgm
.LBB165_45:
	v_lshlrev_b32_e32 v3, 3, v3
	ds_load_2addr_b32 v[1:2], v4 offset1:1
	ds_load_b64 v[3:4], v3
	s_waitcnt lgkmcnt(0)
	v_dual_add_f32 v2, v4, v2 :: v_dual_add_f32 v1, v3, v1
	s_or_b32 exec_lo, exec_lo, s1
	v_cmp_gt_u32_e32 vcc_lo, 22, v0
	s_and_b32 exec_lo, exec_lo, vcc_lo
	s_cbranch_execz .LBB165_44
.LBB165_46:
	v_mul_f32_e64 v3, v2, -v12
	v_mul_f32_e32 v4, v2, v11
	v_cmp_eq_f32_e32 vcc_lo, 0, v9
	v_cmp_eq_f32_e64 s0, 0, v10
	s_mul_hi_u32 s1, s8, 0xb0
	v_fmac_f32_e32 v3, v11, v1
	v_fmac_f32_e32 v4, v12, v1
	s_mul_i32 s2, s8, 0xb0
	s_and_b32 s3, vcc_lo, s0
	s_mul_i32 s0, s9, 0xb0
	s_and_saveexec_b32 s4, s3
	s_delay_alu instid0(SALU_CYCLE_1)
	s_xor_b32 s3, exec_lo, s4
	s_cbranch_execz .LBB165_48
; %bb.47:
	v_lshlrev_b32_e32 v0, 3, v0
	s_add_i32 s5, s1, s0
	s_add_u32 s4, s10, s2
	s_addc_u32 s5, s11, s5
                                        ; implicit-def: $vgpr9
                                        ; implicit-def: $vgpr10
	global_store_b64 v0, v[3:4], s[4:5]
                                        ; implicit-def: $vgpr0
                                        ; implicit-def: $vgpr3
.LBB165_48:
	s_and_not1_saveexec_b32 s3, s3
	s_cbranch_execz .LBB165_44
; %bb.49:
	v_lshlrev_b32_e32 v2, 3, v0
	s_add_i32 s1, s1, s0
	s_add_u32 s0, s10, s2
	s_addc_u32 s1, s11, s1
	global_load_b64 v[0:1], v2, s[0:1]
	s_waitcnt vmcnt(0)
	v_fmac_f32_e32 v3, v9, v0
	v_fmac_f32_e32 v4, v10, v0
	s_delay_alu instid0(VALU_DEP_2) | instskip(NEXT) | instid1(VALU_DEP_2)
	v_fma_f32 v3, -v10, v1, v3
	v_fmac_f32_e32 v4, v9, v1
	global_store_b64 v2, v[3:4], s[0:1]
	s_nop 0
	s_sendmsg sendmsg(MSG_DEALLOC_VGPRS)
	s_endpgm
	.section	.rodata,"a",@progbits
	.p2align	6, 0x0
	.amdhsa_kernel _ZN9rocsparseL20bsrxmvn_17_32_kernelILj22E21rocsparse_complex_numIfEllS2_S2_S2_EEvT2_20rocsparse_direction_NS_24const_host_device_scalarIT0_EES3_PKS3_PKT1_SC_S9_PKT3_PKT4_S7_PT5_21rocsparse_index_base_b
		.amdhsa_group_segment_fixed_size 3872
		.amdhsa_private_segment_fixed_size 0
		.amdhsa_kernarg_size 104
		.amdhsa_user_sgpr_count 15
		.amdhsa_user_sgpr_dispatch_ptr 0
		.amdhsa_user_sgpr_queue_ptr 0
		.amdhsa_user_sgpr_kernarg_segment_ptr 1
		.amdhsa_user_sgpr_dispatch_id 0
		.amdhsa_user_sgpr_private_segment_size 0
		.amdhsa_wavefront_size32 1
		.amdhsa_uses_dynamic_stack 0
		.amdhsa_enable_private_segment 0
		.amdhsa_system_sgpr_workgroup_id_x 1
		.amdhsa_system_sgpr_workgroup_id_y 0
		.amdhsa_system_sgpr_workgroup_id_z 0
		.amdhsa_system_sgpr_workgroup_info 0
		.amdhsa_system_vgpr_workitem_id 0
		.amdhsa_next_free_vgpr 21
		.amdhsa_next_free_sgpr 22
		.amdhsa_reserve_vcc 1
		.amdhsa_float_round_mode_32 0
		.amdhsa_float_round_mode_16_64 0
		.amdhsa_float_denorm_mode_32 3
		.amdhsa_float_denorm_mode_16_64 3
		.amdhsa_dx10_clamp 1
		.amdhsa_ieee_mode 1
		.amdhsa_fp16_overflow 0
		.amdhsa_workgroup_processor_mode 1
		.amdhsa_memory_ordered 1
		.amdhsa_forward_progress 0
		.amdhsa_shared_vgpr_count 0
		.amdhsa_exception_fp_ieee_invalid_op 0
		.amdhsa_exception_fp_denorm_src 0
		.amdhsa_exception_fp_ieee_div_zero 0
		.amdhsa_exception_fp_ieee_overflow 0
		.amdhsa_exception_fp_ieee_underflow 0
		.amdhsa_exception_fp_ieee_inexact 0
		.amdhsa_exception_int_div_zero 0
	.end_amdhsa_kernel
	.section	.text._ZN9rocsparseL20bsrxmvn_17_32_kernelILj22E21rocsparse_complex_numIfEllS2_S2_S2_EEvT2_20rocsparse_direction_NS_24const_host_device_scalarIT0_EES3_PKS3_PKT1_SC_S9_PKT3_PKT4_S7_PT5_21rocsparse_index_base_b,"axG",@progbits,_ZN9rocsparseL20bsrxmvn_17_32_kernelILj22E21rocsparse_complex_numIfEllS2_S2_S2_EEvT2_20rocsparse_direction_NS_24const_host_device_scalarIT0_EES3_PKS3_PKT1_SC_S9_PKT3_PKT4_S7_PT5_21rocsparse_index_base_b,comdat
.Lfunc_end165:
	.size	_ZN9rocsparseL20bsrxmvn_17_32_kernelILj22E21rocsparse_complex_numIfEllS2_S2_S2_EEvT2_20rocsparse_direction_NS_24const_host_device_scalarIT0_EES3_PKS3_PKT1_SC_S9_PKT3_PKT4_S7_PT5_21rocsparse_index_base_b, .Lfunc_end165-_ZN9rocsparseL20bsrxmvn_17_32_kernelILj22E21rocsparse_complex_numIfEllS2_S2_S2_EEvT2_20rocsparse_direction_NS_24const_host_device_scalarIT0_EES3_PKS3_PKT1_SC_S9_PKT3_PKT4_S7_PT5_21rocsparse_index_base_b
                                        ; -- End function
	.section	.AMDGPU.csdata,"",@progbits
; Kernel info:
; codeLenInByte = 1928
; NumSgprs: 24
; NumVgprs: 21
; ScratchSize: 0
; MemoryBound: 0
; FloatMode: 240
; IeeeMode: 1
; LDSByteSize: 3872 bytes/workgroup (compile time only)
; SGPRBlocks: 2
; VGPRBlocks: 2
; NumSGPRsForWavesPerEU: 24
; NumVGPRsForWavesPerEU: 21
; Occupancy: 16
; WaveLimiterHint : 1
; COMPUTE_PGM_RSRC2:SCRATCH_EN: 0
; COMPUTE_PGM_RSRC2:USER_SGPR: 15
; COMPUTE_PGM_RSRC2:TRAP_HANDLER: 0
; COMPUTE_PGM_RSRC2:TGID_X_EN: 1
; COMPUTE_PGM_RSRC2:TGID_Y_EN: 0
; COMPUTE_PGM_RSRC2:TGID_Z_EN: 0
; COMPUTE_PGM_RSRC2:TIDIG_COMP_CNT: 0
	.section	.text._ZN9rocsparseL20bsrxmvn_17_32_kernelILj23E21rocsparse_complex_numIfEllS2_S2_S2_EEvT2_20rocsparse_direction_NS_24const_host_device_scalarIT0_EES3_PKS3_PKT1_SC_S9_PKT3_PKT4_S7_PT5_21rocsparse_index_base_b,"axG",@progbits,_ZN9rocsparseL20bsrxmvn_17_32_kernelILj23E21rocsparse_complex_numIfEllS2_S2_S2_EEvT2_20rocsparse_direction_NS_24const_host_device_scalarIT0_EES3_PKS3_PKT1_SC_S9_PKT3_PKT4_S7_PT5_21rocsparse_index_base_b,comdat
	.globl	_ZN9rocsparseL20bsrxmvn_17_32_kernelILj23E21rocsparse_complex_numIfEllS2_S2_S2_EEvT2_20rocsparse_direction_NS_24const_host_device_scalarIT0_EES3_PKS3_PKT1_SC_S9_PKT3_PKT4_S7_PT5_21rocsparse_index_base_b ; -- Begin function _ZN9rocsparseL20bsrxmvn_17_32_kernelILj23E21rocsparse_complex_numIfEllS2_S2_S2_EEvT2_20rocsparse_direction_NS_24const_host_device_scalarIT0_EES3_PKS3_PKT1_SC_S9_PKT3_PKT4_S7_PT5_21rocsparse_index_base_b
	.p2align	8
	.type	_ZN9rocsparseL20bsrxmvn_17_32_kernelILj23E21rocsparse_complex_numIfEllS2_S2_S2_EEvT2_20rocsparse_direction_NS_24const_host_device_scalarIT0_EES3_PKS3_PKT1_SC_S9_PKT3_PKT4_S7_PT5_21rocsparse_index_base_b,@function
_ZN9rocsparseL20bsrxmvn_17_32_kernelILj23E21rocsparse_complex_numIfEllS2_S2_S2_EEvT2_20rocsparse_direction_NS_24const_host_device_scalarIT0_EES3_PKS3_PKT1_SC_S9_PKT3_PKT4_S7_PT5_21rocsparse_index_base_b: ; @_ZN9rocsparseL20bsrxmvn_17_32_kernelILj23E21rocsparse_complex_numIfEllS2_S2_S2_EEvT2_20rocsparse_direction_NS_24const_host_device_scalarIT0_EES3_PKS3_PKT1_SC_S9_PKT3_PKT4_S7_PT5_21rocsparse_index_base_b
; %bb.0:
	s_clause 0x2
	s_load_b64 s[12:13], s[0:1], 0x60
	s_load_b64 s[4:5], s[0:1], 0x10
	;; [unrolled: 1-line block ×3, first 2 shown]
	s_mov_b32 s8, s15
	s_waitcnt lgkmcnt(0)
	s_bitcmp1_b32 s13, 0
	v_mov_b32_e32 v11, s4
	s_cselect_b32 s6, -1, 0
	s_delay_alu instid0(SALU_CYCLE_1)
	s_and_b32 vcc_lo, exec_lo, s6
	s_xor_b32 s6, s6, -1
	s_cbranch_vccz .LBB166_15
; %bb.1:
	v_cndmask_b32_e64 v1, 0, 1, s6
	v_mov_b32_e32 v12, s5
	s_and_not1_b32 vcc_lo, exec_lo, s6
	s_cbranch_vccz .LBB166_16
.LBB166_2:
	s_delay_alu instid0(VALU_DEP_2)
	v_cmp_ne_u32_e32 vcc_lo, 1, v1
	v_mov_b32_e32 v9, s2
	s_cbranch_vccz .LBB166_17
.LBB166_3:
	v_cmp_ne_u32_e32 vcc_lo, 1, v1
	v_mov_b32_e32 v10, s3
	s_cbranch_vccnz .LBB166_5
.LBB166_4:
	v_dual_mov_b32 v1, s2 :: v_dual_mov_b32 v2, s3
	flat_load_b32 v10, v[1:2] offset:4
.LBB166_5:
	s_waitcnt vmcnt(0) lgkmcnt(0)
	v_cmp_eq_f32_e32 vcc_lo, 0, v11
	v_cmp_eq_f32_e64 s2, 0, v12
	s_delay_alu instid0(VALU_DEP_1)
	s_and_b32 s4, vcc_lo, s2
	s_mov_b32 s2, -1
	s_and_saveexec_b32 s3, s4
; %bb.6:
	v_cmp_neq_f32_e32 vcc_lo, 1.0, v9
	v_cmp_neq_f32_e64 s2, 0, v10
	s_delay_alu instid0(VALU_DEP_1) | instskip(NEXT) | instid1(SALU_CYCLE_1)
	s_or_b32 s2, vcc_lo, s2
	s_or_not1_b32 s2, s2, exec_lo
; %bb.7:
	s_or_b32 exec_lo, exec_lo, s3
	s_and_saveexec_b32 s3, s2
	s_cbranch_execz .LBB166_44
; %bb.8:
	s_clause 0x1
	s_load_b128 s[4:7], s[0:1], 0x20
	s_load_b64 s[10:11], s[0:1], 0x30
	s_mov_b32 s9, 0
	s_waitcnt lgkmcnt(0)
	s_cmp_eq_u64 s[4:5], 0
	s_cbranch_scc1 .LBB166_10
; %bb.9:
	s_lshl_b64 s[2:3], s[8:9], 3
	s_delay_alu instid0(SALU_CYCLE_1)
	s_add_u32 s2, s4, s2
	s_addc_u32 s3, s5, s3
	s_load_b64 s[2:3], s[2:3], 0x0
	s_waitcnt lgkmcnt(0)
	s_sub_u32 s8, s2, s12
	s_subb_u32 s9, s3, 0
.LBB166_10:
	s_load_b32 s3, s[0:1], 0x8
	v_mul_u32_u24_e32 v1, 0xb22, v0
	v_dual_mov_b32 v2, 0 :: v_dual_lshlrev_b32 v13, 3, v0
	s_delay_alu instid0(VALU_DEP_2) | instskip(NEXT) | instid1(VALU_DEP_1)
	v_lshrrev_b32_e32 v3, 16, v1
	v_mul_lo_u16 v1, v3, 23
	s_delay_alu instid0(VALU_DEP_1)
	v_sub_nc_u16 v14, v0, v1
	v_mov_b32_e32 v1, 0
	s_waitcnt lgkmcnt(0)
	s_cmp_eq_u32 s3, 1
	s_cselect_b32 s2, -1, 0
	s_cmp_lg_u32 s3, 1
	s_cselect_b32 s13, -1, 0
	s_lshl_b64 s[4:5], s[8:9], 3
	s_delay_alu instid0(SALU_CYCLE_1)
	s_add_u32 s6, s6, s4
	s_addc_u32 s7, s7, s5
	s_add_u32 s3, s6, 8
	s_addc_u32 s14, s7, 0
	;; [unrolled: 2-line block ×3, first 2 shown]
	s_cmp_eq_u64 s[10:11], 0
	s_load_b64 s[10:11], s[0:1], 0x58
	s_cselect_b32 s5, s14, s5
	s_cselect_b32 s4, s3, s4
	s_load_b64 s[14:15], s[6:7], 0x0
	s_load_b64 s[16:17], s[4:5], 0x0
	s_waitcnt lgkmcnt(0)
	v_cmp_ge_i64_e64 s3, s[14:15], s[16:17]
	s_delay_alu instid0(VALU_DEP_1)
	s_and_b32 vcc_lo, exec_lo, s3
	s_cbranch_vccnz .LBB166_18
; %bb.11:
	v_dual_mov_b32 v2, 0 :: v_dual_and_b32 v1, 0xffff, v3
	v_cmp_gt_u32_e32 vcc_lo, 0x211, v0
	s_clause 0x1
	s_load_b128 s[4:7], s[0:1], 0x38
	s_load_b64 s[18:19], s[0:1], 0x48
	s_sub_u32 s0, s16, s12
	v_subrev_nc_u32_e32 v3, 23, v1
	v_and_b32_e32 v4, 0xffff, v14
	s_subb_u32 s1, s17, 0
	s_delay_alu instid0(VALU_DEP_2) | instskip(SKIP_1) | instid1(VALU_DEP_2)
	v_cndmask_b32_e32 v1, v3, v1, vcc_lo
	v_cmp_lt_u32_e32 vcc_lo, 0x210, v0
	v_cndmask_b32_e64 v1, v4, v1, s2
	v_cndmask_b32_e64 v15, 0, 1, vcc_lo
	s_sub_u32 s2, s14, s12
	s_subb_u32 s3, s15, 0
	s_mul_hi_u32 s16, s2, 0x1088
	v_lshlrev_b64 v[3:4], 3, v[1:2]
	v_add_co_u32 v1, s14, s14, v15
	s_delay_alu instid0(VALU_DEP_1) | instskip(SKIP_2) | instid1(VALU_DEP_3)
	v_add_co_ci_u32_e64 v6, null, s15, 0, s14
	s_mul_i32 s17, s3, 0x1088
	s_waitcnt lgkmcnt(0)
	v_add_co_u32 v3, vcc_lo, s18, v3
	v_add_co_ci_u32_e32 v4, vcc_lo, s19, v4, vcc_lo
	v_sub_co_u32 v5, vcc_lo, v1, s12
	v_subrev_co_ci_u32_e32 v6, vcc_lo, 0, v6, vcc_lo
	v_lshlrev_b32_e32 v1, 3, v0
	s_mul_i32 s14, s2, 0x1088
	s_add_i32 s16, s16, s17
	s_delay_alu instid0(VALU_DEP_2) | instskip(SKIP_3) | instid1(VALU_DEP_1)
	v_lshlrev_b64 v[7:8], 3, v[5:6]
	s_add_u32 s6, s6, s14
	s_addc_u32 s7, s7, s16
	v_add_co_u32 v5, s6, s6, v1
	v_add_co_ci_u32_e64 v6, null, s7, 0, s6
	s_delay_alu instid0(VALU_DEP_3)
	v_add_co_u32 v7, vcc_lo, s4, v7
	v_add_co_ci_u32_e32 v8, vcc_lo, s5, v8, vcc_lo
	v_mov_b32_e32 v1, v2
	s_set_inst_prefetch_distance 0x1
	s_branch .LBB166_13
	.p2align	6
.LBB166_12:                             ;   in Loop: Header=BB166_13 Depth=1
	s_or_b32 exec_lo, exec_lo, s4
	s_add_u32 s2, s2, 1
	s_addc_u32 s3, s3, 0
	v_add_co_u32 v7, vcc_lo, v7, 8
	v_cmp_lt_i64_e64 s4, s[2:3], s[0:1]
	v_add_co_ci_u32_e32 v8, vcc_lo, 0, v8, vcc_lo
	s_delay_alu instid0(VALU_DEP_2)
	s_and_b32 vcc_lo, exec_lo, s4
	s_cbranch_vccz .LBB166_18
.LBB166_13:                             ; =>This Inner Loop Header: Depth=1
	v_add_co_u32 v16, s4, v15, s2
	s_delay_alu instid0(VALU_DEP_1) | instskip(SKIP_1) | instid1(VALU_DEP_1)
	v_add_co_ci_u32_e64 v17, null, 0, s3, s4
	s_mov_b32 s4, exec_lo
	v_cmpx_gt_i64_e64 s[0:1], v[16:17]
	s_cbranch_execz .LBB166_12
; %bb.14:                               ;   in Loop: Header=BB166_13 Depth=1
	global_load_b64 v[16:17], v[7:8], off
	s_waitcnt vmcnt(0)
	v_sub_co_u32 v18, vcc_lo, v16, s12
	v_subrev_co_ci_u32_e32 v20, vcc_lo, 0, v17, vcc_lo
	s_delay_alu instid0(VALU_DEP_2) | instskip(NEXT) | instid1(VALU_DEP_1)
	v_mad_u64_u32 v[16:17], null, 0xb8, v18, v[3:4]
	v_mad_u64_u32 v[18:19], null, 0xb8, v20, v[17:18]
	s_delay_alu instid0(VALU_DEP_1)
	v_mov_b32_e32 v17, v18
	global_load_b64 v[18:19], v[5:6], off
	global_load_b64 v[16:17], v[16:17], off
	v_add_co_u32 v5, vcc_lo, 0x1088, v5
	v_add_co_ci_u32_e32 v6, vcc_lo, 0, v6, vcc_lo
	s_waitcnt vmcnt(0)
	v_fmac_f32_e32 v2, v19, v16
	v_fmac_f32_e32 v1, v18, v16
	s_delay_alu instid0(VALU_DEP_2) | instskip(NEXT) | instid1(VALU_DEP_2)
	v_fmac_f32_e32 v2, v18, v17
	v_fma_f32 v1, -v19, v17, v1
	s_branch .LBB166_12
.LBB166_15:
	v_dual_mov_b32 v1, s4 :: v_dual_mov_b32 v2, s5
	flat_load_b32 v11, v[1:2]
	v_cndmask_b32_e64 v1, 0, 1, s6
	v_mov_b32_e32 v12, s5
	s_and_not1_b32 vcc_lo, exec_lo, s6
	s_cbranch_vccnz .LBB166_2
.LBB166_16:
	v_dual_mov_b32 v2, s4 :: v_dual_mov_b32 v3, s5
	flat_load_b32 v12, v[2:3] offset:4
	v_cmp_ne_u32_e32 vcc_lo, 1, v1
	v_mov_b32_e32 v9, s2
	s_cbranch_vccnz .LBB166_3
.LBB166_17:
	v_dual_mov_b32 v2, s2 :: v_dual_mov_b32 v3, s3
	flat_load_b32 v9, v[2:3]
	v_cmp_ne_u32_e32 vcc_lo, 1, v1
	v_mov_b32_e32 v10, s3
	s_cbranch_vccz .LBB166_4
	s_branch .LBB166_5
.LBB166_18:
	s_set_inst_prefetch_distance 0x2
	s_and_b32 vcc_lo, exec_lo, s13
	ds_store_b64 v13, v[1:2]
	s_waitcnt lgkmcnt(0)
	s_barrier
	buffer_gl0_inv
	s_cbranch_vccz .LBB166_30
; %bb.19:
	s_mov_b32 s0, exec_lo
	v_cmpx_gt_u16_e32 7, v14
	s_cbranch_execz .LBB166_21
; %bb.20:
	ds_load_2addr_b64 v[3:6], v13 offset1:16
	s_waitcnt lgkmcnt(0)
	v_dual_add_f32 v3, v5, v3 :: v_dual_add_f32 v4, v6, v4
	ds_store_b64 v13, v[3:4]
.LBB166_21:
	s_or_b32 exec_lo, exec_lo, s0
	s_delay_alu instid0(SALU_CYCLE_1)
	s_mov_b32 s0, exec_lo
	s_waitcnt lgkmcnt(0)
	s_barrier
	buffer_gl0_inv
	v_cmpx_gt_u16_e32 8, v14
	s_cbranch_execz .LBB166_23
; %bb.22:
	ds_load_2addr_b64 v[3:6], v13 offset1:8
	s_waitcnt lgkmcnt(0)
	v_dual_add_f32 v3, v5, v3 :: v_dual_add_f32 v4, v6, v4
	ds_store_b64 v13, v[3:4]
.LBB166_23:
	s_or_b32 exec_lo, exec_lo, s0
	s_delay_alu instid0(SALU_CYCLE_1)
	s_mov_b32 s0, exec_lo
	s_waitcnt lgkmcnt(0)
	s_barrier
	buffer_gl0_inv
	;; [unrolled: 14-line block ×3, first 2 shown]
	v_cmpx_gt_u16_e32 2, v14
	s_cbranch_execz .LBB166_27
; %bb.26:
	ds_load_2addr_b64 v[3:6], v13 offset1:2
	s_waitcnt lgkmcnt(0)
	v_dual_add_f32 v3, v5, v3 :: v_dual_add_f32 v4, v6, v4
	ds_store_b64 v13, v[3:4]
.LBB166_27:
	s_or_b32 exec_lo, exec_lo, s0
	s_mov_b32 s1, 0
	s_mov_b32 s0, 0
	s_mov_b32 s2, exec_lo
	s_waitcnt lgkmcnt(0)
	s_barrier
	buffer_gl0_inv
                                        ; implicit-def: $vgpr4
                                        ; implicit-def: $vgpr3
	v_cmpx_gt_u32_e32 23, v0
	s_xor_b32 s2, exec_lo, s2
; %bb.28:
	v_mul_u32_u24_e32 v4, 23, v0
	v_mad_u32_u24 v3, v0, 23, 1
	s_mov_b32 s0, exec_lo
	s_delay_alu instid0(VALU_DEP_2)
	v_lshlrev_b32_e32 v4, 3, v4
; %bb.29:
	s_or_b32 exec_lo, exec_lo, s2
	s_delay_alu instid0(SALU_CYCLE_1)
	s_and_b32 vcc_lo, exec_lo, s1
	s_cbranch_vccnz .LBB166_31
	s_branch .LBB166_42
.LBB166_30:
	s_mov_b32 s0, 0
                                        ; implicit-def: $vgpr4
                                        ; implicit-def: $vgpr3
	s_cbranch_execz .LBB166_42
.LBB166_31:
	s_mov_b32 s1, exec_lo
	v_cmpx_gt_u32_e32 0xa1, v0
	s_cbranch_execz .LBB166_33
; %bb.32:
	ds_load_b64 v[3:4], v13 offset:2944
	ds_load_b64 v[5:6], v13
	s_waitcnt lgkmcnt(0)
	v_dual_add_f32 v3, v3, v5 :: v_dual_add_f32 v4, v4, v6
	ds_store_b64 v13, v[3:4]
.LBB166_33:
	s_or_b32 exec_lo, exec_lo, s1
	s_delay_alu instid0(SALU_CYCLE_1)
	s_mov_b32 s1, exec_lo
	s_waitcnt lgkmcnt(0)
	s_barrier
	buffer_gl0_inv
	v_cmpx_gt_u32_e32 0xb8, v0
	s_cbranch_execz .LBB166_35
; %bb.34:
	ds_load_2addr_b64 v[3:6], v13 offset1:184
	s_waitcnt lgkmcnt(0)
	v_dual_add_f32 v3, v5, v3 :: v_dual_add_f32 v4, v6, v4
	ds_store_b64 v13, v[3:4]
.LBB166_35:
	s_or_b32 exec_lo, exec_lo, s1
	s_delay_alu instid0(SALU_CYCLE_1)
	s_mov_b32 s1, exec_lo
	s_waitcnt lgkmcnt(0)
	s_barrier
	buffer_gl0_inv
	v_cmpx_gt_u32_e32 0x5c, v0
	s_cbranch_execz .LBB166_37
; %bb.36:
	ds_load_2addr_b64 v[3:6], v13 offset1:92
	s_waitcnt lgkmcnt(0)
	v_dual_add_f32 v3, v5, v3 :: v_dual_add_f32 v4, v6, v4
	ds_store_b64 v13, v[3:4]
.LBB166_37:
	;; [unrolled: 14-line block ×3, first 2 shown]
	s_or_b32 exec_lo, exec_lo, s1
	s_delay_alu instid0(SALU_CYCLE_1)
	s_mov_b32 s1, exec_lo
	s_waitcnt lgkmcnt(0)
	buffer_gl0_inv
                                        ; implicit-def: $vgpr3
	v_cmpx_gt_u32_e32 23, v0
; %bb.40:
	v_add_nc_u32_e32 v3, 23, v0
                                        ; kill: def $vgpr1 killed $sgpr0 killed $exec
	s_or_b32 s0, s0, exec_lo
                                        ; implicit-def: $vgpr2
; %bb.41:
	s_or_b32 exec_lo, exec_lo, s1
	v_mov_b32_e32 v4, v13
.LBB166_42:
	s_and_saveexec_b32 s1, s0
	s_cbranch_execnz .LBB166_45
; %bb.43:
	s_or_b32 exec_lo, exec_lo, s1
	v_cmp_gt_u32_e32 vcc_lo, 23, v0
	s_and_b32 exec_lo, exec_lo, vcc_lo
	s_cbranch_execnz .LBB166_46
.LBB166_44:
	s_nop 0
	s_sendmsg sendmsg(MSG_DEALLOC_VGPRS)
	s_endpgm
.LBB166_45:
	v_lshlrev_b32_e32 v3, 3, v3
	ds_load_2addr_b32 v[1:2], v4 offset1:1
	ds_load_b64 v[3:4], v3
	s_waitcnt lgkmcnt(0)
	v_dual_add_f32 v2, v4, v2 :: v_dual_add_f32 v1, v3, v1
	s_or_b32 exec_lo, exec_lo, s1
	v_cmp_gt_u32_e32 vcc_lo, 23, v0
	s_and_b32 exec_lo, exec_lo, vcc_lo
	s_cbranch_execz .LBB166_44
.LBB166_46:
	v_mul_f32_e64 v3, v2, -v12
	v_mul_f32_e32 v4, v2, v11
	v_cmp_eq_f32_e32 vcc_lo, 0, v9
	v_cmp_eq_f32_e64 s0, 0, v10
	s_mul_hi_u32 s1, s8, 0xb8
	v_fmac_f32_e32 v3, v11, v1
	v_fmac_f32_e32 v4, v12, v1
	s_mul_i32 s2, s8, 0xb8
	s_and_b32 s3, vcc_lo, s0
	s_mul_i32 s0, s9, 0xb8
	s_and_saveexec_b32 s4, s3
	s_delay_alu instid0(SALU_CYCLE_1)
	s_xor_b32 s3, exec_lo, s4
	s_cbranch_execz .LBB166_48
; %bb.47:
	v_lshlrev_b32_e32 v0, 3, v0
	s_add_i32 s5, s1, s0
	s_add_u32 s4, s10, s2
	s_addc_u32 s5, s11, s5
                                        ; implicit-def: $vgpr9
                                        ; implicit-def: $vgpr10
	global_store_b64 v0, v[3:4], s[4:5]
                                        ; implicit-def: $vgpr0
                                        ; implicit-def: $vgpr3
.LBB166_48:
	s_and_not1_saveexec_b32 s3, s3
	s_cbranch_execz .LBB166_44
; %bb.49:
	v_lshlrev_b32_e32 v2, 3, v0
	s_add_i32 s1, s1, s0
	s_add_u32 s0, s10, s2
	s_addc_u32 s1, s11, s1
	global_load_b64 v[0:1], v2, s[0:1]
	s_waitcnt vmcnt(0)
	v_fmac_f32_e32 v3, v9, v0
	v_fmac_f32_e32 v4, v10, v0
	s_delay_alu instid0(VALU_DEP_2) | instskip(NEXT) | instid1(VALU_DEP_2)
	v_fma_f32 v3, -v10, v1, v3
	v_fmac_f32_e32 v4, v9, v1
	global_store_b64 v2, v[3:4], s[0:1]
	s_nop 0
	s_sendmsg sendmsg(MSG_DEALLOC_VGPRS)
	s_endpgm
	.section	.rodata,"a",@progbits
	.p2align	6, 0x0
	.amdhsa_kernel _ZN9rocsparseL20bsrxmvn_17_32_kernelILj23E21rocsparse_complex_numIfEllS2_S2_S2_EEvT2_20rocsparse_direction_NS_24const_host_device_scalarIT0_EES3_PKS3_PKT1_SC_S9_PKT3_PKT4_S7_PT5_21rocsparse_index_base_b
		.amdhsa_group_segment_fixed_size 4232
		.amdhsa_private_segment_fixed_size 0
		.amdhsa_kernarg_size 104
		.amdhsa_user_sgpr_count 15
		.amdhsa_user_sgpr_dispatch_ptr 0
		.amdhsa_user_sgpr_queue_ptr 0
		.amdhsa_user_sgpr_kernarg_segment_ptr 1
		.amdhsa_user_sgpr_dispatch_id 0
		.amdhsa_user_sgpr_private_segment_size 0
		.amdhsa_wavefront_size32 1
		.amdhsa_uses_dynamic_stack 0
		.amdhsa_enable_private_segment 0
		.amdhsa_system_sgpr_workgroup_id_x 1
		.amdhsa_system_sgpr_workgroup_id_y 0
		.amdhsa_system_sgpr_workgroup_id_z 0
		.amdhsa_system_sgpr_workgroup_info 0
		.amdhsa_system_vgpr_workitem_id 0
		.amdhsa_next_free_vgpr 21
		.amdhsa_next_free_sgpr 20
		.amdhsa_reserve_vcc 1
		.amdhsa_float_round_mode_32 0
		.amdhsa_float_round_mode_16_64 0
		.amdhsa_float_denorm_mode_32 3
		.amdhsa_float_denorm_mode_16_64 3
		.amdhsa_dx10_clamp 1
		.amdhsa_ieee_mode 1
		.amdhsa_fp16_overflow 0
		.amdhsa_workgroup_processor_mode 1
		.amdhsa_memory_ordered 1
		.amdhsa_forward_progress 0
		.amdhsa_shared_vgpr_count 0
		.amdhsa_exception_fp_ieee_invalid_op 0
		.amdhsa_exception_fp_denorm_src 0
		.amdhsa_exception_fp_ieee_div_zero 0
		.amdhsa_exception_fp_ieee_overflow 0
		.amdhsa_exception_fp_ieee_underflow 0
		.amdhsa_exception_fp_ieee_inexact 0
		.amdhsa_exception_int_div_zero 0
	.end_amdhsa_kernel
	.section	.text._ZN9rocsparseL20bsrxmvn_17_32_kernelILj23E21rocsparse_complex_numIfEllS2_S2_S2_EEvT2_20rocsparse_direction_NS_24const_host_device_scalarIT0_EES3_PKS3_PKT1_SC_S9_PKT3_PKT4_S7_PT5_21rocsparse_index_base_b,"axG",@progbits,_ZN9rocsparseL20bsrxmvn_17_32_kernelILj23E21rocsparse_complex_numIfEllS2_S2_S2_EEvT2_20rocsparse_direction_NS_24const_host_device_scalarIT0_EES3_PKS3_PKT1_SC_S9_PKT3_PKT4_S7_PT5_21rocsparse_index_base_b,comdat
.Lfunc_end166:
	.size	_ZN9rocsparseL20bsrxmvn_17_32_kernelILj23E21rocsparse_complex_numIfEllS2_S2_S2_EEvT2_20rocsparse_direction_NS_24const_host_device_scalarIT0_EES3_PKS3_PKT1_SC_S9_PKT3_PKT4_S7_PT5_21rocsparse_index_base_b, .Lfunc_end166-_ZN9rocsparseL20bsrxmvn_17_32_kernelILj23E21rocsparse_complex_numIfEllS2_S2_S2_EEvT2_20rocsparse_direction_NS_24const_host_device_scalarIT0_EES3_PKS3_PKT1_SC_S9_PKT3_PKT4_S7_PT5_21rocsparse_index_base_b
                                        ; -- End function
	.section	.AMDGPU.csdata,"",@progbits
; Kernel info:
; codeLenInByte = 1908
; NumSgprs: 22
; NumVgprs: 21
; ScratchSize: 0
; MemoryBound: 0
; FloatMode: 240
; IeeeMode: 1
; LDSByteSize: 4232 bytes/workgroup (compile time only)
; SGPRBlocks: 2
; VGPRBlocks: 2
; NumSGPRsForWavesPerEU: 22
; NumVGPRsForWavesPerEU: 21
; Occupancy: 13
; WaveLimiterHint : 1
; COMPUTE_PGM_RSRC2:SCRATCH_EN: 0
; COMPUTE_PGM_RSRC2:USER_SGPR: 15
; COMPUTE_PGM_RSRC2:TRAP_HANDLER: 0
; COMPUTE_PGM_RSRC2:TGID_X_EN: 1
; COMPUTE_PGM_RSRC2:TGID_Y_EN: 0
; COMPUTE_PGM_RSRC2:TGID_Z_EN: 0
; COMPUTE_PGM_RSRC2:TIDIG_COMP_CNT: 0
	.section	.text._ZN9rocsparseL20bsrxmvn_17_32_kernelILj24E21rocsparse_complex_numIfEllS2_S2_S2_EEvT2_20rocsparse_direction_NS_24const_host_device_scalarIT0_EES3_PKS3_PKT1_SC_S9_PKT3_PKT4_S7_PT5_21rocsparse_index_base_b,"axG",@progbits,_ZN9rocsparseL20bsrxmvn_17_32_kernelILj24E21rocsparse_complex_numIfEllS2_S2_S2_EEvT2_20rocsparse_direction_NS_24const_host_device_scalarIT0_EES3_PKS3_PKT1_SC_S9_PKT3_PKT4_S7_PT5_21rocsparse_index_base_b,comdat
	.globl	_ZN9rocsparseL20bsrxmvn_17_32_kernelILj24E21rocsparse_complex_numIfEllS2_S2_S2_EEvT2_20rocsparse_direction_NS_24const_host_device_scalarIT0_EES3_PKS3_PKT1_SC_S9_PKT3_PKT4_S7_PT5_21rocsparse_index_base_b ; -- Begin function _ZN9rocsparseL20bsrxmvn_17_32_kernelILj24E21rocsparse_complex_numIfEllS2_S2_S2_EEvT2_20rocsparse_direction_NS_24const_host_device_scalarIT0_EES3_PKS3_PKT1_SC_S9_PKT3_PKT4_S7_PT5_21rocsparse_index_base_b
	.p2align	8
	.type	_ZN9rocsparseL20bsrxmvn_17_32_kernelILj24E21rocsparse_complex_numIfEllS2_S2_S2_EEvT2_20rocsparse_direction_NS_24const_host_device_scalarIT0_EES3_PKS3_PKT1_SC_S9_PKT3_PKT4_S7_PT5_21rocsparse_index_base_b,@function
_ZN9rocsparseL20bsrxmvn_17_32_kernelILj24E21rocsparse_complex_numIfEllS2_S2_S2_EEvT2_20rocsparse_direction_NS_24const_host_device_scalarIT0_EES3_PKS3_PKT1_SC_S9_PKT3_PKT4_S7_PT5_21rocsparse_index_base_b: ; @_ZN9rocsparseL20bsrxmvn_17_32_kernelILj24E21rocsparse_complex_numIfEllS2_S2_S2_EEvT2_20rocsparse_direction_NS_24const_host_device_scalarIT0_EES3_PKS3_PKT1_SC_S9_PKT3_PKT4_S7_PT5_21rocsparse_index_base_b
; %bb.0:
	s_clause 0x2
	s_load_b64 s[12:13], s[0:1], 0x60
	s_load_b64 s[4:5], s[0:1], 0x10
	;; [unrolled: 1-line block ×3, first 2 shown]
	s_mov_b32 s8, s15
	s_waitcnt lgkmcnt(0)
	s_bitcmp1_b32 s13, 0
	v_mov_b32_e32 v11, s4
	s_cselect_b32 s6, -1, 0
	s_delay_alu instid0(SALU_CYCLE_1)
	s_and_b32 vcc_lo, exec_lo, s6
	s_xor_b32 s6, s6, -1
	s_cbranch_vccz .LBB167_15
; %bb.1:
	v_cndmask_b32_e64 v1, 0, 1, s6
	v_mov_b32_e32 v12, s5
	s_and_not1_b32 vcc_lo, exec_lo, s6
	s_cbranch_vccz .LBB167_16
.LBB167_2:
	s_delay_alu instid0(VALU_DEP_2)
	v_cmp_ne_u32_e32 vcc_lo, 1, v1
	v_mov_b32_e32 v9, s2
	s_cbranch_vccz .LBB167_17
.LBB167_3:
	v_cmp_ne_u32_e32 vcc_lo, 1, v1
	v_mov_b32_e32 v10, s3
	s_cbranch_vccnz .LBB167_5
.LBB167_4:
	v_dual_mov_b32 v1, s2 :: v_dual_mov_b32 v2, s3
	flat_load_b32 v10, v[1:2] offset:4
.LBB167_5:
	s_waitcnt vmcnt(0) lgkmcnt(0)
	v_cmp_eq_f32_e32 vcc_lo, 0, v11
	v_cmp_eq_f32_e64 s2, 0, v12
	s_delay_alu instid0(VALU_DEP_1)
	s_and_b32 s4, vcc_lo, s2
	s_mov_b32 s2, -1
	s_and_saveexec_b32 s3, s4
; %bb.6:
	v_cmp_neq_f32_e32 vcc_lo, 1.0, v9
	v_cmp_neq_f32_e64 s2, 0, v10
	s_delay_alu instid0(VALU_DEP_1) | instskip(NEXT) | instid1(SALU_CYCLE_1)
	s_or_b32 s2, vcc_lo, s2
	s_or_not1_b32 s2, s2, exec_lo
; %bb.7:
	s_or_b32 exec_lo, exec_lo, s3
	s_and_saveexec_b32 s3, s2
	s_cbranch_execz .LBB167_44
; %bb.8:
	s_clause 0x1
	s_load_b128 s[4:7], s[0:1], 0x20
	s_load_b64 s[10:11], s[0:1], 0x30
	s_mov_b32 s9, 0
	s_waitcnt lgkmcnt(0)
	s_cmp_eq_u64 s[4:5], 0
	s_cbranch_scc1 .LBB167_10
; %bb.9:
	s_lshl_b64 s[2:3], s[8:9], 3
	s_delay_alu instid0(SALU_CYCLE_1)
	s_add_u32 s2, s4, s2
	s_addc_u32 s3, s5, s3
	s_load_b64 s[2:3], s[2:3], 0x0
	s_waitcnt lgkmcnt(0)
	s_sub_u32 s8, s2, s12
	s_subb_u32 s9, s3, 0
.LBB167_10:
	s_load_b32 s3, s[0:1], 0x8
	v_mul_u32_u24_e32 v1, 0xaab, v0
	v_dual_mov_b32 v2, 0 :: v_dual_lshlrev_b32 v13, 3, v0
	s_delay_alu instid0(VALU_DEP_2) | instskip(NEXT) | instid1(VALU_DEP_1)
	v_lshrrev_b32_e32 v3, 16, v1
	v_mul_lo_u16 v1, v3, 24
	s_delay_alu instid0(VALU_DEP_1)
	v_sub_nc_u16 v14, v0, v1
	v_mov_b32_e32 v1, 0
	s_waitcnt lgkmcnt(0)
	s_cmp_eq_u32 s3, 1
	s_cselect_b32 s2, -1, 0
	s_cmp_lg_u32 s3, 1
	s_cselect_b32 s13, -1, 0
	s_lshl_b64 s[4:5], s[8:9], 3
	s_delay_alu instid0(SALU_CYCLE_1)
	s_add_u32 s6, s6, s4
	s_addc_u32 s7, s7, s5
	s_add_u32 s3, s6, 8
	s_addc_u32 s14, s7, 0
	;; [unrolled: 2-line block ×3, first 2 shown]
	s_cmp_eq_u64 s[10:11], 0
	s_load_b64 s[10:11], s[0:1], 0x58
	s_cselect_b32 s5, s14, s5
	s_cselect_b32 s4, s3, s4
	s_load_b64 s[14:15], s[6:7], 0x0
	s_load_b64 s[16:17], s[4:5], 0x0
	s_waitcnt lgkmcnt(0)
	v_cmp_ge_i64_e64 s3, s[14:15], s[16:17]
	s_delay_alu instid0(VALU_DEP_1)
	s_and_b32 vcc_lo, exec_lo, s3
	s_cbranch_vccnz .LBB167_18
; %bb.11:
	v_dual_mov_b32 v2, 0 :: v_dual_and_b32 v1, 0xffff, v3
	v_cmp_gt_u32_e32 vcc_lo, 0x240, v0
	s_clause 0x1
	s_load_b128 s[4:7], s[0:1], 0x38
	s_load_b64 s[18:19], s[0:1], 0x48
	s_sub_u32 s0, s16, s12
	v_subrev_nc_u32_e32 v3, 24, v1
	v_and_b32_e32 v4, 0xffff, v14
	s_subb_u32 s1, s17, 0
	s_delay_alu instid0(VALU_DEP_2) | instskip(SKIP_1) | instid1(VALU_DEP_2)
	v_cndmask_b32_e32 v1, v3, v1, vcc_lo
	v_cmp_lt_u32_e32 vcc_lo, 0x23f, v0
	v_cndmask_b32_e64 v1, v4, v1, s2
	v_cndmask_b32_e64 v15, 0, 1, vcc_lo
	s_sub_u32 s2, s14, s12
	s_subb_u32 s3, s15, 0
	s_mul_hi_u32 s16, s2, 0x1200
	v_lshlrev_b64 v[3:4], 3, v[1:2]
	v_add_co_u32 v1, s14, s14, v15
	s_delay_alu instid0(VALU_DEP_1) | instskip(SKIP_2) | instid1(VALU_DEP_3)
	v_add_co_ci_u32_e64 v6, null, s15, 0, s14
	s_mul_i32 s17, s3, 0x1200
	s_waitcnt lgkmcnt(0)
	v_add_co_u32 v3, vcc_lo, s18, v3
	v_add_co_ci_u32_e32 v4, vcc_lo, s19, v4, vcc_lo
	v_sub_co_u32 v5, vcc_lo, v1, s12
	v_subrev_co_ci_u32_e32 v6, vcc_lo, 0, v6, vcc_lo
	v_lshlrev_b32_e32 v1, 3, v0
	s_mul_i32 s14, s2, 0x1200
	s_add_i32 s16, s16, s17
	s_delay_alu instid0(VALU_DEP_2) | instskip(SKIP_3) | instid1(VALU_DEP_1)
	v_lshlrev_b64 v[7:8], 3, v[5:6]
	s_add_u32 s6, s6, s14
	s_addc_u32 s7, s7, s16
	v_add_co_u32 v5, s6, s6, v1
	v_add_co_ci_u32_e64 v6, null, s7, 0, s6
	s_delay_alu instid0(VALU_DEP_3)
	v_add_co_u32 v7, vcc_lo, s4, v7
	v_add_co_ci_u32_e32 v8, vcc_lo, s5, v8, vcc_lo
	v_mov_b32_e32 v1, v2
	s_set_inst_prefetch_distance 0x1
	s_branch .LBB167_13
	.p2align	6
.LBB167_12:                             ;   in Loop: Header=BB167_13 Depth=1
	s_or_b32 exec_lo, exec_lo, s4
	s_add_u32 s2, s2, 1
	s_addc_u32 s3, s3, 0
	v_add_co_u32 v7, vcc_lo, v7, 8
	v_cmp_lt_i64_e64 s4, s[2:3], s[0:1]
	v_add_co_ci_u32_e32 v8, vcc_lo, 0, v8, vcc_lo
	s_delay_alu instid0(VALU_DEP_2)
	s_and_b32 vcc_lo, exec_lo, s4
	s_cbranch_vccz .LBB167_18
.LBB167_13:                             ; =>This Inner Loop Header: Depth=1
	v_add_co_u32 v16, s4, v15, s2
	s_delay_alu instid0(VALU_DEP_1) | instskip(SKIP_1) | instid1(VALU_DEP_1)
	v_add_co_ci_u32_e64 v17, null, 0, s3, s4
	s_mov_b32 s4, exec_lo
	v_cmpx_gt_i64_e64 s[0:1], v[16:17]
	s_cbranch_execz .LBB167_12
; %bb.14:                               ;   in Loop: Header=BB167_13 Depth=1
	global_load_b64 v[16:17], v[7:8], off
	s_waitcnt vmcnt(0)
	v_sub_co_u32 v18, vcc_lo, v16, s12
	v_subrev_co_ci_u32_e32 v20, vcc_lo, 0, v17, vcc_lo
	s_delay_alu instid0(VALU_DEP_2) | instskip(NEXT) | instid1(VALU_DEP_1)
	v_mad_u64_u32 v[16:17], null, 0xc0, v18, v[3:4]
	v_mad_u64_u32 v[18:19], null, 0xc0, v20, v[17:18]
	s_delay_alu instid0(VALU_DEP_1)
	v_mov_b32_e32 v17, v18
	global_load_b64 v[18:19], v[5:6], off
	global_load_b64 v[16:17], v[16:17], off
	v_add_co_u32 v5, vcc_lo, 0x1200, v5
	v_add_co_ci_u32_e32 v6, vcc_lo, 0, v6, vcc_lo
	s_waitcnt vmcnt(0)
	v_fmac_f32_e32 v2, v19, v16
	v_fmac_f32_e32 v1, v18, v16
	s_delay_alu instid0(VALU_DEP_2) | instskip(NEXT) | instid1(VALU_DEP_2)
	v_fmac_f32_e32 v2, v18, v17
	v_fma_f32 v1, -v19, v17, v1
	s_branch .LBB167_12
.LBB167_15:
	v_dual_mov_b32 v1, s4 :: v_dual_mov_b32 v2, s5
	flat_load_b32 v11, v[1:2]
	v_cndmask_b32_e64 v1, 0, 1, s6
	v_mov_b32_e32 v12, s5
	s_and_not1_b32 vcc_lo, exec_lo, s6
	s_cbranch_vccnz .LBB167_2
.LBB167_16:
	v_dual_mov_b32 v2, s4 :: v_dual_mov_b32 v3, s5
	flat_load_b32 v12, v[2:3] offset:4
	v_cmp_ne_u32_e32 vcc_lo, 1, v1
	v_mov_b32_e32 v9, s2
	s_cbranch_vccnz .LBB167_3
.LBB167_17:
	v_dual_mov_b32 v2, s2 :: v_dual_mov_b32 v3, s3
	flat_load_b32 v9, v[2:3]
	v_cmp_ne_u32_e32 vcc_lo, 1, v1
	v_mov_b32_e32 v10, s3
	s_cbranch_vccz .LBB167_4
	s_branch .LBB167_5
.LBB167_18:
	s_set_inst_prefetch_distance 0x2
	s_and_b32 vcc_lo, exec_lo, s13
	ds_store_b64 v13, v[1:2]
	s_waitcnt lgkmcnt(0)
	s_barrier
	buffer_gl0_inv
	s_cbranch_vccz .LBB167_30
; %bb.19:
	v_cmp_gt_u16_e32 vcc_lo, 8, v14
	s_and_saveexec_b32 s0, vcc_lo
	s_cbranch_execz .LBB167_21
; %bb.20:
	ds_load_2addr_b64 v[3:6], v13 offset1:16
	s_waitcnt lgkmcnt(0)
	v_dual_add_f32 v3, v5, v3 :: v_dual_add_f32 v4, v6, v4
	ds_store_b64 v13, v[3:4]
.LBB167_21:
	s_or_b32 exec_lo, exec_lo, s0
	s_waitcnt lgkmcnt(0)
	s_barrier
	buffer_gl0_inv
	s_and_saveexec_b32 s0, vcc_lo
	s_cbranch_execz .LBB167_23
; %bb.22:
	ds_load_2addr_b64 v[3:6], v13 offset1:8
	s_waitcnt lgkmcnt(0)
	v_dual_add_f32 v3, v5, v3 :: v_dual_add_f32 v4, v6, v4
	ds_store_b64 v13, v[3:4]
.LBB167_23:
	s_or_b32 exec_lo, exec_lo, s0
	s_delay_alu instid0(SALU_CYCLE_1)
	s_mov_b32 s0, exec_lo
	s_waitcnt lgkmcnt(0)
	s_barrier
	buffer_gl0_inv
	v_cmpx_gt_u16_e32 4, v14
	s_cbranch_execz .LBB167_25
; %bb.24:
	ds_load_2addr_b64 v[3:6], v13 offset1:4
	s_waitcnt lgkmcnt(0)
	v_dual_add_f32 v3, v5, v3 :: v_dual_add_f32 v4, v6, v4
	ds_store_b64 v13, v[3:4]
.LBB167_25:
	s_or_b32 exec_lo, exec_lo, s0
	s_delay_alu instid0(SALU_CYCLE_1)
	s_mov_b32 s0, exec_lo
	s_waitcnt lgkmcnt(0)
	s_barrier
	buffer_gl0_inv
	v_cmpx_gt_u16_e32 2, v14
	s_cbranch_execz .LBB167_27
; %bb.26:
	ds_load_2addr_b64 v[3:6], v13 offset1:2
	s_waitcnt lgkmcnt(0)
	v_dual_add_f32 v3, v5, v3 :: v_dual_add_f32 v4, v6, v4
	ds_store_b64 v13, v[3:4]
.LBB167_27:
	s_or_b32 exec_lo, exec_lo, s0
	s_mov_b32 s1, 0
	s_mov_b32 s0, 0
	s_mov_b32 s2, exec_lo
	s_waitcnt lgkmcnt(0)
	s_barrier
	buffer_gl0_inv
                                        ; implicit-def: $vgpr4
                                        ; implicit-def: $vgpr3
	v_cmpx_gt_u32_e32 24, v0
	s_xor_b32 s2, exec_lo, s2
; %bb.28:
	v_mul_u32_u24_e32 v3, 24, v0
	s_mov_b32 s0, exec_lo
	s_delay_alu instid0(VALU_DEP_1)
	v_lshlrev_b32_e32 v4, 3, v3
	v_or_b32_e32 v3, 1, v3
; %bb.29:
	s_or_b32 exec_lo, exec_lo, s2
	s_delay_alu instid0(SALU_CYCLE_1)
	s_and_b32 vcc_lo, exec_lo, s1
	s_cbranch_vccnz .LBB167_31
	s_branch .LBB167_42
.LBB167_30:
	s_mov_b32 s0, 0
                                        ; implicit-def: $vgpr4
                                        ; implicit-def: $vgpr3
	s_cbranch_execz .LBB167_42
.LBB167_31:
	v_cmp_gt_u32_e32 vcc_lo, 0xc0, v0
	s_and_saveexec_b32 s1, vcc_lo
	s_cbranch_execz .LBB167_33
; %bb.32:
	ds_load_2addr_stride64_b64 v[3:6], v13 offset1:6
	s_waitcnt lgkmcnt(0)
	v_dual_add_f32 v3, v5, v3 :: v_dual_add_f32 v4, v6, v4
	ds_store_b64 v13, v[3:4]
.LBB167_33:
	s_or_b32 exec_lo, exec_lo, s1
	s_waitcnt lgkmcnt(0)
	s_barrier
	buffer_gl0_inv
	s_and_saveexec_b32 s1, vcc_lo
	s_cbranch_execz .LBB167_35
; %bb.34:
	ds_load_2addr_stride64_b64 v[3:6], v13 offset1:3
	s_waitcnt lgkmcnt(0)
	v_dual_add_f32 v3, v5, v3 :: v_dual_add_f32 v4, v6, v4
	ds_store_b64 v13, v[3:4]
.LBB167_35:
	s_or_b32 exec_lo, exec_lo, s1
	s_delay_alu instid0(SALU_CYCLE_1)
	s_mov_b32 s1, exec_lo
	s_waitcnt lgkmcnt(0)
	s_barrier
	buffer_gl0_inv
	v_cmpx_gt_u32_e32 0x60, v0
	s_cbranch_execz .LBB167_37
; %bb.36:
	ds_load_2addr_b64 v[3:6], v13 offset1:96
	s_waitcnt lgkmcnt(0)
	v_dual_add_f32 v3, v5, v3 :: v_dual_add_f32 v4, v6, v4
	ds_store_b64 v13, v[3:4]
.LBB167_37:
	s_or_b32 exec_lo, exec_lo, s1
	s_delay_alu instid0(SALU_CYCLE_1)
	s_mov_b32 s1, exec_lo
	s_waitcnt lgkmcnt(0)
	s_barrier
	buffer_gl0_inv
	v_cmpx_gt_u32_e32 48, v0
	s_cbranch_execz .LBB167_39
; %bb.38:
	ds_load_2addr_b64 v[3:6], v13 offset1:48
	s_waitcnt lgkmcnt(0)
	v_dual_add_f32 v3, v5, v3 :: v_dual_add_f32 v4, v6, v4
	ds_store_b64 v13, v[3:4]
.LBB167_39:
	s_or_b32 exec_lo, exec_lo, s1
	s_delay_alu instid0(SALU_CYCLE_1)
	s_mov_b32 s1, exec_lo
	s_waitcnt lgkmcnt(0)
	buffer_gl0_inv
                                        ; implicit-def: $vgpr3
	v_cmpx_gt_u32_e32 24, v0
; %bb.40:
	v_add_nc_u32_e32 v3, 24, v0
                                        ; kill: def $vgpr1 killed $sgpr0 killed $exec
	s_or_b32 s0, s0, exec_lo
                                        ; implicit-def: $vgpr2
; %bb.41:
	s_or_b32 exec_lo, exec_lo, s1
	v_mov_b32_e32 v4, v13
.LBB167_42:
	s_and_saveexec_b32 s1, s0
	s_cbranch_execnz .LBB167_45
; %bb.43:
	s_or_b32 exec_lo, exec_lo, s1
	v_cmp_gt_u32_e32 vcc_lo, 24, v0
	s_and_b32 exec_lo, exec_lo, vcc_lo
	s_cbranch_execnz .LBB167_46
.LBB167_44:
	s_nop 0
	s_sendmsg sendmsg(MSG_DEALLOC_VGPRS)
	s_endpgm
.LBB167_45:
	v_lshlrev_b32_e32 v3, 3, v3
	ds_load_2addr_b32 v[1:2], v4 offset1:1
	ds_load_b64 v[3:4], v3
	s_waitcnt lgkmcnt(0)
	v_dual_add_f32 v2, v4, v2 :: v_dual_add_f32 v1, v3, v1
	s_or_b32 exec_lo, exec_lo, s1
	v_cmp_gt_u32_e32 vcc_lo, 24, v0
	s_and_b32 exec_lo, exec_lo, vcc_lo
	s_cbranch_execz .LBB167_44
.LBB167_46:
	v_mul_f32_e64 v3, v2, -v12
	v_mul_f32_e32 v4, v2, v11
	v_cmp_eq_f32_e32 vcc_lo, 0, v9
	v_cmp_eq_f32_e64 s0, 0, v10
	s_mul_hi_u32 s1, s8, 0xc0
	v_fmac_f32_e32 v3, v11, v1
	v_fmac_f32_e32 v4, v12, v1
	s_mul_i32 s2, s8, 0xc0
	s_and_b32 s3, vcc_lo, s0
	s_mul_i32 s0, s9, 0xc0
	s_and_saveexec_b32 s4, s3
	s_delay_alu instid0(SALU_CYCLE_1)
	s_xor_b32 s3, exec_lo, s4
	s_cbranch_execz .LBB167_48
; %bb.47:
	v_lshlrev_b32_e32 v0, 3, v0
	s_add_i32 s5, s1, s0
	s_add_u32 s4, s10, s2
	s_addc_u32 s5, s11, s5
                                        ; implicit-def: $vgpr9
                                        ; implicit-def: $vgpr10
	global_store_b64 v0, v[3:4], s[4:5]
                                        ; implicit-def: $vgpr0
                                        ; implicit-def: $vgpr3
.LBB167_48:
	s_and_not1_saveexec_b32 s3, s3
	s_cbranch_execz .LBB167_44
; %bb.49:
	v_lshlrev_b32_e32 v2, 3, v0
	s_add_i32 s1, s1, s0
	s_add_u32 s0, s10, s2
	s_addc_u32 s1, s11, s1
	global_load_b64 v[0:1], v2, s[0:1]
	s_waitcnt vmcnt(0)
	v_fmac_f32_e32 v3, v9, v0
	v_fmac_f32_e32 v4, v10, v0
	s_delay_alu instid0(VALU_DEP_2) | instskip(NEXT) | instid1(VALU_DEP_2)
	v_fma_f32 v3, -v10, v1, v3
	v_fmac_f32_e32 v4, v9, v1
	global_store_b64 v2, v[3:4], s[0:1]
	s_nop 0
	s_sendmsg sendmsg(MSG_DEALLOC_VGPRS)
	s_endpgm
	.section	.rodata,"a",@progbits
	.p2align	6, 0x0
	.amdhsa_kernel _ZN9rocsparseL20bsrxmvn_17_32_kernelILj24E21rocsparse_complex_numIfEllS2_S2_S2_EEvT2_20rocsparse_direction_NS_24const_host_device_scalarIT0_EES3_PKS3_PKT1_SC_S9_PKT3_PKT4_S7_PT5_21rocsparse_index_base_b
		.amdhsa_group_segment_fixed_size 4608
		.amdhsa_private_segment_fixed_size 0
		.amdhsa_kernarg_size 104
		.amdhsa_user_sgpr_count 15
		.amdhsa_user_sgpr_dispatch_ptr 0
		.amdhsa_user_sgpr_queue_ptr 0
		.amdhsa_user_sgpr_kernarg_segment_ptr 1
		.amdhsa_user_sgpr_dispatch_id 0
		.amdhsa_user_sgpr_private_segment_size 0
		.amdhsa_wavefront_size32 1
		.amdhsa_uses_dynamic_stack 0
		.amdhsa_enable_private_segment 0
		.amdhsa_system_sgpr_workgroup_id_x 1
		.amdhsa_system_sgpr_workgroup_id_y 0
		.amdhsa_system_sgpr_workgroup_id_z 0
		.amdhsa_system_sgpr_workgroup_info 0
		.amdhsa_system_vgpr_workitem_id 0
		.amdhsa_next_free_vgpr 21
		.amdhsa_next_free_sgpr 20
		.amdhsa_reserve_vcc 1
		.amdhsa_float_round_mode_32 0
		.amdhsa_float_round_mode_16_64 0
		.amdhsa_float_denorm_mode_32 3
		.amdhsa_float_denorm_mode_16_64 3
		.amdhsa_dx10_clamp 1
		.amdhsa_ieee_mode 1
		.amdhsa_fp16_overflow 0
		.amdhsa_workgroup_processor_mode 1
		.amdhsa_memory_ordered 1
		.amdhsa_forward_progress 0
		.amdhsa_shared_vgpr_count 0
		.amdhsa_exception_fp_ieee_invalid_op 0
		.amdhsa_exception_fp_denorm_src 0
		.amdhsa_exception_fp_ieee_div_zero 0
		.amdhsa_exception_fp_ieee_overflow 0
		.amdhsa_exception_fp_ieee_underflow 0
		.amdhsa_exception_fp_ieee_inexact 0
		.amdhsa_exception_int_div_zero 0
	.end_amdhsa_kernel
	.section	.text._ZN9rocsparseL20bsrxmvn_17_32_kernelILj24E21rocsparse_complex_numIfEllS2_S2_S2_EEvT2_20rocsparse_direction_NS_24const_host_device_scalarIT0_EES3_PKS3_PKT1_SC_S9_PKT3_PKT4_S7_PT5_21rocsparse_index_base_b,"axG",@progbits,_ZN9rocsparseL20bsrxmvn_17_32_kernelILj24E21rocsparse_complex_numIfEllS2_S2_S2_EEvT2_20rocsparse_direction_NS_24const_host_device_scalarIT0_EES3_PKS3_PKT1_SC_S9_PKT3_PKT4_S7_PT5_21rocsparse_index_base_b,comdat
.Lfunc_end167:
	.size	_ZN9rocsparseL20bsrxmvn_17_32_kernelILj24E21rocsparse_complex_numIfEllS2_S2_S2_EEvT2_20rocsparse_direction_NS_24const_host_device_scalarIT0_EES3_PKS3_PKT1_SC_S9_PKT3_PKT4_S7_PT5_21rocsparse_index_base_b, .Lfunc_end167-_ZN9rocsparseL20bsrxmvn_17_32_kernelILj24E21rocsparse_complex_numIfEllS2_S2_S2_EEvT2_20rocsparse_direction_NS_24const_host_device_scalarIT0_EES3_PKS3_PKT1_SC_S9_PKT3_PKT4_S7_PT5_21rocsparse_index_base_b
                                        ; -- End function
	.section	.AMDGPU.csdata,"",@progbits
; Kernel info:
; codeLenInByte = 1876
; NumSgprs: 22
; NumVgprs: 21
; ScratchSize: 0
; MemoryBound: 0
; FloatMode: 240
; IeeeMode: 1
; LDSByteSize: 4608 bytes/workgroup (compile time only)
; SGPRBlocks: 2
; VGPRBlocks: 2
; NumSGPRsForWavesPerEU: 22
; NumVGPRsForWavesPerEU: 21
; Occupancy: 14
; WaveLimiterHint : 1
; COMPUTE_PGM_RSRC2:SCRATCH_EN: 0
; COMPUTE_PGM_RSRC2:USER_SGPR: 15
; COMPUTE_PGM_RSRC2:TRAP_HANDLER: 0
; COMPUTE_PGM_RSRC2:TGID_X_EN: 1
; COMPUTE_PGM_RSRC2:TGID_Y_EN: 0
; COMPUTE_PGM_RSRC2:TGID_Z_EN: 0
; COMPUTE_PGM_RSRC2:TIDIG_COMP_CNT: 0
	.section	.text._ZN9rocsparseL20bsrxmvn_17_32_kernelILj25E21rocsparse_complex_numIfEllS2_S2_S2_EEvT2_20rocsparse_direction_NS_24const_host_device_scalarIT0_EES3_PKS3_PKT1_SC_S9_PKT3_PKT4_S7_PT5_21rocsparse_index_base_b,"axG",@progbits,_ZN9rocsparseL20bsrxmvn_17_32_kernelILj25E21rocsparse_complex_numIfEllS2_S2_S2_EEvT2_20rocsparse_direction_NS_24const_host_device_scalarIT0_EES3_PKS3_PKT1_SC_S9_PKT3_PKT4_S7_PT5_21rocsparse_index_base_b,comdat
	.globl	_ZN9rocsparseL20bsrxmvn_17_32_kernelILj25E21rocsparse_complex_numIfEllS2_S2_S2_EEvT2_20rocsparse_direction_NS_24const_host_device_scalarIT0_EES3_PKS3_PKT1_SC_S9_PKT3_PKT4_S7_PT5_21rocsparse_index_base_b ; -- Begin function _ZN9rocsparseL20bsrxmvn_17_32_kernelILj25E21rocsparse_complex_numIfEllS2_S2_S2_EEvT2_20rocsparse_direction_NS_24const_host_device_scalarIT0_EES3_PKS3_PKT1_SC_S9_PKT3_PKT4_S7_PT5_21rocsparse_index_base_b
	.p2align	8
	.type	_ZN9rocsparseL20bsrxmvn_17_32_kernelILj25E21rocsparse_complex_numIfEllS2_S2_S2_EEvT2_20rocsparse_direction_NS_24const_host_device_scalarIT0_EES3_PKS3_PKT1_SC_S9_PKT3_PKT4_S7_PT5_21rocsparse_index_base_b,@function
_ZN9rocsparseL20bsrxmvn_17_32_kernelILj25E21rocsparse_complex_numIfEllS2_S2_S2_EEvT2_20rocsparse_direction_NS_24const_host_device_scalarIT0_EES3_PKS3_PKT1_SC_S9_PKT3_PKT4_S7_PT5_21rocsparse_index_base_b: ; @_ZN9rocsparseL20bsrxmvn_17_32_kernelILj25E21rocsparse_complex_numIfEllS2_S2_S2_EEvT2_20rocsparse_direction_NS_24const_host_device_scalarIT0_EES3_PKS3_PKT1_SC_S9_PKT3_PKT4_S7_PT5_21rocsparse_index_base_b
; %bb.0:
	s_clause 0x2
	s_load_b64 s[12:13], s[0:1], 0x60
	s_load_b64 s[4:5], s[0:1], 0x10
	s_load_b64 s[2:3], s[0:1], 0x50
	s_mov_b32 s8, s15
	s_waitcnt lgkmcnt(0)
	s_bitcmp1_b32 s13, 0
	v_mov_b32_e32 v11, s4
	s_cselect_b32 s6, -1, 0
	s_delay_alu instid0(SALU_CYCLE_1)
	s_and_b32 vcc_lo, exec_lo, s6
	s_xor_b32 s6, s6, -1
	s_cbranch_vccz .LBB168_15
; %bb.1:
	v_cndmask_b32_e64 v1, 0, 1, s6
	v_mov_b32_e32 v12, s5
	s_and_not1_b32 vcc_lo, exec_lo, s6
	s_cbranch_vccz .LBB168_16
.LBB168_2:
	s_delay_alu instid0(VALU_DEP_2)
	v_cmp_ne_u32_e32 vcc_lo, 1, v1
	v_mov_b32_e32 v9, s2
	s_cbranch_vccz .LBB168_17
.LBB168_3:
	v_cmp_ne_u32_e32 vcc_lo, 1, v1
	v_mov_b32_e32 v10, s3
	s_cbranch_vccnz .LBB168_5
.LBB168_4:
	v_dual_mov_b32 v1, s2 :: v_dual_mov_b32 v2, s3
	flat_load_b32 v10, v[1:2] offset:4
.LBB168_5:
	s_waitcnt vmcnt(0) lgkmcnt(0)
	v_cmp_eq_f32_e32 vcc_lo, 0, v11
	v_cmp_eq_f32_e64 s2, 0, v12
	s_delay_alu instid0(VALU_DEP_1)
	s_and_b32 s4, vcc_lo, s2
	s_mov_b32 s2, -1
	s_and_saveexec_b32 s3, s4
; %bb.6:
	v_cmp_neq_f32_e32 vcc_lo, 1.0, v9
	v_cmp_neq_f32_e64 s2, 0, v10
	s_delay_alu instid0(VALU_DEP_1) | instskip(NEXT) | instid1(SALU_CYCLE_1)
	s_or_b32 s2, vcc_lo, s2
	s_or_not1_b32 s2, s2, exec_lo
; %bb.7:
	s_or_b32 exec_lo, exec_lo, s3
	s_and_saveexec_b32 s3, s2
	s_cbranch_execz .LBB168_44
; %bb.8:
	s_clause 0x1
	s_load_b128 s[4:7], s[0:1], 0x20
	s_load_b64 s[10:11], s[0:1], 0x30
	s_mov_b32 s9, 0
	s_waitcnt lgkmcnt(0)
	s_cmp_eq_u64 s[4:5], 0
	s_cbranch_scc1 .LBB168_10
; %bb.9:
	s_lshl_b64 s[2:3], s[8:9], 3
	s_delay_alu instid0(SALU_CYCLE_1)
	s_add_u32 s2, s4, s2
	s_addc_u32 s3, s5, s3
	s_load_b64 s[2:3], s[2:3], 0x0
	s_waitcnt lgkmcnt(0)
	s_sub_u32 s8, s2, s12
	s_subb_u32 s9, s3, 0
.LBB168_10:
	s_load_b32 s3, s[0:1], 0x8
	v_mul_u32_u24_e32 v1, 0xa3e, v0
	v_dual_mov_b32 v2, 0 :: v_dual_lshlrev_b32 v13, 3, v0
	s_delay_alu instid0(VALU_DEP_2) | instskip(NEXT) | instid1(VALU_DEP_1)
	v_lshrrev_b32_e32 v3, 16, v1
	v_mul_lo_u16 v1, v3, 25
	s_delay_alu instid0(VALU_DEP_1)
	v_sub_nc_u16 v14, v0, v1
	v_mov_b32_e32 v1, 0
	s_waitcnt lgkmcnt(0)
	s_cmp_eq_u32 s3, 1
	s_cselect_b32 s2, -1, 0
	s_cmp_lg_u32 s3, 1
	s_cselect_b32 s13, -1, 0
	s_lshl_b64 s[4:5], s[8:9], 3
	s_delay_alu instid0(SALU_CYCLE_1)
	s_add_u32 s6, s6, s4
	s_addc_u32 s7, s7, s5
	s_add_u32 s3, s6, 8
	s_addc_u32 s14, s7, 0
	;; [unrolled: 2-line block ×3, first 2 shown]
	s_cmp_eq_u64 s[10:11], 0
	s_load_b64 s[10:11], s[0:1], 0x58
	s_cselect_b32 s5, s14, s5
	s_cselect_b32 s4, s3, s4
	s_load_b64 s[14:15], s[6:7], 0x0
	s_load_b64 s[16:17], s[4:5], 0x0
	s_waitcnt lgkmcnt(0)
	v_cmp_ge_i64_e64 s3, s[14:15], s[16:17]
	s_delay_alu instid0(VALU_DEP_1)
	s_and_b32 vcc_lo, exec_lo, s3
	s_cbranch_vccnz .LBB168_18
; %bb.11:
	v_dual_mov_b32 v2, 0 :: v_dual_and_b32 v1, 0xffff, v3
	v_cmp_gt_u32_e32 vcc_lo, 0x271, v0
	s_clause 0x1
	s_load_b128 s[4:7], s[0:1], 0x38
	s_load_b64 s[18:19], s[0:1], 0x48
	s_sub_u32 s0, s16, s12
	v_subrev_nc_u32_e32 v3, 25, v1
	v_and_b32_e32 v4, 0xffff, v14
	s_subb_u32 s1, s17, 0
	s_delay_alu instid0(VALU_DEP_2) | instskip(SKIP_1) | instid1(VALU_DEP_2)
	v_cndmask_b32_e32 v1, v3, v1, vcc_lo
	v_cmp_lt_u32_e32 vcc_lo, 0x270, v0
	v_cndmask_b32_e64 v1, v4, v1, s2
	v_cndmask_b32_e64 v15, 0, 1, vcc_lo
	s_sub_u32 s2, s14, s12
	s_subb_u32 s3, s15, 0
	s_mul_hi_u32 s16, s2, 0x1388
	v_lshlrev_b64 v[3:4], 3, v[1:2]
	v_add_co_u32 v1, s14, s14, v15
	s_delay_alu instid0(VALU_DEP_1) | instskip(SKIP_2) | instid1(VALU_DEP_3)
	v_add_co_ci_u32_e64 v6, null, s15, 0, s14
	s_mul_i32 s17, s3, 0x1388
	s_waitcnt lgkmcnt(0)
	v_add_co_u32 v3, vcc_lo, s18, v3
	v_add_co_ci_u32_e32 v4, vcc_lo, s19, v4, vcc_lo
	v_sub_co_u32 v5, vcc_lo, v1, s12
	v_subrev_co_ci_u32_e32 v6, vcc_lo, 0, v6, vcc_lo
	v_lshlrev_b32_e32 v1, 3, v0
	s_mul_i32 s14, s2, 0x1388
	s_add_i32 s16, s16, s17
	s_delay_alu instid0(VALU_DEP_2) | instskip(SKIP_3) | instid1(VALU_DEP_1)
	v_lshlrev_b64 v[7:8], 3, v[5:6]
	s_add_u32 s6, s6, s14
	s_addc_u32 s7, s7, s16
	v_add_co_u32 v5, s6, s6, v1
	v_add_co_ci_u32_e64 v6, null, s7, 0, s6
	s_delay_alu instid0(VALU_DEP_3)
	v_add_co_u32 v7, vcc_lo, s4, v7
	v_add_co_ci_u32_e32 v8, vcc_lo, s5, v8, vcc_lo
	v_mov_b32_e32 v1, v2
	s_set_inst_prefetch_distance 0x1
	s_branch .LBB168_13
	.p2align	6
.LBB168_12:                             ;   in Loop: Header=BB168_13 Depth=1
	s_or_b32 exec_lo, exec_lo, s4
	s_add_u32 s2, s2, 1
	s_addc_u32 s3, s3, 0
	v_add_co_u32 v7, vcc_lo, v7, 8
	v_cmp_lt_i64_e64 s4, s[2:3], s[0:1]
	v_add_co_ci_u32_e32 v8, vcc_lo, 0, v8, vcc_lo
	s_delay_alu instid0(VALU_DEP_2)
	s_and_b32 vcc_lo, exec_lo, s4
	s_cbranch_vccz .LBB168_18
.LBB168_13:                             ; =>This Inner Loop Header: Depth=1
	v_add_co_u32 v16, s4, v15, s2
	s_delay_alu instid0(VALU_DEP_1) | instskip(SKIP_1) | instid1(VALU_DEP_1)
	v_add_co_ci_u32_e64 v17, null, 0, s3, s4
	s_mov_b32 s4, exec_lo
	v_cmpx_gt_i64_e64 s[0:1], v[16:17]
	s_cbranch_execz .LBB168_12
; %bb.14:                               ;   in Loop: Header=BB168_13 Depth=1
	global_load_b64 v[16:17], v[7:8], off
	s_waitcnt vmcnt(0)
	v_sub_co_u32 v18, vcc_lo, v16, s12
	v_subrev_co_ci_u32_e32 v20, vcc_lo, 0, v17, vcc_lo
	s_delay_alu instid0(VALU_DEP_2) | instskip(NEXT) | instid1(VALU_DEP_1)
	v_mad_u64_u32 v[16:17], null, 0xc8, v18, v[3:4]
	v_mad_u64_u32 v[18:19], null, 0xc8, v20, v[17:18]
	s_delay_alu instid0(VALU_DEP_1)
	v_mov_b32_e32 v17, v18
	global_load_b64 v[18:19], v[5:6], off
	global_load_b64 v[16:17], v[16:17], off
	v_add_co_u32 v5, vcc_lo, 0x1388, v5
	v_add_co_ci_u32_e32 v6, vcc_lo, 0, v6, vcc_lo
	s_waitcnt vmcnt(0)
	v_fmac_f32_e32 v2, v19, v16
	v_fmac_f32_e32 v1, v18, v16
	s_delay_alu instid0(VALU_DEP_2) | instskip(NEXT) | instid1(VALU_DEP_2)
	v_fmac_f32_e32 v2, v18, v17
	v_fma_f32 v1, -v19, v17, v1
	s_branch .LBB168_12
.LBB168_15:
	v_dual_mov_b32 v1, s4 :: v_dual_mov_b32 v2, s5
	flat_load_b32 v11, v[1:2]
	v_cndmask_b32_e64 v1, 0, 1, s6
	v_mov_b32_e32 v12, s5
	s_and_not1_b32 vcc_lo, exec_lo, s6
	s_cbranch_vccnz .LBB168_2
.LBB168_16:
	v_dual_mov_b32 v2, s4 :: v_dual_mov_b32 v3, s5
	flat_load_b32 v12, v[2:3] offset:4
	v_cmp_ne_u32_e32 vcc_lo, 1, v1
	v_mov_b32_e32 v9, s2
	s_cbranch_vccnz .LBB168_3
.LBB168_17:
	v_dual_mov_b32 v2, s2 :: v_dual_mov_b32 v3, s3
	flat_load_b32 v9, v[2:3]
	v_cmp_ne_u32_e32 vcc_lo, 1, v1
	v_mov_b32_e32 v10, s3
	s_cbranch_vccz .LBB168_4
	s_branch .LBB168_5
.LBB168_18:
	s_set_inst_prefetch_distance 0x2
	s_and_b32 vcc_lo, exec_lo, s13
	ds_store_b64 v13, v[1:2]
	s_waitcnt lgkmcnt(0)
	s_barrier
	buffer_gl0_inv
	s_cbranch_vccz .LBB168_30
; %bb.19:
	s_mov_b32 s0, exec_lo
	v_cmpx_gt_u16_e32 9, v14
	s_cbranch_execz .LBB168_21
; %bb.20:
	ds_load_2addr_b64 v[3:6], v13 offset1:16
	s_waitcnt lgkmcnt(0)
	v_dual_add_f32 v3, v5, v3 :: v_dual_add_f32 v4, v6, v4
	ds_store_b64 v13, v[3:4]
.LBB168_21:
	s_or_b32 exec_lo, exec_lo, s0
	s_delay_alu instid0(SALU_CYCLE_1)
	s_mov_b32 s0, exec_lo
	s_waitcnt lgkmcnt(0)
	s_barrier
	buffer_gl0_inv
	v_cmpx_gt_u16_e32 8, v14
	s_cbranch_execz .LBB168_23
; %bb.22:
	ds_load_2addr_b64 v[3:6], v13 offset1:8
	s_waitcnt lgkmcnt(0)
	v_dual_add_f32 v3, v5, v3 :: v_dual_add_f32 v4, v6, v4
	ds_store_b64 v13, v[3:4]
.LBB168_23:
	s_or_b32 exec_lo, exec_lo, s0
	s_delay_alu instid0(SALU_CYCLE_1)
	s_mov_b32 s0, exec_lo
	s_waitcnt lgkmcnt(0)
	s_barrier
	buffer_gl0_inv
	;; [unrolled: 14-line block ×3, first 2 shown]
	v_cmpx_gt_u16_e32 2, v14
	s_cbranch_execz .LBB168_27
; %bb.26:
	ds_load_2addr_b64 v[3:6], v13 offset1:2
	s_waitcnt lgkmcnt(0)
	v_dual_add_f32 v3, v5, v3 :: v_dual_add_f32 v4, v6, v4
	ds_store_b64 v13, v[3:4]
.LBB168_27:
	s_or_b32 exec_lo, exec_lo, s0
	s_mov_b32 s1, 0
	s_mov_b32 s0, 0
	s_mov_b32 s2, exec_lo
	s_waitcnt lgkmcnt(0)
	s_barrier
	buffer_gl0_inv
                                        ; implicit-def: $vgpr4
                                        ; implicit-def: $vgpr3
	v_cmpx_gt_u32_e32 25, v0
	s_xor_b32 s2, exec_lo, s2
; %bb.28:
	v_mul_u32_u24_e32 v4, 25, v0
	v_mad_u32_u24 v3, v0, 25, 1
	s_mov_b32 s0, exec_lo
	s_delay_alu instid0(VALU_DEP_2)
	v_lshlrev_b32_e32 v4, 3, v4
; %bb.29:
	s_or_b32 exec_lo, exec_lo, s2
	s_delay_alu instid0(SALU_CYCLE_1)
	s_and_b32 vcc_lo, exec_lo, s1
	s_cbranch_vccnz .LBB168_31
	s_branch .LBB168_42
.LBB168_30:
	s_mov_b32 s0, 0
                                        ; implicit-def: $vgpr4
                                        ; implicit-def: $vgpr3
	s_cbranch_execz .LBB168_42
.LBB168_31:
	s_mov_b32 s1, exec_lo
	v_cmpx_gt_u32_e32 0xe1, v0
	s_cbranch_execz .LBB168_33
; %bb.32:
	ds_load_b64 v[3:4], v13 offset:3200
	ds_load_b64 v[5:6], v13
	s_waitcnt lgkmcnt(0)
	v_dual_add_f32 v3, v3, v5 :: v_dual_add_f32 v4, v4, v6
	ds_store_b64 v13, v[3:4]
.LBB168_33:
	s_or_b32 exec_lo, exec_lo, s1
	s_delay_alu instid0(SALU_CYCLE_1)
	s_mov_b32 s1, exec_lo
	s_waitcnt lgkmcnt(0)
	s_barrier
	buffer_gl0_inv
	v_cmpx_gt_u32_e32 0xc8, v0
	s_cbranch_execz .LBB168_35
; %bb.34:
	ds_load_2addr_b64 v[3:6], v13 offset1:200
	s_waitcnt lgkmcnt(0)
	v_dual_add_f32 v3, v5, v3 :: v_dual_add_f32 v4, v6, v4
	ds_store_b64 v13, v[3:4]
.LBB168_35:
	s_or_b32 exec_lo, exec_lo, s1
	s_delay_alu instid0(SALU_CYCLE_1)
	s_mov_b32 s1, exec_lo
	s_waitcnt lgkmcnt(0)
	s_barrier
	buffer_gl0_inv
	v_cmpx_gt_u32_e32 0x64, v0
	s_cbranch_execz .LBB168_37
; %bb.36:
	ds_load_2addr_b64 v[3:6], v13 offset1:100
	s_waitcnt lgkmcnt(0)
	v_dual_add_f32 v3, v5, v3 :: v_dual_add_f32 v4, v6, v4
	ds_store_b64 v13, v[3:4]
.LBB168_37:
	;; [unrolled: 14-line block ×3, first 2 shown]
	s_or_b32 exec_lo, exec_lo, s1
	s_delay_alu instid0(SALU_CYCLE_1)
	s_mov_b32 s1, exec_lo
	s_waitcnt lgkmcnt(0)
	buffer_gl0_inv
                                        ; implicit-def: $vgpr3
	v_cmpx_gt_u32_e32 25, v0
; %bb.40:
	v_add_nc_u32_e32 v3, 25, v0
                                        ; kill: def $vgpr1 killed $sgpr0 killed $exec
	s_or_b32 s0, s0, exec_lo
                                        ; implicit-def: $vgpr2
; %bb.41:
	s_or_b32 exec_lo, exec_lo, s1
	v_mov_b32_e32 v4, v13
.LBB168_42:
	s_and_saveexec_b32 s1, s0
	s_cbranch_execnz .LBB168_45
; %bb.43:
	s_or_b32 exec_lo, exec_lo, s1
	v_cmp_gt_u32_e32 vcc_lo, 25, v0
	s_and_b32 exec_lo, exec_lo, vcc_lo
	s_cbranch_execnz .LBB168_46
.LBB168_44:
	s_nop 0
	s_sendmsg sendmsg(MSG_DEALLOC_VGPRS)
	s_endpgm
.LBB168_45:
	v_lshlrev_b32_e32 v3, 3, v3
	ds_load_2addr_b32 v[1:2], v4 offset1:1
	ds_load_b64 v[3:4], v3
	s_waitcnt lgkmcnt(0)
	v_dual_add_f32 v2, v4, v2 :: v_dual_add_f32 v1, v3, v1
	s_or_b32 exec_lo, exec_lo, s1
	v_cmp_gt_u32_e32 vcc_lo, 25, v0
	s_and_b32 exec_lo, exec_lo, vcc_lo
	s_cbranch_execz .LBB168_44
.LBB168_46:
	v_mul_f32_e64 v3, v2, -v12
	v_mul_f32_e32 v4, v2, v11
	v_cmp_eq_f32_e32 vcc_lo, 0, v9
	v_cmp_eq_f32_e64 s0, 0, v10
	s_mul_hi_u32 s1, s8, 0xc8
	v_fmac_f32_e32 v3, v11, v1
	v_fmac_f32_e32 v4, v12, v1
	s_mul_i32 s2, s8, 0xc8
	s_and_b32 s3, vcc_lo, s0
	s_mul_i32 s0, s9, 0xc8
	s_and_saveexec_b32 s4, s3
	s_delay_alu instid0(SALU_CYCLE_1)
	s_xor_b32 s3, exec_lo, s4
	s_cbranch_execz .LBB168_48
; %bb.47:
	v_lshlrev_b32_e32 v0, 3, v0
	s_add_i32 s5, s1, s0
	s_add_u32 s4, s10, s2
	s_addc_u32 s5, s11, s5
                                        ; implicit-def: $vgpr9
                                        ; implicit-def: $vgpr10
	global_store_b64 v0, v[3:4], s[4:5]
                                        ; implicit-def: $vgpr0
                                        ; implicit-def: $vgpr3
.LBB168_48:
	s_and_not1_saveexec_b32 s3, s3
	s_cbranch_execz .LBB168_44
; %bb.49:
	v_lshlrev_b32_e32 v2, 3, v0
	s_add_i32 s1, s1, s0
	s_add_u32 s0, s10, s2
	s_addc_u32 s1, s11, s1
	global_load_b64 v[0:1], v2, s[0:1]
	s_waitcnt vmcnt(0)
	v_fmac_f32_e32 v3, v9, v0
	v_fmac_f32_e32 v4, v10, v0
	s_delay_alu instid0(VALU_DEP_2) | instskip(NEXT) | instid1(VALU_DEP_2)
	v_fma_f32 v3, -v10, v1, v3
	v_fmac_f32_e32 v4, v9, v1
	global_store_b64 v2, v[3:4], s[0:1]
	s_nop 0
	s_sendmsg sendmsg(MSG_DEALLOC_VGPRS)
	s_endpgm
	.section	.rodata,"a",@progbits
	.p2align	6, 0x0
	.amdhsa_kernel _ZN9rocsparseL20bsrxmvn_17_32_kernelILj25E21rocsparse_complex_numIfEllS2_S2_S2_EEvT2_20rocsparse_direction_NS_24const_host_device_scalarIT0_EES3_PKS3_PKT1_SC_S9_PKT3_PKT4_S7_PT5_21rocsparse_index_base_b
		.amdhsa_group_segment_fixed_size 5000
		.amdhsa_private_segment_fixed_size 0
		.amdhsa_kernarg_size 104
		.amdhsa_user_sgpr_count 15
		.amdhsa_user_sgpr_dispatch_ptr 0
		.amdhsa_user_sgpr_queue_ptr 0
		.amdhsa_user_sgpr_kernarg_segment_ptr 1
		.amdhsa_user_sgpr_dispatch_id 0
		.amdhsa_user_sgpr_private_segment_size 0
		.amdhsa_wavefront_size32 1
		.amdhsa_uses_dynamic_stack 0
		.amdhsa_enable_private_segment 0
		.amdhsa_system_sgpr_workgroup_id_x 1
		.amdhsa_system_sgpr_workgroup_id_y 0
		.amdhsa_system_sgpr_workgroup_id_z 0
		.amdhsa_system_sgpr_workgroup_info 0
		.amdhsa_system_vgpr_workitem_id 0
		.amdhsa_next_free_vgpr 21
		.amdhsa_next_free_sgpr 20
		.amdhsa_reserve_vcc 1
		.amdhsa_float_round_mode_32 0
		.amdhsa_float_round_mode_16_64 0
		.amdhsa_float_denorm_mode_32 3
		.amdhsa_float_denorm_mode_16_64 3
		.amdhsa_dx10_clamp 1
		.amdhsa_ieee_mode 1
		.amdhsa_fp16_overflow 0
		.amdhsa_workgroup_processor_mode 1
		.amdhsa_memory_ordered 1
		.amdhsa_forward_progress 0
		.amdhsa_shared_vgpr_count 0
		.amdhsa_exception_fp_ieee_invalid_op 0
		.amdhsa_exception_fp_denorm_src 0
		.amdhsa_exception_fp_ieee_div_zero 0
		.amdhsa_exception_fp_ieee_overflow 0
		.amdhsa_exception_fp_ieee_underflow 0
		.amdhsa_exception_fp_ieee_inexact 0
		.amdhsa_exception_int_div_zero 0
	.end_amdhsa_kernel
	.section	.text._ZN9rocsparseL20bsrxmvn_17_32_kernelILj25E21rocsparse_complex_numIfEllS2_S2_S2_EEvT2_20rocsparse_direction_NS_24const_host_device_scalarIT0_EES3_PKS3_PKT1_SC_S9_PKT3_PKT4_S7_PT5_21rocsparse_index_base_b,"axG",@progbits,_ZN9rocsparseL20bsrxmvn_17_32_kernelILj25E21rocsparse_complex_numIfEllS2_S2_S2_EEvT2_20rocsparse_direction_NS_24const_host_device_scalarIT0_EES3_PKS3_PKT1_SC_S9_PKT3_PKT4_S7_PT5_21rocsparse_index_base_b,comdat
.Lfunc_end168:
	.size	_ZN9rocsparseL20bsrxmvn_17_32_kernelILj25E21rocsparse_complex_numIfEllS2_S2_S2_EEvT2_20rocsparse_direction_NS_24const_host_device_scalarIT0_EES3_PKS3_PKT1_SC_S9_PKT3_PKT4_S7_PT5_21rocsparse_index_base_b, .Lfunc_end168-_ZN9rocsparseL20bsrxmvn_17_32_kernelILj25E21rocsparse_complex_numIfEllS2_S2_S2_EEvT2_20rocsparse_direction_NS_24const_host_device_scalarIT0_EES3_PKS3_PKT1_SC_S9_PKT3_PKT4_S7_PT5_21rocsparse_index_base_b
                                        ; -- End function
	.section	.AMDGPU.csdata,"",@progbits
; Kernel info:
; codeLenInByte = 1908
; NumSgprs: 22
; NumVgprs: 21
; ScratchSize: 0
; MemoryBound: 0
; FloatMode: 240
; IeeeMode: 1
; LDSByteSize: 5000 bytes/workgroup (compile time only)
; SGPRBlocks: 2
; VGPRBlocks: 2
; NumSGPRsForWavesPerEU: 22
; NumVGPRsForWavesPerEU: 21
; Occupancy: 15
; WaveLimiterHint : 1
; COMPUTE_PGM_RSRC2:SCRATCH_EN: 0
; COMPUTE_PGM_RSRC2:USER_SGPR: 15
; COMPUTE_PGM_RSRC2:TRAP_HANDLER: 0
; COMPUTE_PGM_RSRC2:TGID_X_EN: 1
; COMPUTE_PGM_RSRC2:TGID_Y_EN: 0
; COMPUTE_PGM_RSRC2:TGID_Z_EN: 0
; COMPUTE_PGM_RSRC2:TIDIG_COMP_CNT: 0
	.section	.text._ZN9rocsparseL20bsrxmvn_17_32_kernelILj26E21rocsparse_complex_numIfEllS2_S2_S2_EEvT2_20rocsparse_direction_NS_24const_host_device_scalarIT0_EES3_PKS3_PKT1_SC_S9_PKT3_PKT4_S7_PT5_21rocsparse_index_base_b,"axG",@progbits,_ZN9rocsparseL20bsrxmvn_17_32_kernelILj26E21rocsparse_complex_numIfEllS2_S2_S2_EEvT2_20rocsparse_direction_NS_24const_host_device_scalarIT0_EES3_PKS3_PKT1_SC_S9_PKT3_PKT4_S7_PT5_21rocsparse_index_base_b,comdat
	.globl	_ZN9rocsparseL20bsrxmvn_17_32_kernelILj26E21rocsparse_complex_numIfEllS2_S2_S2_EEvT2_20rocsparse_direction_NS_24const_host_device_scalarIT0_EES3_PKS3_PKT1_SC_S9_PKT3_PKT4_S7_PT5_21rocsparse_index_base_b ; -- Begin function _ZN9rocsparseL20bsrxmvn_17_32_kernelILj26E21rocsparse_complex_numIfEllS2_S2_S2_EEvT2_20rocsparse_direction_NS_24const_host_device_scalarIT0_EES3_PKS3_PKT1_SC_S9_PKT3_PKT4_S7_PT5_21rocsparse_index_base_b
	.p2align	8
	.type	_ZN9rocsparseL20bsrxmvn_17_32_kernelILj26E21rocsparse_complex_numIfEllS2_S2_S2_EEvT2_20rocsparse_direction_NS_24const_host_device_scalarIT0_EES3_PKS3_PKT1_SC_S9_PKT3_PKT4_S7_PT5_21rocsparse_index_base_b,@function
_ZN9rocsparseL20bsrxmvn_17_32_kernelILj26E21rocsparse_complex_numIfEllS2_S2_S2_EEvT2_20rocsparse_direction_NS_24const_host_device_scalarIT0_EES3_PKS3_PKT1_SC_S9_PKT3_PKT4_S7_PT5_21rocsparse_index_base_b: ; @_ZN9rocsparseL20bsrxmvn_17_32_kernelILj26E21rocsparse_complex_numIfEllS2_S2_S2_EEvT2_20rocsparse_direction_NS_24const_host_device_scalarIT0_EES3_PKS3_PKT1_SC_S9_PKT3_PKT4_S7_PT5_21rocsparse_index_base_b
; %bb.0:
	s_clause 0x2
	s_load_b64 s[12:13], s[0:1], 0x60
	s_load_b64 s[4:5], s[0:1], 0x10
	;; [unrolled: 1-line block ×3, first 2 shown]
	s_mov_b32 s8, s15
	s_waitcnt lgkmcnt(0)
	s_bitcmp1_b32 s13, 0
	v_mov_b32_e32 v11, s4
	s_cselect_b32 s6, -1, 0
	s_delay_alu instid0(SALU_CYCLE_1)
	s_and_b32 vcc_lo, exec_lo, s6
	s_xor_b32 s6, s6, -1
	s_cbranch_vccz .LBB169_15
; %bb.1:
	v_cndmask_b32_e64 v1, 0, 1, s6
	v_mov_b32_e32 v12, s5
	s_and_not1_b32 vcc_lo, exec_lo, s6
	s_cbranch_vccz .LBB169_16
.LBB169_2:
	s_delay_alu instid0(VALU_DEP_2)
	v_cmp_ne_u32_e32 vcc_lo, 1, v1
	v_mov_b32_e32 v9, s2
	s_cbranch_vccz .LBB169_17
.LBB169_3:
	v_cmp_ne_u32_e32 vcc_lo, 1, v1
	v_mov_b32_e32 v10, s3
	s_cbranch_vccnz .LBB169_5
.LBB169_4:
	v_dual_mov_b32 v1, s2 :: v_dual_mov_b32 v2, s3
	flat_load_b32 v10, v[1:2] offset:4
.LBB169_5:
	s_waitcnt vmcnt(0) lgkmcnt(0)
	v_cmp_eq_f32_e32 vcc_lo, 0, v11
	v_cmp_eq_f32_e64 s2, 0, v12
	s_delay_alu instid0(VALU_DEP_1)
	s_and_b32 s4, vcc_lo, s2
	s_mov_b32 s2, -1
	s_and_saveexec_b32 s3, s4
; %bb.6:
	v_cmp_neq_f32_e32 vcc_lo, 1.0, v9
	v_cmp_neq_f32_e64 s2, 0, v10
	s_delay_alu instid0(VALU_DEP_1) | instskip(NEXT) | instid1(SALU_CYCLE_1)
	s_or_b32 s2, vcc_lo, s2
	s_or_not1_b32 s2, s2, exec_lo
; %bb.7:
	s_or_b32 exec_lo, exec_lo, s3
	s_and_saveexec_b32 s3, s2
	s_cbranch_execz .LBB169_44
; %bb.8:
	s_clause 0x1
	s_load_b128 s[4:7], s[0:1], 0x20
	s_load_b64 s[10:11], s[0:1], 0x30
	s_mov_b32 s9, 0
	s_waitcnt lgkmcnt(0)
	s_cmp_eq_u64 s[4:5], 0
	s_cbranch_scc1 .LBB169_10
; %bb.9:
	s_lshl_b64 s[2:3], s[8:9], 3
	s_delay_alu instid0(SALU_CYCLE_1)
	s_add_u32 s2, s4, s2
	s_addc_u32 s3, s5, s3
	s_load_b64 s[2:3], s[2:3], 0x0
	s_waitcnt lgkmcnt(0)
	s_sub_u32 s8, s2, s12
	s_subb_u32 s9, s3, 0
.LBB169_10:
	s_load_b32 s3, s[0:1], 0x8
	v_mul_u32_u24_e32 v1, 0x9d9, v0
	v_dual_mov_b32 v2, 0 :: v_dual_lshlrev_b32 v13, 3, v0
	s_delay_alu instid0(VALU_DEP_2) | instskip(NEXT) | instid1(VALU_DEP_1)
	v_lshrrev_b32_e32 v3, 16, v1
	v_mul_lo_u16 v1, v3, 26
	s_delay_alu instid0(VALU_DEP_1)
	v_sub_nc_u16 v14, v0, v1
	v_mov_b32_e32 v1, 0
	s_waitcnt lgkmcnt(0)
	s_cmp_eq_u32 s3, 1
	s_cselect_b32 s2, -1, 0
	s_cmp_lg_u32 s3, 1
	s_cselect_b32 s13, -1, 0
	s_lshl_b64 s[4:5], s[8:9], 3
	s_delay_alu instid0(SALU_CYCLE_1)
	s_add_u32 s6, s6, s4
	s_addc_u32 s7, s7, s5
	s_add_u32 s3, s6, 8
	s_addc_u32 s14, s7, 0
	;; [unrolled: 2-line block ×3, first 2 shown]
	s_cmp_eq_u64 s[10:11], 0
	s_load_b64 s[10:11], s[0:1], 0x58
	s_cselect_b32 s5, s14, s5
	s_cselect_b32 s4, s3, s4
	s_load_b64 s[14:15], s[6:7], 0x0
	s_load_b64 s[16:17], s[4:5], 0x0
	s_waitcnt lgkmcnt(0)
	v_cmp_ge_i64_e64 s3, s[14:15], s[16:17]
	s_delay_alu instid0(VALU_DEP_1)
	s_and_b32 vcc_lo, exec_lo, s3
	s_cbranch_vccnz .LBB169_18
; %bb.11:
	v_dual_mov_b32 v2, 0 :: v_dual_and_b32 v1, 0xffff, v3
	v_cmp_gt_u32_e32 vcc_lo, 0x2a4, v0
	s_clause 0x1
	s_load_b128 s[4:7], s[0:1], 0x38
	s_load_b64 s[18:19], s[0:1], 0x48
	s_sub_u32 s0, s16, s12
	v_subrev_nc_u32_e32 v3, 26, v1
	v_and_b32_e32 v4, 0xffff, v14
	s_subb_u32 s1, s17, 0
	s_delay_alu instid0(VALU_DEP_2) | instskip(SKIP_1) | instid1(VALU_DEP_2)
	v_cndmask_b32_e32 v1, v3, v1, vcc_lo
	v_cmp_lt_u32_e32 vcc_lo, 0x2a3, v0
	v_cndmask_b32_e64 v1, v4, v1, s2
	v_cndmask_b32_e64 v15, 0, 1, vcc_lo
	s_sub_u32 s2, s14, s12
	s_subb_u32 s3, s15, 0
	s_mul_hi_u32 s16, s2, 0x1520
	v_lshlrev_b64 v[3:4], 3, v[1:2]
	v_add_co_u32 v1, s14, s14, v15
	s_delay_alu instid0(VALU_DEP_1) | instskip(SKIP_2) | instid1(VALU_DEP_3)
	v_add_co_ci_u32_e64 v6, null, s15, 0, s14
	s_mul_i32 s17, s3, 0x1520
	s_waitcnt lgkmcnt(0)
	v_add_co_u32 v3, vcc_lo, s18, v3
	v_add_co_ci_u32_e32 v4, vcc_lo, s19, v4, vcc_lo
	v_sub_co_u32 v5, vcc_lo, v1, s12
	v_subrev_co_ci_u32_e32 v6, vcc_lo, 0, v6, vcc_lo
	v_lshlrev_b32_e32 v1, 3, v0
	s_mul_i32 s14, s2, 0x1520
	s_add_i32 s16, s16, s17
	s_delay_alu instid0(VALU_DEP_2) | instskip(SKIP_3) | instid1(VALU_DEP_1)
	v_lshlrev_b64 v[7:8], 3, v[5:6]
	s_add_u32 s6, s6, s14
	s_addc_u32 s7, s7, s16
	v_add_co_u32 v5, s6, s6, v1
	v_add_co_ci_u32_e64 v6, null, s7, 0, s6
	s_delay_alu instid0(VALU_DEP_3)
	v_add_co_u32 v7, vcc_lo, s4, v7
	v_add_co_ci_u32_e32 v8, vcc_lo, s5, v8, vcc_lo
	v_mov_b32_e32 v1, v2
	s_set_inst_prefetch_distance 0x1
	s_branch .LBB169_13
	.p2align	6
.LBB169_12:                             ;   in Loop: Header=BB169_13 Depth=1
	s_or_b32 exec_lo, exec_lo, s4
	s_add_u32 s2, s2, 1
	s_addc_u32 s3, s3, 0
	v_add_co_u32 v7, vcc_lo, v7, 8
	v_cmp_lt_i64_e64 s4, s[2:3], s[0:1]
	v_add_co_ci_u32_e32 v8, vcc_lo, 0, v8, vcc_lo
	s_delay_alu instid0(VALU_DEP_2)
	s_and_b32 vcc_lo, exec_lo, s4
	s_cbranch_vccz .LBB169_18
.LBB169_13:                             ; =>This Inner Loop Header: Depth=1
	v_add_co_u32 v16, s4, v15, s2
	s_delay_alu instid0(VALU_DEP_1) | instskip(SKIP_1) | instid1(VALU_DEP_1)
	v_add_co_ci_u32_e64 v17, null, 0, s3, s4
	s_mov_b32 s4, exec_lo
	v_cmpx_gt_i64_e64 s[0:1], v[16:17]
	s_cbranch_execz .LBB169_12
; %bb.14:                               ;   in Loop: Header=BB169_13 Depth=1
	global_load_b64 v[16:17], v[7:8], off
	s_waitcnt vmcnt(0)
	v_sub_co_u32 v18, vcc_lo, v16, s12
	v_subrev_co_ci_u32_e32 v20, vcc_lo, 0, v17, vcc_lo
	s_delay_alu instid0(VALU_DEP_2) | instskip(NEXT) | instid1(VALU_DEP_1)
	v_mad_u64_u32 v[16:17], null, 0xd0, v18, v[3:4]
	v_mad_u64_u32 v[18:19], null, 0xd0, v20, v[17:18]
	s_delay_alu instid0(VALU_DEP_1)
	v_mov_b32_e32 v17, v18
	global_load_b64 v[18:19], v[5:6], off
	global_load_b64 v[16:17], v[16:17], off
	v_add_co_u32 v5, vcc_lo, 0x1520, v5
	v_add_co_ci_u32_e32 v6, vcc_lo, 0, v6, vcc_lo
	s_waitcnt vmcnt(0)
	v_fmac_f32_e32 v2, v19, v16
	v_fmac_f32_e32 v1, v18, v16
	s_delay_alu instid0(VALU_DEP_2) | instskip(NEXT) | instid1(VALU_DEP_2)
	v_fmac_f32_e32 v2, v18, v17
	v_fma_f32 v1, -v19, v17, v1
	s_branch .LBB169_12
.LBB169_15:
	v_dual_mov_b32 v1, s4 :: v_dual_mov_b32 v2, s5
	flat_load_b32 v11, v[1:2]
	v_cndmask_b32_e64 v1, 0, 1, s6
	v_mov_b32_e32 v12, s5
	s_and_not1_b32 vcc_lo, exec_lo, s6
	s_cbranch_vccnz .LBB169_2
.LBB169_16:
	v_dual_mov_b32 v2, s4 :: v_dual_mov_b32 v3, s5
	flat_load_b32 v12, v[2:3] offset:4
	v_cmp_ne_u32_e32 vcc_lo, 1, v1
	v_mov_b32_e32 v9, s2
	s_cbranch_vccnz .LBB169_3
.LBB169_17:
	v_dual_mov_b32 v2, s2 :: v_dual_mov_b32 v3, s3
	flat_load_b32 v9, v[2:3]
	v_cmp_ne_u32_e32 vcc_lo, 1, v1
	v_mov_b32_e32 v10, s3
	s_cbranch_vccz .LBB169_4
	s_branch .LBB169_5
.LBB169_18:
	s_set_inst_prefetch_distance 0x2
	s_and_b32 vcc_lo, exec_lo, s13
	ds_store_b64 v13, v[1:2]
	s_waitcnt lgkmcnt(0)
	s_barrier
	buffer_gl0_inv
	s_cbranch_vccz .LBB169_30
; %bb.19:
	s_mov_b32 s0, exec_lo
	v_cmpx_gt_u16_e32 10, v14
	s_cbranch_execz .LBB169_21
; %bb.20:
	ds_load_2addr_b64 v[3:6], v13 offset1:16
	s_waitcnt lgkmcnt(0)
	v_dual_add_f32 v3, v5, v3 :: v_dual_add_f32 v4, v6, v4
	ds_store_b64 v13, v[3:4]
.LBB169_21:
	s_or_b32 exec_lo, exec_lo, s0
	s_delay_alu instid0(SALU_CYCLE_1)
	s_mov_b32 s0, exec_lo
	s_waitcnt lgkmcnt(0)
	s_barrier
	buffer_gl0_inv
	v_cmpx_gt_u16_e32 8, v14
	s_cbranch_execz .LBB169_23
; %bb.22:
	ds_load_2addr_b64 v[3:6], v13 offset1:8
	s_waitcnt lgkmcnt(0)
	v_dual_add_f32 v3, v5, v3 :: v_dual_add_f32 v4, v6, v4
	ds_store_b64 v13, v[3:4]
.LBB169_23:
	s_or_b32 exec_lo, exec_lo, s0
	s_delay_alu instid0(SALU_CYCLE_1)
	s_mov_b32 s0, exec_lo
	s_waitcnt lgkmcnt(0)
	s_barrier
	buffer_gl0_inv
	;; [unrolled: 14-line block ×3, first 2 shown]
	v_cmpx_gt_u16_e32 2, v14
	s_cbranch_execz .LBB169_27
; %bb.26:
	ds_load_2addr_b64 v[3:6], v13 offset1:2
	s_waitcnt lgkmcnt(0)
	v_dual_add_f32 v3, v5, v3 :: v_dual_add_f32 v4, v6, v4
	ds_store_b64 v13, v[3:4]
.LBB169_27:
	s_or_b32 exec_lo, exec_lo, s0
	s_mov_b32 s1, 0
	s_mov_b32 s0, 0
	s_mov_b32 s2, exec_lo
	s_waitcnt lgkmcnt(0)
	s_barrier
	buffer_gl0_inv
                                        ; implicit-def: $vgpr4
                                        ; implicit-def: $vgpr3
	v_cmpx_gt_u32_e32 26, v0
	s_xor_b32 s2, exec_lo, s2
; %bb.28:
	v_mul_u32_u24_e32 v3, 26, v0
	s_mov_b32 s0, exec_lo
	s_delay_alu instid0(VALU_DEP_1)
	v_lshlrev_b32_e32 v4, 3, v3
	v_or_b32_e32 v3, 1, v3
; %bb.29:
	s_or_b32 exec_lo, exec_lo, s2
	s_delay_alu instid0(SALU_CYCLE_1)
	s_and_b32 vcc_lo, exec_lo, s1
	s_cbranch_vccnz .LBB169_31
	s_branch .LBB169_42
.LBB169_30:
	s_mov_b32 s0, 0
                                        ; implicit-def: $vgpr4
                                        ; implicit-def: $vgpr3
	s_cbranch_execz .LBB169_42
.LBB169_31:
	s_mov_b32 s1, exec_lo
	v_cmpx_gt_u32_e32 0x104, v0
	s_cbranch_execz .LBB169_33
; %bb.32:
	ds_load_b64 v[3:4], v13 offset:3328
	ds_load_b64 v[5:6], v13
	s_waitcnt lgkmcnt(0)
	v_dual_add_f32 v3, v3, v5 :: v_dual_add_f32 v4, v4, v6
	ds_store_b64 v13, v[3:4]
.LBB169_33:
	s_or_b32 exec_lo, exec_lo, s1
	s_delay_alu instid0(SALU_CYCLE_1)
	s_mov_b32 s1, exec_lo
	s_waitcnt lgkmcnt(0)
	s_barrier
	buffer_gl0_inv
	v_cmpx_gt_u32_e32 0xd0, v0
	s_cbranch_execz .LBB169_35
; %bb.34:
	ds_load_2addr_b64 v[3:6], v13 offset1:208
	s_waitcnt lgkmcnt(0)
	v_dual_add_f32 v3, v5, v3 :: v_dual_add_f32 v4, v6, v4
	ds_store_b64 v13, v[3:4]
.LBB169_35:
	s_or_b32 exec_lo, exec_lo, s1
	s_delay_alu instid0(SALU_CYCLE_1)
	s_mov_b32 s1, exec_lo
	s_waitcnt lgkmcnt(0)
	s_barrier
	buffer_gl0_inv
	v_cmpx_gt_u32_e32 0x68, v0
	s_cbranch_execz .LBB169_37
; %bb.36:
	ds_load_2addr_b64 v[3:6], v13 offset1:104
	s_waitcnt lgkmcnt(0)
	v_dual_add_f32 v3, v5, v3 :: v_dual_add_f32 v4, v6, v4
	ds_store_b64 v13, v[3:4]
.LBB169_37:
	;; [unrolled: 14-line block ×3, first 2 shown]
	s_or_b32 exec_lo, exec_lo, s1
	s_delay_alu instid0(SALU_CYCLE_1)
	s_mov_b32 s1, exec_lo
	s_waitcnt lgkmcnt(0)
	buffer_gl0_inv
                                        ; implicit-def: $vgpr3
	v_cmpx_gt_u32_e32 26, v0
; %bb.40:
	v_add_nc_u32_e32 v3, 26, v0
                                        ; kill: def $vgpr1 killed $sgpr0 killed $exec
	s_or_b32 s0, s0, exec_lo
                                        ; implicit-def: $vgpr2
; %bb.41:
	s_or_b32 exec_lo, exec_lo, s1
	v_mov_b32_e32 v4, v13
.LBB169_42:
	s_and_saveexec_b32 s1, s0
	s_cbranch_execnz .LBB169_45
; %bb.43:
	s_or_b32 exec_lo, exec_lo, s1
	v_cmp_gt_u32_e32 vcc_lo, 26, v0
	s_and_b32 exec_lo, exec_lo, vcc_lo
	s_cbranch_execnz .LBB169_46
.LBB169_44:
	s_nop 0
	s_sendmsg sendmsg(MSG_DEALLOC_VGPRS)
	s_endpgm
.LBB169_45:
	v_lshlrev_b32_e32 v3, 3, v3
	ds_load_2addr_b32 v[1:2], v4 offset1:1
	ds_load_b64 v[3:4], v3
	s_waitcnt lgkmcnt(0)
	v_dual_add_f32 v2, v4, v2 :: v_dual_add_f32 v1, v3, v1
	s_or_b32 exec_lo, exec_lo, s1
	v_cmp_gt_u32_e32 vcc_lo, 26, v0
	s_and_b32 exec_lo, exec_lo, vcc_lo
	s_cbranch_execz .LBB169_44
.LBB169_46:
	v_mul_f32_e64 v3, v2, -v12
	v_mul_f32_e32 v4, v2, v11
	v_cmp_eq_f32_e32 vcc_lo, 0, v9
	v_cmp_eq_f32_e64 s0, 0, v10
	s_mul_hi_u32 s1, s8, 0xd0
	v_fmac_f32_e32 v3, v11, v1
	v_fmac_f32_e32 v4, v12, v1
	s_mul_i32 s2, s8, 0xd0
	s_and_b32 s3, vcc_lo, s0
	s_mul_i32 s0, s9, 0xd0
	s_and_saveexec_b32 s4, s3
	s_delay_alu instid0(SALU_CYCLE_1)
	s_xor_b32 s3, exec_lo, s4
	s_cbranch_execz .LBB169_48
; %bb.47:
	v_lshlrev_b32_e32 v0, 3, v0
	s_add_i32 s5, s1, s0
	s_add_u32 s4, s10, s2
	s_addc_u32 s5, s11, s5
                                        ; implicit-def: $vgpr9
                                        ; implicit-def: $vgpr10
	global_store_b64 v0, v[3:4], s[4:5]
                                        ; implicit-def: $vgpr0
                                        ; implicit-def: $vgpr3
.LBB169_48:
	s_and_not1_saveexec_b32 s3, s3
	s_cbranch_execz .LBB169_44
; %bb.49:
	v_lshlrev_b32_e32 v2, 3, v0
	s_add_i32 s1, s1, s0
	s_add_u32 s0, s10, s2
	s_addc_u32 s1, s11, s1
	global_load_b64 v[0:1], v2, s[0:1]
	s_waitcnt vmcnt(0)
	v_fmac_f32_e32 v3, v9, v0
	v_fmac_f32_e32 v4, v10, v0
	s_delay_alu instid0(VALU_DEP_2) | instskip(NEXT) | instid1(VALU_DEP_2)
	v_fma_f32 v3, -v10, v1, v3
	v_fmac_f32_e32 v4, v9, v1
	global_store_b64 v2, v[3:4], s[0:1]
	s_nop 0
	s_sendmsg sendmsg(MSG_DEALLOC_VGPRS)
	s_endpgm
	.section	.rodata,"a",@progbits
	.p2align	6, 0x0
	.amdhsa_kernel _ZN9rocsparseL20bsrxmvn_17_32_kernelILj26E21rocsparse_complex_numIfEllS2_S2_S2_EEvT2_20rocsparse_direction_NS_24const_host_device_scalarIT0_EES3_PKS3_PKT1_SC_S9_PKT3_PKT4_S7_PT5_21rocsparse_index_base_b
		.amdhsa_group_segment_fixed_size 5408
		.amdhsa_private_segment_fixed_size 0
		.amdhsa_kernarg_size 104
		.amdhsa_user_sgpr_count 15
		.amdhsa_user_sgpr_dispatch_ptr 0
		.amdhsa_user_sgpr_queue_ptr 0
		.amdhsa_user_sgpr_kernarg_segment_ptr 1
		.amdhsa_user_sgpr_dispatch_id 0
		.amdhsa_user_sgpr_private_segment_size 0
		.amdhsa_wavefront_size32 1
		.amdhsa_uses_dynamic_stack 0
		.amdhsa_enable_private_segment 0
		.amdhsa_system_sgpr_workgroup_id_x 1
		.amdhsa_system_sgpr_workgroup_id_y 0
		.amdhsa_system_sgpr_workgroup_id_z 0
		.amdhsa_system_sgpr_workgroup_info 0
		.amdhsa_system_vgpr_workitem_id 0
		.amdhsa_next_free_vgpr 21
		.amdhsa_next_free_sgpr 20
		.amdhsa_reserve_vcc 1
		.amdhsa_float_round_mode_32 0
		.amdhsa_float_round_mode_16_64 0
		.amdhsa_float_denorm_mode_32 3
		.amdhsa_float_denorm_mode_16_64 3
		.amdhsa_dx10_clamp 1
		.amdhsa_ieee_mode 1
		.amdhsa_fp16_overflow 0
		.amdhsa_workgroup_processor_mode 1
		.amdhsa_memory_ordered 1
		.amdhsa_forward_progress 0
		.amdhsa_shared_vgpr_count 0
		.amdhsa_exception_fp_ieee_invalid_op 0
		.amdhsa_exception_fp_denorm_src 0
		.amdhsa_exception_fp_ieee_div_zero 0
		.amdhsa_exception_fp_ieee_overflow 0
		.amdhsa_exception_fp_ieee_underflow 0
		.amdhsa_exception_fp_ieee_inexact 0
		.amdhsa_exception_int_div_zero 0
	.end_amdhsa_kernel
	.section	.text._ZN9rocsparseL20bsrxmvn_17_32_kernelILj26E21rocsparse_complex_numIfEllS2_S2_S2_EEvT2_20rocsparse_direction_NS_24const_host_device_scalarIT0_EES3_PKS3_PKT1_SC_S9_PKT3_PKT4_S7_PT5_21rocsparse_index_base_b,"axG",@progbits,_ZN9rocsparseL20bsrxmvn_17_32_kernelILj26E21rocsparse_complex_numIfEllS2_S2_S2_EEvT2_20rocsparse_direction_NS_24const_host_device_scalarIT0_EES3_PKS3_PKT1_SC_S9_PKT3_PKT4_S7_PT5_21rocsparse_index_base_b,comdat
.Lfunc_end169:
	.size	_ZN9rocsparseL20bsrxmvn_17_32_kernelILj26E21rocsparse_complex_numIfEllS2_S2_S2_EEvT2_20rocsparse_direction_NS_24const_host_device_scalarIT0_EES3_PKS3_PKT1_SC_S9_PKT3_PKT4_S7_PT5_21rocsparse_index_base_b, .Lfunc_end169-_ZN9rocsparseL20bsrxmvn_17_32_kernelILj26E21rocsparse_complex_numIfEllS2_S2_S2_EEvT2_20rocsparse_direction_NS_24const_host_device_scalarIT0_EES3_PKS3_PKT1_SC_S9_PKT3_PKT4_S7_PT5_21rocsparse_index_base_b
                                        ; -- End function
	.section	.AMDGPU.csdata,"",@progbits
; Kernel info:
; codeLenInByte = 1904
; NumSgprs: 22
; NumVgprs: 21
; ScratchSize: 0
; MemoryBound: 0
; FloatMode: 240
; IeeeMode: 1
; LDSByteSize: 5408 bytes/workgroup (compile time only)
; SGPRBlocks: 2
; VGPRBlocks: 2
; NumSGPRsForWavesPerEU: 22
; NumVGPRsForWavesPerEU: 21
; Occupancy: 11
; WaveLimiterHint : 1
; COMPUTE_PGM_RSRC2:SCRATCH_EN: 0
; COMPUTE_PGM_RSRC2:USER_SGPR: 15
; COMPUTE_PGM_RSRC2:TRAP_HANDLER: 0
; COMPUTE_PGM_RSRC2:TGID_X_EN: 1
; COMPUTE_PGM_RSRC2:TGID_Y_EN: 0
; COMPUTE_PGM_RSRC2:TGID_Z_EN: 0
; COMPUTE_PGM_RSRC2:TIDIG_COMP_CNT: 0
	.section	.text._ZN9rocsparseL20bsrxmvn_17_32_kernelILj27E21rocsparse_complex_numIfEllS2_S2_S2_EEvT2_20rocsparse_direction_NS_24const_host_device_scalarIT0_EES3_PKS3_PKT1_SC_S9_PKT3_PKT4_S7_PT5_21rocsparse_index_base_b,"axG",@progbits,_ZN9rocsparseL20bsrxmvn_17_32_kernelILj27E21rocsparse_complex_numIfEllS2_S2_S2_EEvT2_20rocsparse_direction_NS_24const_host_device_scalarIT0_EES3_PKS3_PKT1_SC_S9_PKT3_PKT4_S7_PT5_21rocsparse_index_base_b,comdat
	.globl	_ZN9rocsparseL20bsrxmvn_17_32_kernelILj27E21rocsparse_complex_numIfEllS2_S2_S2_EEvT2_20rocsparse_direction_NS_24const_host_device_scalarIT0_EES3_PKS3_PKT1_SC_S9_PKT3_PKT4_S7_PT5_21rocsparse_index_base_b ; -- Begin function _ZN9rocsparseL20bsrxmvn_17_32_kernelILj27E21rocsparse_complex_numIfEllS2_S2_S2_EEvT2_20rocsparse_direction_NS_24const_host_device_scalarIT0_EES3_PKS3_PKT1_SC_S9_PKT3_PKT4_S7_PT5_21rocsparse_index_base_b
	.p2align	8
	.type	_ZN9rocsparseL20bsrxmvn_17_32_kernelILj27E21rocsparse_complex_numIfEllS2_S2_S2_EEvT2_20rocsparse_direction_NS_24const_host_device_scalarIT0_EES3_PKS3_PKT1_SC_S9_PKT3_PKT4_S7_PT5_21rocsparse_index_base_b,@function
_ZN9rocsparseL20bsrxmvn_17_32_kernelILj27E21rocsparse_complex_numIfEllS2_S2_S2_EEvT2_20rocsparse_direction_NS_24const_host_device_scalarIT0_EES3_PKS3_PKT1_SC_S9_PKT3_PKT4_S7_PT5_21rocsparse_index_base_b: ; @_ZN9rocsparseL20bsrxmvn_17_32_kernelILj27E21rocsparse_complex_numIfEllS2_S2_S2_EEvT2_20rocsparse_direction_NS_24const_host_device_scalarIT0_EES3_PKS3_PKT1_SC_S9_PKT3_PKT4_S7_PT5_21rocsparse_index_base_b
; %bb.0:
	s_clause 0x2
	s_load_b64 s[12:13], s[0:1], 0x60
	s_load_b64 s[4:5], s[0:1], 0x10
	;; [unrolled: 1-line block ×3, first 2 shown]
	s_mov_b32 s8, s15
	s_waitcnt lgkmcnt(0)
	s_bitcmp1_b32 s13, 0
	v_mov_b32_e32 v11, s4
	s_cselect_b32 s6, -1, 0
	s_delay_alu instid0(SALU_CYCLE_1)
	s_and_b32 vcc_lo, exec_lo, s6
	s_xor_b32 s6, s6, -1
	s_cbranch_vccz .LBB170_15
; %bb.1:
	v_cndmask_b32_e64 v1, 0, 1, s6
	v_mov_b32_e32 v12, s5
	s_and_not1_b32 vcc_lo, exec_lo, s6
	s_cbranch_vccz .LBB170_16
.LBB170_2:
	s_delay_alu instid0(VALU_DEP_2)
	v_cmp_ne_u32_e32 vcc_lo, 1, v1
	v_mov_b32_e32 v9, s2
	s_cbranch_vccz .LBB170_17
.LBB170_3:
	v_cmp_ne_u32_e32 vcc_lo, 1, v1
	v_mov_b32_e32 v10, s3
	s_cbranch_vccnz .LBB170_5
.LBB170_4:
	v_dual_mov_b32 v1, s2 :: v_dual_mov_b32 v2, s3
	flat_load_b32 v10, v[1:2] offset:4
.LBB170_5:
	s_waitcnt vmcnt(0) lgkmcnt(0)
	v_cmp_eq_f32_e32 vcc_lo, 0, v11
	v_cmp_eq_f32_e64 s2, 0, v12
	s_delay_alu instid0(VALU_DEP_1)
	s_and_b32 s4, vcc_lo, s2
	s_mov_b32 s2, -1
	s_and_saveexec_b32 s3, s4
; %bb.6:
	v_cmp_neq_f32_e32 vcc_lo, 1.0, v9
	v_cmp_neq_f32_e64 s2, 0, v10
	s_delay_alu instid0(VALU_DEP_1) | instskip(NEXT) | instid1(SALU_CYCLE_1)
	s_or_b32 s2, vcc_lo, s2
	s_or_not1_b32 s2, s2, exec_lo
; %bb.7:
	s_or_b32 exec_lo, exec_lo, s3
	s_and_saveexec_b32 s3, s2
	s_cbranch_execz .LBB170_44
; %bb.8:
	s_clause 0x1
	s_load_b128 s[4:7], s[0:1], 0x20
	s_load_b64 s[10:11], s[0:1], 0x30
	s_mov_b32 s9, 0
	s_waitcnt lgkmcnt(0)
	s_cmp_eq_u64 s[4:5], 0
	s_cbranch_scc1 .LBB170_10
; %bb.9:
	s_lshl_b64 s[2:3], s[8:9], 3
	s_delay_alu instid0(SALU_CYCLE_1)
	s_add_u32 s2, s4, s2
	s_addc_u32 s3, s5, s3
	s_load_b64 s[2:3], s[2:3], 0x0
	s_waitcnt lgkmcnt(0)
	s_sub_u32 s8, s2, s12
	s_subb_u32 s9, s3, 0
.LBB170_10:
	s_load_b32 s3, s[0:1], 0x8
	v_mul_u32_u24_e32 v1, 0x97c, v0
	v_dual_mov_b32 v2, 0 :: v_dual_lshlrev_b32 v13, 3, v0
	s_delay_alu instid0(VALU_DEP_2) | instskip(NEXT) | instid1(VALU_DEP_1)
	v_lshrrev_b32_e32 v3, 16, v1
	v_mul_lo_u16 v1, v3, 27
	s_delay_alu instid0(VALU_DEP_1)
	v_sub_nc_u16 v14, v0, v1
	v_mov_b32_e32 v1, 0
	s_waitcnt lgkmcnt(0)
	s_cmp_eq_u32 s3, 1
	s_cselect_b32 s2, -1, 0
	s_cmp_lg_u32 s3, 1
	s_cselect_b32 s13, -1, 0
	s_lshl_b64 s[4:5], s[8:9], 3
	s_delay_alu instid0(SALU_CYCLE_1)
	s_add_u32 s6, s6, s4
	s_addc_u32 s7, s7, s5
	s_add_u32 s3, s6, 8
	s_addc_u32 s14, s7, 0
	;; [unrolled: 2-line block ×3, first 2 shown]
	s_cmp_eq_u64 s[10:11], 0
	s_load_b64 s[10:11], s[0:1], 0x58
	s_cselect_b32 s5, s14, s5
	s_cselect_b32 s4, s3, s4
	s_load_b64 s[14:15], s[6:7], 0x0
	s_load_b64 s[16:17], s[4:5], 0x0
	s_waitcnt lgkmcnt(0)
	v_cmp_ge_i64_e64 s3, s[14:15], s[16:17]
	s_delay_alu instid0(VALU_DEP_1)
	s_and_b32 vcc_lo, exec_lo, s3
	s_cbranch_vccnz .LBB170_18
; %bb.11:
	v_dual_mov_b32 v2, 0 :: v_dual_and_b32 v1, 0xffff, v3
	v_cmp_gt_u32_e32 vcc_lo, 0x2d9, v0
	s_clause 0x1
	s_load_b128 s[4:7], s[0:1], 0x38
	s_load_b64 s[18:19], s[0:1], 0x48
	s_sub_u32 s0, s16, s12
	v_subrev_nc_u32_e32 v3, 27, v1
	v_and_b32_e32 v4, 0xffff, v14
	s_subb_u32 s1, s17, 0
	s_delay_alu instid0(VALU_DEP_2) | instskip(SKIP_1) | instid1(VALU_DEP_2)
	v_cndmask_b32_e32 v1, v3, v1, vcc_lo
	v_cmp_lt_u32_e32 vcc_lo, 0x2d8, v0
	v_cndmask_b32_e64 v1, v4, v1, s2
	v_cndmask_b32_e64 v15, 0, 1, vcc_lo
	s_sub_u32 s2, s14, s12
	s_subb_u32 s3, s15, 0
	s_mul_hi_u32 s16, s2, 0x16c8
	v_lshlrev_b64 v[3:4], 3, v[1:2]
	v_add_co_u32 v1, s14, s14, v15
	s_delay_alu instid0(VALU_DEP_1) | instskip(SKIP_2) | instid1(VALU_DEP_3)
	v_add_co_ci_u32_e64 v6, null, s15, 0, s14
	s_mul_i32 s17, s3, 0x16c8
	s_waitcnt lgkmcnt(0)
	v_add_co_u32 v3, vcc_lo, s18, v3
	v_add_co_ci_u32_e32 v4, vcc_lo, s19, v4, vcc_lo
	v_sub_co_u32 v5, vcc_lo, v1, s12
	v_subrev_co_ci_u32_e32 v6, vcc_lo, 0, v6, vcc_lo
	v_lshlrev_b32_e32 v1, 3, v0
	s_mul_i32 s14, s2, 0x16c8
	s_add_i32 s16, s16, s17
	s_delay_alu instid0(VALU_DEP_2) | instskip(SKIP_3) | instid1(VALU_DEP_1)
	v_lshlrev_b64 v[7:8], 3, v[5:6]
	s_add_u32 s6, s6, s14
	s_addc_u32 s7, s7, s16
	v_add_co_u32 v5, s6, s6, v1
	v_add_co_ci_u32_e64 v6, null, s7, 0, s6
	s_delay_alu instid0(VALU_DEP_3)
	v_add_co_u32 v7, vcc_lo, s4, v7
	v_add_co_ci_u32_e32 v8, vcc_lo, s5, v8, vcc_lo
	v_mov_b32_e32 v1, v2
	s_set_inst_prefetch_distance 0x1
	s_branch .LBB170_13
	.p2align	6
.LBB170_12:                             ;   in Loop: Header=BB170_13 Depth=1
	s_or_b32 exec_lo, exec_lo, s4
	s_add_u32 s2, s2, 1
	s_addc_u32 s3, s3, 0
	v_add_co_u32 v7, vcc_lo, v7, 8
	v_cmp_lt_i64_e64 s4, s[2:3], s[0:1]
	v_add_co_ci_u32_e32 v8, vcc_lo, 0, v8, vcc_lo
	s_delay_alu instid0(VALU_DEP_2)
	s_and_b32 vcc_lo, exec_lo, s4
	s_cbranch_vccz .LBB170_18
.LBB170_13:                             ; =>This Inner Loop Header: Depth=1
	v_add_co_u32 v16, s4, v15, s2
	s_delay_alu instid0(VALU_DEP_1) | instskip(SKIP_1) | instid1(VALU_DEP_1)
	v_add_co_ci_u32_e64 v17, null, 0, s3, s4
	s_mov_b32 s4, exec_lo
	v_cmpx_gt_i64_e64 s[0:1], v[16:17]
	s_cbranch_execz .LBB170_12
; %bb.14:                               ;   in Loop: Header=BB170_13 Depth=1
	global_load_b64 v[16:17], v[7:8], off
	s_waitcnt vmcnt(0)
	v_sub_co_u32 v18, vcc_lo, v16, s12
	v_subrev_co_ci_u32_e32 v20, vcc_lo, 0, v17, vcc_lo
	s_delay_alu instid0(VALU_DEP_2) | instskip(NEXT) | instid1(VALU_DEP_1)
	v_mad_u64_u32 v[16:17], null, 0xd8, v18, v[3:4]
	v_mad_u64_u32 v[18:19], null, 0xd8, v20, v[17:18]
	s_delay_alu instid0(VALU_DEP_1)
	v_mov_b32_e32 v17, v18
	global_load_b64 v[18:19], v[5:6], off
	global_load_b64 v[16:17], v[16:17], off
	v_add_co_u32 v5, vcc_lo, 0x16c8, v5
	v_add_co_ci_u32_e32 v6, vcc_lo, 0, v6, vcc_lo
	s_waitcnt vmcnt(0)
	v_fmac_f32_e32 v2, v19, v16
	v_fmac_f32_e32 v1, v18, v16
	s_delay_alu instid0(VALU_DEP_2) | instskip(NEXT) | instid1(VALU_DEP_2)
	v_fmac_f32_e32 v2, v18, v17
	v_fma_f32 v1, -v19, v17, v1
	s_branch .LBB170_12
.LBB170_15:
	v_dual_mov_b32 v1, s4 :: v_dual_mov_b32 v2, s5
	flat_load_b32 v11, v[1:2]
	v_cndmask_b32_e64 v1, 0, 1, s6
	v_mov_b32_e32 v12, s5
	s_and_not1_b32 vcc_lo, exec_lo, s6
	s_cbranch_vccnz .LBB170_2
.LBB170_16:
	v_dual_mov_b32 v2, s4 :: v_dual_mov_b32 v3, s5
	flat_load_b32 v12, v[2:3] offset:4
	v_cmp_ne_u32_e32 vcc_lo, 1, v1
	v_mov_b32_e32 v9, s2
	s_cbranch_vccnz .LBB170_3
.LBB170_17:
	v_dual_mov_b32 v2, s2 :: v_dual_mov_b32 v3, s3
	flat_load_b32 v9, v[2:3]
	v_cmp_ne_u32_e32 vcc_lo, 1, v1
	v_mov_b32_e32 v10, s3
	s_cbranch_vccz .LBB170_4
	s_branch .LBB170_5
.LBB170_18:
	s_set_inst_prefetch_distance 0x2
	s_and_b32 vcc_lo, exec_lo, s13
	ds_store_b64 v13, v[1:2]
	s_waitcnt lgkmcnt(0)
	s_barrier
	buffer_gl0_inv
	s_cbranch_vccz .LBB170_30
; %bb.19:
	s_mov_b32 s0, exec_lo
	v_cmpx_gt_u16_e32 11, v14
	s_cbranch_execz .LBB170_21
; %bb.20:
	ds_load_2addr_b64 v[3:6], v13 offset1:16
	s_waitcnt lgkmcnt(0)
	v_dual_add_f32 v3, v5, v3 :: v_dual_add_f32 v4, v6, v4
	ds_store_b64 v13, v[3:4]
.LBB170_21:
	s_or_b32 exec_lo, exec_lo, s0
	s_delay_alu instid0(SALU_CYCLE_1)
	s_mov_b32 s0, exec_lo
	s_waitcnt lgkmcnt(0)
	s_barrier
	buffer_gl0_inv
	v_cmpx_gt_u16_e32 8, v14
	s_cbranch_execz .LBB170_23
; %bb.22:
	ds_load_2addr_b64 v[3:6], v13 offset1:8
	s_waitcnt lgkmcnt(0)
	v_dual_add_f32 v3, v5, v3 :: v_dual_add_f32 v4, v6, v4
	ds_store_b64 v13, v[3:4]
.LBB170_23:
	s_or_b32 exec_lo, exec_lo, s0
	s_delay_alu instid0(SALU_CYCLE_1)
	s_mov_b32 s0, exec_lo
	s_waitcnt lgkmcnt(0)
	s_barrier
	buffer_gl0_inv
	;; [unrolled: 14-line block ×3, first 2 shown]
	v_cmpx_gt_u16_e32 2, v14
	s_cbranch_execz .LBB170_27
; %bb.26:
	ds_load_2addr_b64 v[3:6], v13 offset1:2
	s_waitcnt lgkmcnt(0)
	v_dual_add_f32 v3, v5, v3 :: v_dual_add_f32 v4, v6, v4
	ds_store_b64 v13, v[3:4]
.LBB170_27:
	s_or_b32 exec_lo, exec_lo, s0
	s_mov_b32 s1, 0
	s_mov_b32 s0, 0
	s_mov_b32 s2, exec_lo
	s_waitcnt lgkmcnt(0)
	s_barrier
	buffer_gl0_inv
                                        ; implicit-def: $vgpr4
                                        ; implicit-def: $vgpr3
	v_cmpx_gt_u32_e32 27, v0
	s_xor_b32 s2, exec_lo, s2
; %bb.28:
	v_mul_u32_u24_e32 v4, 27, v0
	v_mad_u32_u24 v3, v0, 27, 1
	s_mov_b32 s0, exec_lo
	s_delay_alu instid0(VALU_DEP_2)
	v_lshlrev_b32_e32 v4, 3, v4
; %bb.29:
	s_or_b32 exec_lo, exec_lo, s2
	s_delay_alu instid0(SALU_CYCLE_1)
	s_and_b32 vcc_lo, exec_lo, s1
	s_cbranch_vccnz .LBB170_31
	s_branch .LBB170_42
.LBB170_30:
	s_mov_b32 s0, 0
                                        ; implicit-def: $vgpr4
                                        ; implicit-def: $vgpr3
	s_cbranch_execz .LBB170_42
.LBB170_31:
	s_mov_b32 s1, exec_lo
	v_cmpx_gt_u32_e32 0x129, v0
	s_cbranch_execz .LBB170_33
; %bb.32:
	ds_load_b64 v[3:4], v13 offset:3456
	ds_load_b64 v[5:6], v13
	s_waitcnt lgkmcnt(0)
	v_dual_add_f32 v3, v3, v5 :: v_dual_add_f32 v4, v4, v6
	ds_store_b64 v13, v[3:4]
.LBB170_33:
	s_or_b32 exec_lo, exec_lo, s1
	s_delay_alu instid0(SALU_CYCLE_1)
	s_mov_b32 s1, exec_lo
	s_waitcnt lgkmcnt(0)
	s_barrier
	buffer_gl0_inv
	v_cmpx_gt_u32_e32 0xd8, v0
	s_cbranch_execz .LBB170_35
; %bb.34:
	ds_load_2addr_b64 v[3:6], v13 offset1:216
	s_waitcnt lgkmcnt(0)
	v_dual_add_f32 v3, v5, v3 :: v_dual_add_f32 v4, v6, v4
	ds_store_b64 v13, v[3:4]
.LBB170_35:
	s_or_b32 exec_lo, exec_lo, s1
	s_delay_alu instid0(SALU_CYCLE_1)
	s_mov_b32 s1, exec_lo
	s_waitcnt lgkmcnt(0)
	s_barrier
	buffer_gl0_inv
	v_cmpx_gt_u32_e32 0x6c, v0
	s_cbranch_execz .LBB170_37
; %bb.36:
	ds_load_2addr_b64 v[3:6], v13 offset1:108
	s_waitcnt lgkmcnt(0)
	v_dual_add_f32 v3, v5, v3 :: v_dual_add_f32 v4, v6, v4
	ds_store_b64 v13, v[3:4]
.LBB170_37:
	;; [unrolled: 14-line block ×3, first 2 shown]
	s_or_b32 exec_lo, exec_lo, s1
	s_delay_alu instid0(SALU_CYCLE_1)
	s_mov_b32 s1, exec_lo
	s_waitcnt lgkmcnt(0)
	buffer_gl0_inv
                                        ; implicit-def: $vgpr3
	v_cmpx_gt_u32_e32 27, v0
; %bb.40:
	v_add_nc_u32_e32 v3, 27, v0
                                        ; kill: def $vgpr1 killed $sgpr0 killed $exec
	s_or_b32 s0, s0, exec_lo
                                        ; implicit-def: $vgpr2
; %bb.41:
	s_or_b32 exec_lo, exec_lo, s1
	v_mov_b32_e32 v4, v13
.LBB170_42:
	s_and_saveexec_b32 s1, s0
	s_cbranch_execnz .LBB170_45
; %bb.43:
	s_or_b32 exec_lo, exec_lo, s1
	v_cmp_gt_u32_e32 vcc_lo, 27, v0
	s_and_b32 exec_lo, exec_lo, vcc_lo
	s_cbranch_execnz .LBB170_46
.LBB170_44:
	s_nop 0
	s_sendmsg sendmsg(MSG_DEALLOC_VGPRS)
	s_endpgm
.LBB170_45:
	v_lshlrev_b32_e32 v3, 3, v3
	ds_load_2addr_b32 v[1:2], v4 offset1:1
	ds_load_b64 v[3:4], v3
	s_waitcnt lgkmcnt(0)
	v_dual_add_f32 v2, v4, v2 :: v_dual_add_f32 v1, v3, v1
	s_or_b32 exec_lo, exec_lo, s1
	v_cmp_gt_u32_e32 vcc_lo, 27, v0
	s_and_b32 exec_lo, exec_lo, vcc_lo
	s_cbranch_execz .LBB170_44
.LBB170_46:
	v_mul_f32_e64 v3, v2, -v12
	v_mul_f32_e32 v4, v2, v11
	v_cmp_eq_f32_e32 vcc_lo, 0, v9
	v_cmp_eq_f32_e64 s0, 0, v10
	s_mul_hi_u32 s1, s8, 0xd8
	v_fmac_f32_e32 v3, v11, v1
	v_fmac_f32_e32 v4, v12, v1
	s_mul_i32 s2, s8, 0xd8
	s_and_b32 s3, vcc_lo, s0
	s_mul_i32 s0, s9, 0xd8
	s_and_saveexec_b32 s4, s3
	s_delay_alu instid0(SALU_CYCLE_1)
	s_xor_b32 s3, exec_lo, s4
	s_cbranch_execz .LBB170_48
; %bb.47:
	v_lshlrev_b32_e32 v0, 3, v0
	s_add_i32 s5, s1, s0
	s_add_u32 s4, s10, s2
	s_addc_u32 s5, s11, s5
                                        ; implicit-def: $vgpr9
                                        ; implicit-def: $vgpr10
	global_store_b64 v0, v[3:4], s[4:5]
                                        ; implicit-def: $vgpr0
                                        ; implicit-def: $vgpr3
.LBB170_48:
	s_and_not1_saveexec_b32 s3, s3
	s_cbranch_execz .LBB170_44
; %bb.49:
	v_lshlrev_b32_e32 v2, 3, v0
	s_add_i32 s1, s1, s0
	s_add_u32 s0, s10, s2
	s_addc_u32 s1, s11, s1
	global_load_b64 v[0:1], v2, s[0:1]
	s_waitcnt vmcnt(0)
	v_fmac_f32_e32 v3, v9, v0
	v_fmac_f32_e32 v4, v10, v0
	s_delay_alu instid0(VALU_DEP_2) | instskip(NEXT) | instid1(VALU_DEP_2)
	v_fma_f32 v3, -v10, v1, v3
	v_fmac_f32_e32 v4, v9, v1
	global_store_b64 v2, v[3:4], s[0:1]
	s_nop 0
	s_sendmsg sendmsg(MSG_DEALLOC_VGPRS)
	s_endpgm
	.section	.rodata,"a",@progbits
	.p2align	6, 0x0
	.amdhsa_kernel _ZN9rocsparseL20bsrxmvn_17_32_kernelILj27E21rocsparse_complex_numIfEllS2_S2_S2_EEvT2_20rocsparse_direction_NS_24const_host_device_scalarIT0_EES3_PKS3_PKT1_SC_S9_PKT3_PKT4_S7_PT5_21rocsparse_index_base_b
		.amdhsa_group_segment_fixed_size 5832
		.amdhsa_private_segment_fixed_size 0
		.amdhsa_kernarg_size 104
		.amdhsa_user_sgpr_count 15
		.amdhsa_user_sgpr_dispatch_ptr 0
		.amdhsa_user_sgpr_queue_ptr 0
		.amdhsa_user_sgpr_kernarg_segment_ptr 1
		.amdhsa_user_sgpr_dispatch_id 0
		.amdhsa_user_sgpr_private_segment_size 0
		.amdhsa_wavefront_size32 1
		.amdhsa_uses_dynamic_stack 0
		.amdhsa_enable_private_segment 0
		.amdhsa_system_sgpr_workgroup_id_x 1
		.amdhsa_system_sgpr_workgroup_id_y 0
		.amdhsa_system_sgpr_workgroup_id_z 0
		.amdhsa_system_sgpr_workgroup_info 0
		.amdhsa_system_vgpr_workitem_id 0
		.amdhsa_next_free_vgpr 21
		.amdhsa_next_free_sgpr 20
		.amdhsa_reserve_vcc 1
		.amdhsa_float_round_mode_32 0
		.amdhsa_float_round_mode_16_64 0
		.amdhsa_float_denorm_mode_32 3
		.amdhsa_float_denorm_mode_16_64 3
		.amdhsa_dx10_clamp 1
		.amdhsa_ieee_mode 1
		.amdhsa_fp16_overflow 0
		.amdhsa_workgroup_processor_mode 1
		.amdhsa_memory_ordered 1
		.amdhsa_forward_progress 0
		.amdhsa_shared_vgpr_count 0
		.amdhsa_exception_fp_ieee_invalid_op 0
		.amdhsa_exception_fp_denorm_src 0
		.amdhsa_exception_fp_ieee_div_zero 0
		.amdhsa_exception_fp_ieee_overflow 0
		.amdhsa_exception_fp_ieee_underflow 0
		.amdhsa_exception_fp_ieee_inexact 0
		.amdhsa_exception_int_div_zero 0
	.end_amdhsa_kernel
	.section	.text._ZN9rocsparseL20bsrxmvn_17_32_kernelILj27E21rocsparse_complex_numIfEllS2_S2_S2_EEvT2_20rocsparse_direction_NS_24const_host_device_scalarIT0_EES3_PKS3_PKT1_SC_S9_PKT3_PKT4_S7_PT5_21rocsparse_index_base_b,"axG",@progbits,_ZN9rocsparseL20bsrxmvn_17_32_kernelILj27E21rocsparse_complex_numIfEllS2_S2_S2_EEvT2_20rocsparse_direction_NS_24const_host_device_scalarIT0_EES3_PKS3_PKT1_SC_S9_PKT3_PKT4_S7_PT5_21rocsparse_index_base_b,comdat
.Lfunc_end170:
	.size	_ZN9rocsparseL20bsrxmvn_17_32_kernelILj27E21rocsparse_complex_numIfEllS2_S2_S2_EEvT2_20rocsparse_direction_NS_24const_host_device_scalarIT0_EES3_PKS3_PKT1_SC_S9_PKT3_PKT4_S7_PT5_21rocsparse_index_base_b, .Lfunc_end170-_ZN9rocsparseL20bsrxmvn_17_32_kernelILj27E21rocsparse_complex_numIfEllS2_S2_S2_EEvT2_20rocsparse_direction_NS_24const_host_device_scalarIT0_EES3_PKS3_PKT1_SC_S9_PKT3_PKT4_S7_PT5_21rocsparse_index_base_b
                                        ; -- End function
	.section	.AMDGPU.csdata,"",@progbits
; Kernel info:
; codeLenInByte = 1908
; NumSgprs: 22
; NumVgprs: 21
; ScratchSize: 0
; MemoryBound: 0
; FloatMode: 240
; IeeeMode: 1
; LDSByteSize: 5832 bytes/workgroup (compile time only)
; SGPRBlocks: 2
; VGPRBlocks: 2
; NumSGPRsForWavesPerEU: 22
; NumVGPRsForWavesPerEU: 21
; Occupancy: 12
; WaveLimiterHint : 1
; COMPUTE_PGM_RSRC2:SCRATCH_EN: 0
; COMPUTE_PGM_RSRC2:USER_SGPR: 15
; COMPUTE_PGM_RSRC2:TRAP_HANDLER: 0
; COMPUTE_PGM_RSRC2:TGID_X_EN: 1
; COMPUTE_PGM_RSRC2:TGID_Y_EN: 0
; COMPUTE_PGM_RSRC2:TGID_Z_EN: 0
; COMPUTE_PGM_RSRC2:TIDIG_COMP_CNT: 0
	.section	.text._ZN9rocsparseL20bsrxmvn_17_32_kernelILj28E21rocsparse_complex_numIfEllS2_S2_S2_EEvT2_20rocsparse_direction_NS_24const_host_device_scalarIT0_EES3_PKS3_PKT1_SC_S9_PKT3_PKT4_S7_PT5_21rocsparse_index_base_b,"axG",@progbits,_ZN9rocsparseL20bsrxmvn_17_32_kernelILj28E21rocsparse_complex_numIfEllS2_S2_S2_EEvT2_20rocsparse_direction_NS_24const_host_device_scalarIT0_EES3_PKS3_PKT1_SC_S9_PKT3_PKT4_S7_PT5_21rocsparse_index_base_b,comdat
	.globl	_ZN9rocsparseL20bsrxmvn_17_32_kernelILj28E21rocsparse_complex_numIfEllS2_S2_S2_EEvT2_20rocsparse_direction_NS_24const_host_device_scalarIT0_EES3_PKS3_PKT1_SC_S9_PKT3_PKT4_S7_PT5_21rocsparse_index_base_b ; -- Begin function _ZN9rocsparseL20bsrxmvn_17_32_kernelILj28E21rocsparse_complex_numIfEllS2_S2_S2_EEvT2_20rocsparse_direction_NS_24const_host_device_scalarIT0_EES3_PKS3_PKT1_SC_S9_PKT3_PKT4_S7_PT5_21rocsparse_index_base_b
	.p2align	8
	.type	_ZN9rocsparseL20bsrxmvn_17_32_kernelILj28E21rocsparse_complex_numIfEllS2_S2_S2_EEvT2_20rocsparse_direction_NS_24const_host_device_scalarIT0_EES3_PKS3_PKT1_SC_S9_PKT3_PKT4_S7_PT5_21rocsparse_index_base_b,@function
_ZN9rocsparseL20bsrxmvn_17_32_kernelILj28E21rocsparse_complex_numIfEllS2_S2_S2_EEvT2_20rocsparse_direction_NS_24const_host_device_scalarIT0_EES3_PKS3_PKT1_SC_S9_PKT3_PKT4_S7_PT5_21rocsparse_index_base_b: ; @_ZN9rocsparseL20bsrxmvn_17_32_kernelILj28E21rocsparse_complex_numIfEllS2_S2_S2_EEvT2_20rocsparse_direction_NS_24const_host_device_scalarIT0_EES3_PKS3_PKT1_SC_S9_PKT3_PKT4_S7_PT5_21rocsparse_index_base_b
; %bb.0:
	s_clause 0x2
	s_load_b64 s[12:13], s[0:1], 0x60
	s_load_b64 s[4:5], s[0:1], 0x10
	;; [unrolled: 1-line block ×3, first 2 shown]
	s_mov_b32 s8, s15
	s_waitcnt lgkmcnt(0)
	s_bitcmp1_b32 s13, 0
	v_mov_b32_e32 v11, s4
	s_cselect_b32 s6, -1, 0
	s_delay_alu instid0(SALU_CYCLE_1)
	s_and_b32 vcc_lo, exec_lo, s6
	s_xor_b32 s6, s6, -1
	s_cbranch_vccz .LBB171_15
; %bb.1:
	v_cndmask_b32_e64 v1, 0, 1, s6
	v_mov_b32_e32 v12, s5
	s_and_not1_b32 vcc_lo, exec_lo, s6
	s_cbranch_vccz .LBB171_16
.LBB171_2:
	s_delay_alu instid0(VALU_DEP_2)
	v_cmp_ne_u32_e32 vcc_lo, 1, v1
	v_mov_b32_e32 v9, s2
	s_cbranch_vccz .LBB171_17
.LBB171_3:
	v_cmp_ne_u32_e32 vcc_lo, 1, v1
	v_mov_b32_e32 v10, s3
	s_cbranch_vccnz .LBB171_5
.LBB171_4:
	v_dual_mov_b32 v1, s2 :: v_dual_mov_b32 v2, s3
	flat_load_b32 v10, v[1:2] offset:4
.LBB171_5:
	s_waitcnt vmcnt(0) lgkmcnt(0)
	v_cmp_eq_f32_e32 vcc_lo, 0, v11
	v_cmp_eq_f32_e64 s2, 0, v12
	s_delay_alu instid0(VALU_DEP_1)
	s_and_b32 s4, vcc_lo, s2
	s_mov_b32 s2, -1
	s_and_saveexec_b32 s3, s4
; %bb.6:
	v_cmp_neq_f32_e32 vcc_lo, 1.0, v9
	v_cmp_neq_f32_e64 s2, 0, v10
	s_delay_alu instid0(VALU_DEP_1) | instskip(NEXT) | instid1(SALU_CYCLE_1)
	s_or_b32 s2, vcc_lo, s2
	s_or_not1_b32 s2, s2, exec_lo
; %bb.7:
	s_or_b32 exec_lo, exec_lo, s3
	s_and_saveexec_b32 s3, s2
	s_cbranch_execz .LBB171_44
; %bb.8:
	s_clause 0x1
	s_load_b128 s[4:7], s[0:1], 0x20
	s_load_b64 s[10:11], s[0:1], 0x30
	s_mov_b32 s9, 0
	s_waitcnt lgkmcnt(0)
	s_cmp_eq_u64 s[4:5], 0
	s_cbranch_scc1 .LBB171_10
; %bb.9:
	s_lshl_b64 s[2:3], s[8:9], 3
	s_delay_alu instid0(SALU_CYCLE_1)
	s_add_u32 s2, s4, s2
	s_addc_u32 s3, s5, s3
	s_load_b64 s[2:3], s[2:3], 0x0
	s_waitcnt lgkmcnt(0)
	s_sub_u32 s8, s2, s12
	s_subb_u32 s9, s3, 0
.LBB171_10:
	s_load_b32 s3, s[0:1], 0x8
	v_mul_u32_u24_e32 v1, 0x925, v0
	v_dual_mov_b32 v2, 0 :: v_dual_lshlrev_b32 v13, 3, v0
	s_delay_alu instid0(VALU_DEP_2) | instskip(NEXT) | instid1(VALU_DEP_1)
	v_lshrrev_b32_e32 v3, 16, v1
	v_mul_lo_u16 v1, v3, 28
	s_delay_alu instid0(VALU_DEP_1)
	v_sub_nc_u16 v14, v0, v1
	v_mov_b32_e32 v1, 0
	s_waitcnt lgkmcnt(0)
	s_cmp_eq_u32 s3, 1
	s_cselect_b32 s2, -1, 0
	s_cmp_lg_u32 s3, 1
	s_cselect_b32 s13, -1, 0
	s_lshl_b64 s[4:5], s[8:9], 3
	s_delay_alu instid0(SALU_CYCLE_1)
	s_add_u32 s6, s6, s4
	s_addc_u32 s7, s7, s5
	s_add_u32 s3, s6, 8
	s_addc_u32 s14, s7, 0
	;; [unrolled: 2-line block ×3, first 2 shown]
	s_cmp_eq_u64 s[10:11], 0
	s_load_b64 s[10:11], s[0:1], 0x58
	s_cselect_b32 s5, s14, s5
	s_cselect_b32 s4, s3, s4
	s_load_b64 s[14:15], s[6:7], 0x0
	s_load_b64 s[16:17], s[4:5], 0x0
	s_waitcnt lgkmcnt(0)
	v_cmp_ge_i64_e64 s3, s[14:15], s[16:17]
	s_delay_alu instid0(VALU_DEP_1)
	s_and_b32 vcc_lo, exec_lo, s3
	s_cbranch_vccnz .LBB171_18
; %bb.11:
	v_dual_mov_b32 v2, 0 :: v_dual_and_b32 v1, 0xffff, v3
	v_cmp_gt_u32_e32 vcc_lo, 0x310, v0
	s_clause 0x1
	s_load_b128 s[4:7], s[0:1], 0x38
	s_load_b64 s[18:19], s[0:1], 0x48
	s_sub_u32 s0, s16, s12
	v_subrev_nc_u32_e32 v3, 28, v1
	v_and_b32_e32 v4, 0xffff, v14
	s_subb_u32 s1, s17, 0
	s_delay_alu instid0(VALU_DEP_2) | instskip(SKIP_1) | instid1(VALU_DEP_2)
	v_cndmask_b32_e32 v1, v3, v1, vcc_lo
	v_cmp_lt_u32_e32 vcc_lo, 0x30f, v0
	v_cndmask_b32_e64 v1, v4, v1, s2
	v_cndmask_b32_e64 v15, 0, 1, vcc_lo
	s_sub_u32 s2, s14, s12
	s_subb_u32 s3, s15, 0
	s_mul_hi_u32 s16, s2, 0x1880
	v_lshlrev_b64 v[3:4], 3, v[1:2]
	v_add_co_u32 v1, s14, s14, v15
	s_delay_alu instid0(VALU_DEP_1) | instskip(SKIP_2) | instid1(VALU_DEP_3)
	v_add_co_ci_u32_e64 v6, null, s15, 0, s14
	s_mul_i32 s17, s3, 0x1880
	s_waitcnt lgkmcnt(0)
	v_add_co_u32 v3, vcc_lo, s18, v3
	v_add_co_ci_u32_e32 v4, vcc_lo, s19, v4, vcc_lo
	v_sub_co_u32 v5, vcc_lo, v1, s12
	v_subrev_co_ci_u32_e32 v6, vcc_lo, 0, v6, vcc_lo
	v_lshlrev_b32_e32 v1, 3, v0
	s_mul_i32 s14, s2, 0x1880
	s_add_i32 s16, s16, s17
	s_delay_alu instid0(VALU_DEP_2) | instskip(SKIP_3) | instid1(VALU_DEP_1)
	v_lshlrev_b64 v[7:8], 3, v[5:6]
	s_add_u32 s6, s6, s14
	s_addc_u32 s7, s7, s16
	v_add_co_u32 v5, s6, s6, v1
	v_add_co_ci_u32_e64 v6, null, s7, 0, s6
	s_delay_alu instid0(VALU_DEP_3)
	v_add_co_u32 v7, vcc_lo, s4, v7
	v_add_co_ci_u32_e32 v8, vcc_lo, s5, v8, vcc_lo
	v_mov_b32_e32 v1, v2
	s_set_inst_prefetch_distance 0x1
	s_branch .LBB171_13
	.p2align	6
.LBB171_12:                             ;   in Loop: Header=BB171_13 Depth=1
	s_or_b32 exec_lo, exec_lo, s4
	s_add_u32 s2, s2, 1
	s_addc_u32 s3, s3, 0
	v_add_co_u32 v7, vcc_lo, v7, 8
	v_cmp_lt_i64_e64 s4, s[2:3], s[0:1]
	v_add_co_ci_u32_e32 v8, vcc_lo, 0, v8, vcc_lo
	s_delay_alu instid0(VALU_DEP_2)
	s_and_b32 vcc_lo, exec_lo, s4
	s_cbranch_vccz .LBB171_18
.LBB171_13:                             ; =>This Inner Loop Header: Depth=1
	v_add_co_u32 v16, s4, v15, s2
	s_delay_alu instid0(VALU_DEP_1) | instskip(SKIP_1) | instid1(VALU_DEP_1)
	v_add_co_ci_u32_e64 v17, null, 0, s3, s4
	s_mov_b32 s4, exec_lo
	v_cmpx_gt_i64_e64 s[0:1], v[16:17]
	s_cbranch_execz .LBB171_12
; %bb.14:                               ;   in Loop: Header=BB171_13 Depth=1
	global_load_b64 v[16:17], v[7:8], off
	s_waitcnt vmcnt(0)
	v_sub_co_u32 v18, vcc_lo, v16, s12
	v_subrev_co_ci_u32_e32 v20, vcc_lo, 0, v17, vcc_lo
	s_delay_alu instid0(VALU_DEP_2) | instskip(NEXT) | instid1(VALU_DEP_1)
	v_mad_u64_u32 v[16:17], null, 0xe0, v18, v[3:4]
	v_mad_u64_u32 v[18:19], null, 0xe0, v20, v[17:18]
	s_delay_alu instid0(VALU_DEP_1)
	v_mov_b32_e32 v17, v18
	global_load_b64 v[18:19], v[5:6], off
	global_load_b64 v[16:17], v[16:17], off
	v_add_co_u32 v5, vcc_lo, 0x1880, v5
	v_add_co_ci_u32_e32 v6, vcc_lo, 0, v6, vcc_lo
	s_waitcnt vmcnt(0)
	v_fmac_f32_e32 v2, v19, v16
	v_fmac_f32_e32 v1, v18, v16
	s_delay_alu instid0(VALU_DEP_2) | instskip(NEXT) | instid1(VALU_DEP_2)
	v_fmac_f32_e32 v2, v18, v17
	v_fma_f32 v1, -v19, v17, v1
	s_branch .LBB171_12
.LBB171_15:
	v_dual_mov_b32 v1, s4 :: v_dual_mov_b32 v2, s5
	flat_load_b32 v11, v[1:2]
	v_cndmask_b32_e64 v1, 0, 1, s6
	v_mov_b32_e32 v12, s5
	s_and_not1_b32 vcc_lo, exec_lo, s6
	s_cbranch_vccnz .LBB171_2
.LBB171_16:
	v_dual_mov_b32 v2, s4 :: v_dual_mov_b32 v3, s5
	flat_load_b32 v12, v[2:3] offset:4
	v_cmp_ne_u32_e32 vcc_lo, 1, v1
	v_mov_b32_e32 v9, s2
	s_cbranch_vccnz .LBB171_3
.LBB171_17:
	v_dual_mov_b32 v2, s2 :: v_dual_mov_b32 v3, s3
	flat_load_b32 v9, v[2:3]
	v_cmp_ne_u32_e32 vcc_lo, 1, v1
	v_mov_b32_e32 v10, s3
	s_cbranch_vccz .LBB171_4
	s_branch .LBB171_5
.LBB171_18:
	s_set_inst_prefetch_distance 0x2
	s_and_b32 vcc_lo, exec_lo, s13
	ds_store_b64 v13, v[1:2]
	s_waitcnt lgkmcnt(0)
	s_barrier
	buffer_gl0_inv
	s_cbranch_vccz .LBB171_30
; %bb.19:
	s_mov_b32 s0, exec_lo
	v_cmpx_gt_u16_e32 12, v14
	s_cbranch_execz .LBB171_21
; %bb.20:
	ds_load_2addr_b64 v[3:6], v13 offset1:16
	s_waitcnt lgkmcnt(0)
	v_dual_add_f32 v3, v5, v3 :: v_dual_add_f32 v4, v6, v4
	ds_store_b64 v13, v[3:4]
.LBB171_21:
	s_or_b32 exec_lo, exec_lo, s0
	s_delay_alu instid0(SALU_CYCLE_1)
	s_mov_b32 s0, exec_lo
	s_waitcnt lgkmcnt(0)
	s_barrier
	buffer_gl0_inv
	v_cmpx_gt_u16_e32 8, v14
	s_cbranch_execz .LBB171_23
; %bb.22:
	ds_load_2addr_b64 v[3:6], v13 offset1:8
	s_waitcnt lgkmcnt(0)
	v_dual_add_f32 v3, v5, v3 :: v_dual_add_f32 v4, v6, v4
	ds_store_b64 v13, v[3:4]
.LBB171_23:
	s_or_b32 exec_lo, exec_lo, s0
	s_delay_alu instid0(SALU_CYCLE_1)
	s_mov_b32 s0, exec_lo
	s_waitcnt lgkmcnt(0)
	s_barrier
	buffer_gl0_inv
	;; [unrolled: 14-line block ×3, first 2 shown]
	v_cmpx_gt_u16_e32 2, v14
	s_cbranch_execz .LBB171_27
; %bb.26:
	ds_load_2addr_b64 v[3:6], v13 offset1:2
	s_waitcnt lgkmcnt(0)
	v_dual_add_f32 v3, v5, v3 :: v_dual_add_f32 v4, v6, v4
	ds_store_b64 v13, v[3:4]
.LBB171_27:
	s_or_b32 exec_lo, exec_lo, s0
	s_mov_b32 s1, 0
	s_mov_b32 s0, 0
	s_mov_b32 s2, exec_lo
	s_waitcnt lgkmcnt(0)
	s_barrier
	buffer_gl0_inv
                                        ; implicit-def: $vgpr4
                                        ; implicit-def: $vgpr3
	v_cmpx_gt_u32_e32 28, v0
	s_xor_b32 s2, exec_lo, s2
; %bb.28:
	v_mul_u32_u24_e32 v3, 28, v0
	s_mov_b32 s0, exec_lo
	s_delay_alu instid0(VALU_DEP_1)
	v_lshlrev_b32_e32 v4, 3, v3
	v_or_b32_e32 v3, 1, v3
; %bb.29:
	s_or_b32 exec_lo, exec_lo, s2
	s_delay_alu instid0(SALU_CYCLE_1)
	s_and_b32 vcc_lo, exec_lo, s1
	s_cbranch_vccnz .LBB171_31
	s_branch .LBB171_42
.LBB171_30:
	s_mov_b32 s0, 0
                                        ; implicit-def: $vgpr4
                                        ; implicit-def: $vgpr3
	s_cbranch_execz .LBB171_42
.LBB171_31:
	s_mov_b32 s1, exec_lo
	v_cmpx_gt_u32_e32 0x150, v0
	s_cbranch_execz .LBB171_33
; %bb.32:
	ds_load_2addr_stride64_b64 v[3:6], v13 offset1:7
	s_waitcnt lgkmcnt(0)
	v_dual_add_f32 v3, v5, v3 :: v_dual_add_f32 v4, v6, v4
	ds_store_b64 v13, v[3:4]
.LBB171_33:
	s_or_b32 exec_lo, exec_lo, s1
	s_delay_alu instid0(SALU_CYCLE_1)
	s_mov_b32 s1, exec_lo
	s_waitcnt lgkmcnt(0)
	s_barrier
	buffer_gl0_inv
	v_cmpx_gt_u32_e32 0xe0, v0
	s_cbranch_execz .LBB171_35
; %bb.34:
	ds_load_2addr_b64 v[3:6], v13 offset1:224
	s_waitcnt lgkmcnt(0)
	v_dual_add_f32 v3, v5, v3 :: v_dual_add_f32 v4, v6, v4
	ds_store_b64 v13, v[3:4]
.LBB171_35:
	s_or_b32 exec_lo, exec_lo, s1
	s_delay_alu instid0(SALU_CYCLE_1)
	s_mov_b32 s1, exec_lo
	s_waitcnt lgkmcnt(0)
	s_barrier
	buffer_gl0_inv
	v_cmpx_gt_u32_e32 0x70, v0
	s_cbranch_execz .LBB171_37
; %bb.36:
	ds_load_2addr_b64 v[3:6], v13 offset1:112
	s_waitcnt lgkmcnt(0)
	v_dual_add_f32 v3, v5, v3 :: v_dual_add_f32 v4, v6, v4
	ds_store_b64 v13, v[3:4]
.LBB171_37:
	;; [unrolled: 14-line block ×3, first 2 shown]
	s_or_b32 exec_lo, exec_lo, s1
	s_delay_alu instid0(SALU_CYCLE_1)
	s_mov_b32 s1, exec_lo
	s_waitcnt lgkmcnt(0)
	buffer_gl0_inv
                                        ; implicit-def: $vgpr3
	v_cmpx_gt_u32_e32 28, v0
; %bb.40:
	v_add_nc_u32_e32 v3, 28, v0
                                        ; kill: def $vgpr1 killed $sgpr0 killed $exec
	s_or_b32 s0, s0, exec_lo
                                        ; implicit-def: $vgpr2
; %bb.41:
	s_or_b32 exec_lo, exec_lo, s1
	v_mov_b32_e32 v4, v13
.LBB171_42:
	s_and_saveexec_b32 s1, s0
	s_cbranch_execnz .LBB171_45
; %bb.43:
	s_or_b32 exec_lo, exec_lo, s1
	v_cmp_gt_u32_e32 vcc_lo, 28, v0
	s_and_b32 exec_lo, exec_lo, vcc_lo
	s_cbranch_execnz .LBB171_46
.LBB171_44:
	s_nop 0
	s_sendmsg sendmsg(MSG_DEALLOC_VGPRS)
	s_endpgm
.LBB171_45:
	v_lshlrev_b32_e32 v3, 3, v3
	ds_load_2addr_b32 v[1:2], v4 offset1:1
	ds_load_b64 v[3:4], v3
	s_waitcnt lgkmcnt(0)
	v_dual_add_f32 v2, v4, v2 :: v_dual_add_f32 v1, v3, v1
	s_or_b32 exec_lo, exec_lo, s1
	v_cmp_gt_u32_e32 vcc_lo, 28, v0
	s_and_b32 exec_lo, exec_lo, vcc_lo
	s_cbranch_execz .LBB171_44
.LBB171_46:
	v_mul_f32_e64 v3, v2, -v12
	v_mul_f32_e32 v4, v2, v11
	v_cmp_eq_f32_e32 vcc_lo, 0, v9
	v_cmp_eq_f32_e64 s0, 0, v10
	s_mul_hi_u32 s1, s8, 0xe0
	v_fmac_f32_e32 v3, v11, v1
	v_fmac_f32_e32 v4, v12, v1
	s_mul_i32 s2, s8, 0xe0
	s_and_b32 s3, vcc_lo, s0
	s_mul_i32 s0, s9, 0xe0
	s_and_saveexec_b32 s4, s3
	s_delay_alu instid0(SALU_CYCLE_1)
	s_xor_b32 s3, exec_lo, s4
	s_cbranch_execz .LBB171_48
; %bb.47:
	v_lshlrev_b32_e32 v0, 3, v0
	s_add_i32 s5, s1, s0
	s_add_u32 s4, s10, s2
	s_addc_u32 s5, s11, s5
                                        ; implicit-def: $vgpr9
                                        ; implicit-def: $vgpr10
	global_store_b64 v0, v[3:4], s[4:5]
                                        ; implicit-def: $vgpr0
                                        ; implicit-def: $vgpr3
.LBB171_48:
	s_and_not1_saveexec_b32 s3, s3
	s_cbranch_execz .LBB171_44
; %bb.49:
	v_lshlrev_b32_e32 v2, 3, v0
	s_add_i32 s1, s1, s0
	s_add_u32 s0, s10, s2
	s_addc_u32 s1, s11, s1
	global_load_b64 v[0:1], v2, s[0:1]
	s_waitcnt vmcnt(0)
	v_fmac_f32_e32 v3, v9, v0
	v_fmac_f32_e32 v4, v10, v0
	s_delay_alu instid0(VALU_DEP_2) | instskip(NEXT) | instid1(VALU_DEP_2)
	v_fma_f32 v3, -v10, v1, v3
	v_fmac_f32_e32 v4, v9, v1
	global_store_b64 v2, v[3:4], s[0:1]
	s_nop 0
	s_sendmsg sendmsg(MSG_DEALLOC_VGPRS)
	s_endpgm
	.section	.rodata,"a",@progbits
	.p2align	6, 0x0
	.amdhsa_kernel _ZN9rocsparseL20bsrxmvn_17_32_kernelILj28E21rocsparse_complex_numIfEllS2_S2_S2_EEvT2_20rocsparse_direction_NS_24const_host_device_scalarIT0_EES3_PKS3_PKT1_SC_S9_PKT3_PKT4_S7_PT5_21rocsparse_index_base_b
		.amdhsa_group_segment_fixed_size 6272
		.amdhsa_private_segment_fixed_size 0
		.amdhsa_kernarg_size 104
		.amdhsa_user_sgpr_count 15
		.amdhsa_user_sgpr_dispatch_ptr 0
		.amdhsa_user_sgpr_queue_ptr 0
		.amdhsa_user_sgpr_kernarg_segment_ptr 1
		.amdhsa_user_sgpr_dispatch_id 0
		.amdhsa_user_sgpr_private_segment_size 0
		.amdhsa_wavefront_size32 1
		.amdhsa_uses_dynamic_stack 0
		.amdhsa_enable_private_segment 0
		.amdhsa_system_sgpr_workgroup_id_x 1
		.amdhsa_system_sgpr_workgroup_id_y 0
		.amdhsa_system_sgpr_workgroup_id_z 0
		.amdhsa_system_sgpr_workgroup_info 0
		.amdhsa_system_vgpr_workitem_id 0
		.amdhsa_next_free_vgpr 21
		.amdhsa_next_free_sgpr 20
		.amdhsa_reserve_vcc 1
		.amdhsa_float_round_mode_32 0
		.amdhsa_float_round_mode_16_64 0
		.amdhsa_float_denorm_mode_32 3
		.amdhsa_float_denorm_mode_16_64 3
		.amdhsa_dx10_clamp 1
		.amdhsa_ieee_mode 1
		.amdhsa_fp16_overflow 0
		.amdhsa_workgroup_processor_mode 1
		.amdhsa_memory_ordered 1
		.amdhsa_forward_progress 0
		.amdhsa_shared_vgpr_count 0
		.amdhsa_exception_fp_ieee_invalid_op 0
		.amdhsa_exception_fp_denorm_src 0
		.amdhsa_exception_fp_ieee_div_zero 0
		.amdhsa_exception_fp_ieee_overflow 0
		.amdhsa_exception_fp_ieee_underflow 0
		.amdhsa_exception_fp_ieee_inexact 0
		.amdhsa_exception_int_div_zero 0
	.end_amdhsa_kernel
	.section	.text._ZN9rocsparseL20bsrxmvn_17_32_kernelILj28E21rocsparse_complex_numIfEllS2_S2_S2_EEvT2_20rocsparse_direction_NS_24const_host_device_scalarIT0_EES3_PKS3_PKT1_SC_S9_PKT3_PKT4_S7_PT5_21rocsparse_index_base_b,"axG",@progbits,_ZN9rocsparseL20bsrxmvn_17_32_kernelILj28E21rocsparse_complex_numIfEllS2_S2_S2_EEvT2_20rocsparse_direction_NS_24const_host_device_scalarIT0_EES3_PKS3_PKT1_SC_S9_PKT3_PKT4_S7_PT5_21rocsparse_index_base_b,comdat
.Lfunc_end171:
	.size	_ZN9rocsparseL20bsrxmvn_17_32_kernelILj28E21rocsparse_complex_numIfEllS2_S2_S2_EEvT2_20rocsparse_direction_NS_24const_host_device_scalarIT0_EES3_PKS3_PKT1_SC_S9_PKT3_PKT4_S7_PT5_21rocsparse_index_base_b, .Lfunc_end171-_ZN9rocsparseL20bsrxmvn_17_32_kernelILj28E21rocsparse_complex_numIfEllS2_S2_S2_EEvT2_20rocsparse_direction_NS_24const_host_device_scalarIT0_EES3_PKS3_PKT1_SC_S9_PKT3_PKT4_S7_PT5_21rocsparse_index_base_b
                                        ; -- End function
	.section	.AMDGPU.csdata,"",@progbits
; Kernel info:
; codeLenInByte = 1896
; NumSgprs: 22
; NumVgprs: 21
; ScratchSize: 0
; MemoryBound: 0
; FloatMode: 240
; IeeeMode: 1
; LDSByteSize: 6272 bytes/workgroup (compile time only)
; SGPRBlocks: 2
; VGPRBlocks: 2
; NumSGPRsForWavesPerEU: 22
; NumVGPRsForWavesPerEU: 21
; Occupancy: 13
; WaveLimiterHint : 1
; COMPUTE_PGM_RSRC2:SCRATCH_EN: 0
; COMPUTE_PGM_RSRC2:USER_SGPR: 15
; COMPUTE_PGM_RSRC2:TRAP_HANDLER: 0
; COMPUTE_PGM_RSRC2:TGID_X_EN: 1
; COMPUTE_PGM_RSRC2:TGID_Y_EN: 0
; COMPUTE_PGM_RSRC2:TGID_Z_EN: 0
; COMPUTE_PGM_RSRC2:TIDIG_COMP_CNT: 0
	.section	.text._ZN9rocsparseL20bsrxmvn_17_32_kernelILj29E21rocsparse_complex_numIfEllS2_S2_S2_EEvT2_20rocsparse_direction_NS_24const_host_device_scalarIT0_EES3_PKS3_PKT1_SC_S9_PKT3_PKT4_S7_PT5_21rocsparse_index_base_b,"axG",@progbits,_ZN9rocsparseL20bsrxmvn_17_32_kernelILj29E21rocsparse_complex_numIfEllS2_S2_S2_EEvT2_20rocsparse_direction_NS_24const_host_device_scalarIT0_EES3_PKS3_PKT1_SC_S9_PKT3_PKT4_S7_PT5_21rocsparse_index_base_b,comdat
	.globl	_ZN9rocsparseL20bsrxmvn_17_32_kernelILj29E21rocsparse_complex_numIfEllS2_S2_S2_EEvT2_20rocsparse_direction_NS_24const_host_device_scalarIT0_EES3_PKS3_PKT1_SC_S9_PKT3_PKT4_S7_PT5_21rocsparse_index_base_b ; -- Begin function _ZN9rocsparseL20bsrxmvn_17_32_kernelILj29E21rocsparse_complex_numIfEllS2_S2_S2_EEvT2_20rocsparse_direction_NS_24const_host_device_scalarIT0_EES3_PKS3_PKT1_SC_S9_PKT3_PKT4_S7_PT5_21rocsparse_index_base_b
	.p2align	8
	.type	_ZN9rocsparseL20bsrxmvn_17_32_kernelILj29E21rocsparse_complex_numIfEllS2_S2_S2_EEvT2_20rocsparse_direction_NS_24const_host_device_scalarIT0_EES3_PKS3_PKT1_SC_S9_PKT3_PKT4_S7_PT5_21rocsparse_index_base_b,@function
_ZN9rocsparseL20bsrxmvn_17_32_kernelILj29E21rocsparse_complex_numIfEllS2_S2_S2_EEvT2_20rocsparse_direction_NS_24const_host_device_scalarIT0_EES3_PKS3_PKT1_SC_S9_PKT3_PKT4_S7_PT5_21rocsparse_index_base_b: ; @_ZN9rocsparseL20bsrxmvn_17_32_kernelILj29E21rocsparse_complex_numIfEllS2_S2_S2_EEvT2_20rocsparse_direction_NS_24const_host_device_scalarIT0_EES3_PKS3_PKT1_SC_S9_PKT3_PKT4_S7_PT5_21rocsparse_index_base_b
; %bb.0:
	s_clause 0x2
	s_load_b64 s[12:13], s[0:1], 0x60
	s_load_b64 s[4:5], s[0:1], 0x10
	;; [unrolled: 1-line block ×3, first 2 shown]
	s_mov_b32 s8, s15
	s_waitcnt lgkmcnt(0)
	s_bitcmp1_b32 s13, 0
	v_mov_b32_e32 v11, s4
	s_cselect_b32 s6, -1, 0
	s_delay_alu instid0(SALU_CYCLE_1)
	s_and_b32 vcc_lo, exec_lo, s6
	s_xor_b32 s6, s6, -1
	s_cbranch_vccz .LBB172_15
; %bb.1:
	v_cndmask_b32_e64 v1, 0, 1, s6
	v_mov_b32_e32 v12, s5
	s_and_not1_b32 vcc_lo, exec_lo, s6
	s_cbranch_vccz .LBB172_16
.LBB172_2:
	s_delay_alu instid0(VALU_DEP_2)
	v_cmp_ne_u32_e32 vcc_lo, 1, v1
	v_mov_b32_e32 v9, s2
	s_cbranch_vccz .LBB172_17
.LBB172_3:
	v_cmp_ne_u32_e32 vcc_lo, 1, v1
	v_mov_b32_e32 v10, s3
	s_cbranch_vccnz .LBB172_5
.LBB172_4:
	v_dual_mov_b32 v1, s2 :: v_dual_mov_b32 v2, s3
	flat_load_b32 v10, v[1:2] offset:4
.LBB172_5:
	s_waitcnt vmcnt(0) lgkmcnt(0)
	v_cmp_eq_f32_e32 vcc_lo, 0, v11
	v_cmp_eq_f32_e64 s2, 0, v12
	s_delay_alu instid0(VALU_DEP_1)
	s_and_b32 s4, vcc_lo, s2
	s_mov_b32 s2, -1
	s_and_saveexec_b32 s3, s4
; %bb.6:
	v_cmp_neq_f32_e32 vcc_lo, 1.0, v9
	v_cmp_neq_f32_e64 s2, 0, v10
	s_delay_alu instid0(VALU_DEP_1) | instskip(NEXT) | instid1(SALU_CYCLE_1)
	s_or_b32 s2, vcc_lo, s2
	s_or_not1_b32 s2, s2, exec_lo
; %bb.7:
	s_or_b32 exec_lo, exec_lo, s3
	s_and_saveexec_b32 s3, s2
	s_cbranch_execz .LBB172_44
; %bb.8:
	s_clause 0x1
	s_load_b128 s[4:7], s[0:1], 0x20
	s_load_b64 s[10:11], s[0:1], 0x30
	s_mov_b32 s9, 0
	s_waitcnt lgkmcnt(0)
	s_cmp_eq_u64 s[4:5], 0
	s_cbranch_scc1 .LBB172_10
; %bb.9:
	s_lshl_b64 s[2:3], s[8:9], 3
	s_delay_alu instid0(SALU_CYCLE_1)
	s_add_u32 s2, s4, s2
	s_addc_u32 s3, s5, s3
	s_load_b64 s[2:3], s[2:3], 0x0
	s_waitcnt lgkmcnt(0)
	s_sub_u32 s8, s2, s12
	s_subb_u32 s9, s3, 0
.LBB172_10:
	s_load_b32 s3, s[0:1], 0x8
	v_mul_u32_u24_e32 v1, 0x8d4, v0
	v_dual_mov_b32 v2, 0 :: v_dual_lshlrev_b32 v13, 3, v0
	s_delay_alu instid0(VALU_DEP_2) | instskip(NEXT) | instid1(VALU_DEP_1)
	v_lshrrev_b32_e32 v3, 16, v1
	v_mul_lo_u16 v1, v3, 29
	s_delay_alu instid0(VALU_DEP_1)
	v_sub_nc_u16 v14, v0, v1
	v_mov_b32_e32 v1, 0
	s_waitcnt lgkmcnt(0)
	s_cmp_eq_u32 s3, 1
	s_cselect_b32 s2, -1, 0
	s_cmp_lg_u32 s3, 1
	s_cselect_b32 s13, -1, 0
	s_lshl_b64 s[4:5], s[8:9], 3
	s_delay_alu instid0(SALU_CYCLE_1)
	s_add_u32 s6, s6, s4
	s_addc_u32 s7, s7, s5
	s_add_u32 s3, s6, 8
	s_addc_u32 s14, s7, 0
	;; [unrolled: 2-line block ×3, first 2 shown]
	s_cmp_eq_u64 s[10:11], 0
	s_load_b64 s[10:11], s[0:1], 0x58
	s_cselect_b32 s5, s14, s5
	s_cselect_b32 s4, s3, s4
	s_load_b64 s[14:15], s[6:7], 0x0
	s_load_b64 s[16:17], s[4:5], 0x0
	s_waitcnt lgkmcnt(0)
	v_cmp_ge_i64_e64 s3, s[14:15], s[16:17]
	s_delay_alu instid0(VALU_DEP_1)
	s_and_b32 vcc_lo, exec_lo, s3
	s_cbranch_vccnz .LBB172_18
; %bb.11:
	v_dual_mov_b32 v2, 0 :: v_dual_and_b32 v1, 0xffff, v3
	v_cmp_gt_u32_e32 vcc_lo, 0x349, v0
	s_clause 0x1
	s_load_b128 s[4:7], s[0:1], 0x38
	s_load_b64 s[18:19], s[0:1], 0x48
	s_sub_u32 s0, s16, s12
	v_subrev_nc_u32_e32 v3, 29, v1
	v_and_b32_e32 v4, 0xffff, v14
	s_subb_u32 s1, s17, 0
	s_delay_alu instid0(VALU_DEP_2) | instskip(SKIP_1) | instid1(VALU_DEP_2)
	v_cndmask_b32_e32 v1, v3, v1, vcc_lo
	v_cmp_lt_u32_e32 vcc_lo, 0x348, v0
	v_cndmask_b32_e64 v1, v4, v1, s2
	v_cndmask_b32_e64 v15, 0, 1, vcc_lo
	s_sub_u32 s2, s14, s12
	s_subb_u32 s3, s15, 0
	s_mul_hi_u32 s16, s2, 0x1a48
	v_lshlrev_b64 v[3:4], 3, v[1:2]
	v_add_co_u32 v1, s14, s14, v15
	s_delay_alu instid0(VALU_DEP_1) | instskip(SKIP_2) | instid1(VALU_DEP_3)
	v_add_co_ci_u32_e64 v6, null, s15, 0, s14
	s_mul_i32 s17, s3, 0x1a48
	s_waitcnt lgkmcnt(0)
	v_add_co_u32 v3, vcc_lo, s18, v3
	v_add_co_ci_u32_e32 v4, vcc_lo, s19, v4, vcc_lo
	v_sub_co_u32 v5, vcc_lo, v1, s12
	v_subrev_co_ci_u32_e32 v6, vcc_lo, 0, v6, vcc_lo
	v_lshlrev_b32_e32 v1, 3, v0
	s_mul_i32 s14, s2, 0x1a48
	s_add_i32 s16, s16, s17
	s_delay_alu instid0(VALU_DEP_2) | instskip(SKIP_3) | instid1(VALU_DEP_1)
	v_lshlrev_b64 v[7:8], 3, v[5:6]
	s_add_u32 s6, s6, s14
	s_addc_u32 s7, s7, s16
	v_add_co_u32 v5, s6, s6, v1
	v_add_co_ci_u32_e64 v6, null, s7, 0, s6
	s_delay_alu instid0(VALU_DEP_3)
	v_add_co_u32 v7, vcc_lo, s4, v7
	v_add_co_ci_u32_e32 v8, vcc_lo, s5, v8, vcc_lo
	v_mov_b32_e32 v1, v2
	s_set_inst_prefetch_distance 0x1
	s_branch .LBB172_13
	.p2align	6
.LBB172_12:                             ;   in Loop: Header=BB172_13 Depth=1
	s_or_b32 exec_lo, exec_lo, s4
	s_add_u32 s2, s2, 1
	s_addc_u32 s3, s3, 0
	v_add_co_u32 v7, vcc_lo, v7, 8
	v_cmp_lt_i64_e64 s4, s[2:3], s[0:1]
	v_add_co_ci_u32_e32 v8, vcc_lo, 0, v8, vcc_lo
	s_delay_alu instid0(VALU_DEP_2)
	s_and_b32 vcc_lo, exec_lo, s4
	s_cbranch_vccz .LBB172_18
.LBB172_13:                             ; =>This Inner Loop Header: Depth=1
	v_add_co_u32 v16, s4, v15, s2
	s_delay_alu instid0(VALU_DEP_1) | instskip(SKIP_1) | instid1(VALU_DEP_1)
	v_add_co_ci_u32_e64 v17, null, 0, s3, s4
	s_mov_b32 s4, exec_lo
	v_cmpx_gt_i64_e64 s[0:1], v[16:17]
	s_cbranch_execz .LBB172_12
; %bb.14:                               ;   in Loop: Header=BB172_13 Depth=1
	global_load_b64 v[16:17], v[7:8], off
	s_waitcnt vmcnt(0)
	v_sub_co_u32 v18, vcc_lo, v16, s12
	v_subrev_co_ci_u32_e32 v20, vcc_lo, 0, v17, vcc_lo
	s_delay_alu instid0(VALU_DEP_2) | instskip(NEXT) | instid1(VALU_DEP_1)
	v_mad_u64_u32 v[16:17], null, 0xe8, v18, v[3:4]
	v_mad_u64_u32 v[18:19], null, 0xe8, v20, v[17:18]
	s_delay_alu instid0(VALU_DEP_1)
	v_mov_b32_e32 v17, v18
	global_load_b64 v[18:19], v[5:6], off
	global_load_b64 v[16:17], v[16:17], off
	v_add_co_u32 v5, vcc_lo, 0x1a48, v5
	v_add_co_ci_u32_e32 v6, vcc_lo, 0, v6, vcc_lo
	s_waitcnt vmcnt(0)
	v_fmac_f32_e32 v2, v19, v16
	v_fmac_f32_e32 v1, v18, v16
	s_delay_alu instid0(VALU_DEP_2) | instskip(NEXT) | instid1(VALU_DEP_2)
	v_fmac_f32_e32 v2, v18, v17
	v_fma_f32 v1, -v19, v17, v1
	s_branch .LBB172_12
.LBB172_15:
	v_dual_mov_b32 v1, s4 :: v_dual_mov_b32 v2, s5
	flat_load_b32 v11, v[1:2]
	v_cndmask_b32_e64 v1, 0, 1, s6
	v_mov_b32_e32 v12, s5
	s_and_not1_b32 vcc_lo, exec_lo, s6
	s_cbranch_vccnz .LBB172_2
.LBB172_16:
	v_dual_mov_b32 v2, s4 :: v_dual_mov_b32 v3, s5
	flat_load_b32 v12, v[2:3] offset:4
	v_cmp_ne_u32_e32 vcc_lo, 1, v1
	v_mov_b32_e32 v9, s2
	s_cbranch_vccnz .LBB172_3
.LBB172_17:
	v_dual_mov_b32 v2, s2 :: v_dual_mov_b32 v3, s3
	flat_load_b32 v9, v[2:3]
	v_cmp_ne_u32_e32 vcc_lo, 1, v1
	v_mov_b32_e32 v10, s3
	s_cbranch_vccz .LBB172_4
	s_branch .LBB172_5
.LBB172_18:
	s_set_inst_prefetch_distance 0x2
	s_and_b32 vcc_lo, exec_lo, s13
	ds_store_b64 v13, v[1:2]
	s_waitcnt lgkmcnt(0)
	s_barrier
	buffer_gl0_inv
	s_cbranch_vccz .LBB172_30
; %bb.19:
	s_mov_b32 s0, exec_lo
	v_cmpx_gt_u16_e32 13, v14
	s_cbranch_execz .LBB172_21
; %bb.20:
	ds_load_2addr_b64 v[3:6], v13 offset1:16
	s_waitcnt lgkmcnt(0)
	v_dual_add_f32 v3, v5, v3 :: v_dual_add_f32 v4, v6, v4
	ds_store_b64 v13, v[3:4]
.LBB172_21:
	s_or_b32 exec_lo, exec_lo, s0
	s_delay_alu instid0(SALU_CYCLE_1)
	s_mov_b32 s0, exec_lo
	s_waitcnt lgkmcnt(0)
	s_barrier
	buffer_gl0_inv
	v_cmpx_gt_u16_e32 8, v14
	s_cbranch_execz .LBB172_23
; %bb.22:
	ds_load_2addr_b64 v[3:6], v13 offset1:8
	s_waitcnt lgkmcnt(0)
	v_dual_add_f32 v3, v5, v3 :: v_dual_add_f32 v4, v6, v4
	ds_store_b64 v13, v[3:4]
.LBB172_23:
	s_or_b32 exec_lo, exec_lo, s0
	s_delay_alu instid0(SALU_CYCLE_1)
	s_mov_b32 s0, exec_lo
	s_waitcnt lgkmcnt(0)
	s_barrier
	buffer_gl0_inv
	;; [unrolled: 14-line block ×3, first 2 shown]
	v_cmpx_gt_u16_e32 2, v14
	s_cbranch_execz .LBB172_27
; %bb.26:
	ds_load_2addr_b64 v[3:6], v13 offset1:2
	s_waitcnt lgkmcnt(0)
	v_dual_add_f32 v3, v5, v3 :: v_dual_add_f32 v4, v6, v4
	ds_store_b64 v13, v[3:4]
.LBB172_27:
	s_or_b32 exec_lo, exec_lo, s0
	s_mov_b32 s1, 0
	s_mov_b32 s0, 0
	s_mov_b32 s2, exec_lo
	s_waitcnt lgkmcnt(0)
	s_barrier
	buffer_gl0_inv
                                        ; implicit-def: $vgpr4
                                        ; implicit-def: $vgpr3
	v_cmpx_gt_u32_e32 29, v0
	s_xor_b32 s2, exec_lo, s2
; %bb.28:
	v_mul_u32_u24_e32 v4, 29, v0
	v_mad_u32_u24 v3, v0, 29, 1
	s_mov_b32 s0, exec_lo
	s_delay_alu instid0(VALU_DEP_2)
	v_lshlrev_b32_e32 v4, 3, v4
; %bb.29:
	s_or_b32 exec_lo, exec_lo, s2
	s_delay_alu instid0(SALU_CYCLE_1)
	s_and_b32 vcc_lo, exec_lo, s1
	s_cbranch_vccnz .LBB172_31
	s_branch .LBB172_42
.LBB172_30:
	s_mov_b32 s0, 0
                                        ; implicit-def: $vgpr4
                                        ; implicit-def: $vgpr3
	s_cbranch_execz .LBB172_42
.LBB172_31:
	s_mov_b32 s1, exec_lo
	v_cmpx_gt_u32_e32 0x179, v0
	s_cbranch_execz .LBB172_33
; %bb.32:
	ds_load_b64 v[3:4], v13 offset:3712
	ds_load_b64 v[5:6], v13
	s_waitcnt lgkmcnt(0)
	v_dual_add_f32 v3, v3, v5 :: v_dual_add_f32 v4, v4, v6
	ds_store_b64 v13, v[3:4]
.LBB172_33:
	s_or_b32 exec_lo, exec_lo, s1
	s_delay_alu instid0(SALU_CYCLE_1)
	s_mov_b32 s1, exec_lo
	s_waitcnt lgkmcnt(0)
	s_barrier
	buffer_gl0_inv
	v_cmpx_gt_u32_e32 0xe8, v0
	s_cbranch_execz .LBB172_35
; %bb.34:
	ds_load_2addr_b64 v[3:6], v13 offset1:232
	s_waitcnt lgkmcnt(0)
	v_dual_add_f32 v3, v5, v3 :: v_dual_add_f32 v4, v6, v4
	ds_store_b64 v13, v[3:4]
.LBB172_35:
	s_or_b32 exec_lo, exec_lo, s1
	s_delay_alu instid0(SALU_CYCLE_1)
	s_mov_b32 s1, exec_lo
	s_waitcnt lgkmcnt(0)
	s_barrier
	buffer_gl0_inv
	v_cmpx_gt_u32_e32 0x74, v0
	s_cbranch_execz .LBB172_37
; %bb.36:
	ds_load_2addr_b64 v[3:6], v13 offset1:116
	s_waitcnt lgkmcnt(0)
	v_dual_add_f32 v3, v5, v3 :: v_dual_add_f32 v4, v6, v4
	ds_store_b64 v13, v[3:4]
.LBB172_37:
	;; [unrolled: 14-line block ×3, first 2 shown]
	s_or_b32 exec_lo, exec_lo, s1
	s_delay_alu instid0(SALU_CYCLE_1)
	s_mov_b32 s1, exec_lo
	s_waitcnt lgkmcnt(0)
	buffer_gl0_inv
                                        ; implicit-def: $vgpr3
	v_cmpx_gt_u32_e32 29, v0
; %bb.40:
	v_add_nc_u32_e32 v3, 29, v0
                                        ; kill: def $vgpr1 killed $sgpr0 killed $exec
	s_or_b32 s0, s0, exec_lo
                                        ; implicit-def: $vgpr2
; %bb.41:
	s_or_b32 exec_lo, exec_lo, s1
	v_mov_b32_e32 v4, v13
.LBB172_42:
	s_and_saveexec_b32 s1, s0
	s_cbranch_execnz .LBB172_45
; %bb.43:
	s_or_b32 exec_lo, exec_lo, s1
	v_cmp_gt_u32_e32 vcc_lo, 29, v0
	s_and_b32 exec_lo, exec_lo, vcc_lo
	s_cbranch_execnz .LBB172_46
.LBB172_44:
	s_nop 0
	s_sendmsg sendmsg(MSG_DEALLOC_VGPRS)
	s_endpgm
.LBB172_45:
	v_lshlrev_b32_e32 v3, 3, v3
	ds_load_2addr_b32 v[1:2], v4 offset1:1
	ds_load_b64 v[3:4], v3
	s_waitcnt lgkmcnt(0)
	v_dual_add_f32 v2, v4, v2 :: v_dual_add_f32 v1, v3, v1
	s_or_b32 exec_lo, exec_lo, s1
	v_cmp_gt_u32_e32 vcc_lo, 29, v0
	s_and_b32 exec_lo, exec_lo, vcc_lo
	s_cbranch_execz .LBB172_44
.LBB172_46:
	v_mul_f32_e64 v3, v2, -v12
	v_mul_f32_e32 v4, v2, v11
	v_cmp_eq_f32_e32 vcc_lo, 0, v9
	v_cmp_eq_f32_e64 s0, 0, v10
	s_mul_hi_u32 s1, s8, 0xe8
	v_fmac_f32_e32 v3, v11, v1
	v_fmac_f32_e32 v4, v12, v1
	s_mul_i32 s2, s8, 0xe8
	s_and_b32 s3, vcc_lo, s0
	s_mul_i32 s0, s9, 0xe8
	s_and_saveexec_b32 s4, s3
	s_delay_alu instid0(SALU_CYCLE_1)
	s_xor_b32 s3, exec_lo, s4
	s_cbranch_execz .LBB172_48
; %bb.47:
	v_lshlrev_b32_e32 v0, 3, v0
	s_add_i32 s5, s1, s0
	s_add_u32 s4, s10, s2
	s_addc_u32 s5, s11, s5
                                        ; implicit-def: $vgpr9
                                        ; implicit-def: $vgpr10
	global_store_b64 v0, v[3:4], s[4:5]
                                        ; implicit-def: $vgpr0
                                        ; implicit-def: $vgpr3
.LBB172_48:
	s_and_not1_saveexec_b32 s3, s3
	s_cbranch_execz .LBB172_44
; %bb.49:
	v_lshlrev_b32_e32 v2, 3, v0
	s_add_i32 s1, s1, s0
	s_add_u32 s0, s10, s2
	s_addc_u32 s1, s11, s1
	global_load_b64 v[0:1], v2, s[0:1]
	s_waitcnt vmcnt(0)
	v_fmac_f32_e32 v3, v9, v0
	v_fmac_f32_e32 v4, v10, v0
	s_delay_alu instid0(VALU_DEP_2) | instskip(NEXT) | instid1(VALU_DEP_2)
	v_fma_f32 v3, -v10, v1, v3
	v_fmac_f32_e32 v4, v9, v1
	global_store_b64 v2, v[3:4], s[0:1]
	s_nop 0
	s_sendmsg sendmsg(MSG_DEALLOC_VGPRS)
	s_endpgm
	.section	.rodata,"a",@progbits
	.p2align	6, 0x0
	.amdhsa_kernel _ZN9rocsparseL20bsrxmvn_17_32_kernelILj29E21rocsparse_complex_numIfEllS2_S2_S2_EEvT2_20rocsparse_direction_NS_24const_host_device_scalarIT0_EES3_PKS3_PKT1_SC_S9_PKT3_PKT4_S7_PT5_21rocsparse_index_base_b
		.amdhsa_group_segment_fixed_size 6728
		.amdhsa_private_segment_fixed_size 0
		.amdhsa_kernarg_size 104
		.amdhsa_user_sgpr_count 15
		.amdhsa_user_sgpr_dispatch_ptr 0
		.amdhsa_user_sgpr_queue_ptr 0
		.amdhsa_user_sgpr_kernarg_segment_ptr 1
		.amdhsa_user_sgpr_dispatch_id 0
		.amdhsa_user_sgpr_private_segment_size 0
		.amdhsa_wavefront_size32 1
		.amdhsa_uses_dynamic_stack 0
		.amdhsa_enable_private_segment 0
		.amdhsa_system_sgpr_workgroup_id_x 1
		.amdhsa_system_sgpr_workgroup_id_y 0
		.amdhsa_system_sgpr_workgroup_id_z 0
		.amdhsa_system_sgpr_workgroup_info 0
		.amdhsa_system_vgpr_workitem_id 0
		.amdhsa_next_free_vgpr 21
		.amdhsa_next_free_sgpr 20
		.amdhsa_reserve_vcc 1
		.amdhsa_float_round_mode_32 0
		.amdhsa_float_round_mode_16_64 0
		.amdhsa_float_denorm_mode_32 3
		.amdhsa_float_denorm_mode_16_64 3
		.amdhsa_dx10_clamp 1
		.amdhsa_ieee_mode 1
		.amdhsa_fp16_overflow 0
		.amdhsa_workgroup_processor_mode 1
		.amdhsa_memory_ordered 1
		.amdhsa_forward_progress 0
		.amdhsa_shared_vgpr_count 0
		.amdhsa_exception_fp_ieee_invalid_op 0
		.amdhsa_exception_fp_denorm_src 0
		.amdhsa_exception_fp_ieee_div_zero 0
		.amdhsa_exception_fp_ieee_overflow 0
		.amdhsa_exception_fp_ieee_underflow 0
		.amdhsa_exception_fp_ieee_inexact 0
		.amdhsa_exception_int_div_zero 0
	.end_amdhsa_kernel
	.section	.text._ZN9rocsparseL20bsrxmvn_17_32_kernelILj29E21rocsparse_complex_numIfEllS2_S2_S2_EEvT2_20rocsparse_direction_NS_24const_host_device_scalarIT0_EES3_PKS3_PKT1_SC_S9_PKT3_PKT4_S7_PT5_21rocsparse_index_base_b,"axG",@progbits,_ZN9rocsparseL20bsrxmvn_17_32_kernelILj29E21rocsparse_complex_numIfEllS2_S2_S2_EEvT2_20rocsparse_direction_NS_24const_host_device_scalarIT0_EES3_PKS3_PKT1_SC_S9_PKT3_PKT4_S7_PT5_21rocsparse_index_base_b,comdat
.Lfunc_end172:
	.size	_ZN9rocsparseL20bsrxmvn_17_32_kernelILj29E21rocsparse_complex_numIfEllS2_S2_S2_EEvT2_20rocsparse_direction_NS_24const_host_device_scalarIT0_EES3_PKS3_PKT1_SC_S9_PKT3_PKT4_S7_PT5_21rocsparse_index_base_b, .Lfunc_end172-_ZN9rocsparseL20bsrxmvn_17_32_kernelILj29E21rocsparse_complex_numIfEllS2_S2_S2_EEvT2_20rocsparse_direction_NS_24const_host_device_scalarIT0_EES3_PKS3_PKT1_SC_S9_PKT3_PKT4_S7_PT5_21rocsparse_index_base_b
                                        ; -- End function
	.section	.AMDGPU.csdata,"",@progbits
; Kernel info:
; codeLenInByte = 1908
; NumSgprs: 22
; NumVgprs: 21
; ScratchSize: 0
; MemoryBound: 0
; FloatMode: 240
; IeeeMode: 1
; LDSByteSize: 6728 bytes/workgroup (compile time only)
; SGPRBlocks: 2
; VGPRBlocks: 2
; NumSGPRsForWavesPerEU: 22
; NumVGPRsForWavesPerEU: 21
; Occupancy: 14
; WaveLimiterHint : 1
; COMPUTE_PGM_RSRC2:SCRATCH_EN: 0
; COMPUTE_PGM_RSRC2:USER_SGPR: 15
; COMPUTE_PGM_RSRC2:TRAP_HANDLER: 0
; COMPUTE_PGM_RSRC2:TGID_X_EN: 1
; COMPUTE_PGM_RSRC2:TGID_Y_EN: 0
; COMPUTE_PGM_RSRC2:TGID_Z_EN: 0
; COMPUTE_PGM_RSRC2:TIDIG_COMP_CNT: 0
	.section	.text._ZN9rocsparseL20bsrxmvn_17_32_kernelILj30E21rocsparse_complex_numIfEllS2_S2_S2_EEvT2_20rocsparse_direction_NS_24const_host_device_scalarIT0_EES3_PKS3_PKT1_SC_S9_PKT3_PKT4_S7_PT5_21rocsparse_index_base_b,"axG",@progbits,_ZN9rocsparseL20bsrxmvn_17_32_kernelILj30E21rocsparse_complex_numIfEllS2_S2_S2_EEvT2_20rocsparse_direction_NS_24const_host_device_scalarIT0_EES3_PKS3_PKT1_SC_S9_PKT3_PKT4_S7_PT5_21rocsparse_index_base_b,comdat
	.globl	_ZN9rocsparseL20bsrxmvn_17_32_kernelILj30E21rocsparse_complex_numIfEllS2_S2_S2_EEvT2_20rocsparse_direction_NS_24const_host_device_scalarIT0_EES3_PKS3_PKT1_SC_S9_PKT3_PKT4_S7_PT5_21rocsparse_index_base_b ; -- Begin function _ZN9rocsparseL20bsrxmvn_17_32_kernelILj30E21rocsparse_complex_numIfEllS2_S2_S2_EEvT2_20rocsparse_direction_NS_24const_host_device_scalarIT0_EES3_PKS3_PKT1_SC_S9_PKT3_PKT4_S7_PT5_21rocsparse_index_base_b
	.p2align	8
	.type	_ZN9rocsparseL20bsrxmvn_17_32_kernelILj30E21rocsparse_complex_numIfEllS2_S2_S2_EEvT2_20rocsparse_direction_NS_24const_host_device_scalarIT0_EES3_PKS3_PKT1_SC_S9_PKT3_PKT4_S7_PT5_21rocsparse_index_base_b,@function
_ZN9rocsparseL20bsrxmvn_17_32_kernelILj30E21rocsparse_complex_numIfEllS2_S2_S2_EEvT2_20rocsparse_direction_NS_24const_host_device_scalarIT0_EES3_PKS3_PKT1_SC_S9_PKT3_PKT4_S7_PT5_21rocsparse_index_base_b: ; @_ZN9rocsparseL20bsrxmvn_17_32_kernelILj30E21rocsparse_complex_numIfEllS2_S2_S2_EEvT2_20rocsparse_direction_NS_24const_host_device_scalarIT0_EES3_PKS3_PKT1_SC_S9_PKT3_PKT4_S7_PT5_21rocsparse_index_base_b
; %bb.0:
	s_clause 0x2
	s_load_b64 s[12:13], s[0:1], 0x60
	s_load_b64 s[4:5], s[0:1], 0x10
	;; [unrolled: 1-line block ×3, first 2 shown]
	s_mov_b32 s8, s15
	s_waitcnt lgkmcnt(0)
	s_bitcmp1_b32 s13, 0
	v_mov_b32_e32 v11, s4
	s_cselect_b32 s6, -1, 0
	s_delay_alu instid0(SALU_CYCLE_1)
	s_and_b32 vcc_lo, exec_lo, s6
	s_xor_b32 s6, s6, -1
	s_cbranch_vccz .LBB173_15
; %bb.1:
	v_cndmask_b32_e64 v1, 0, 1, s6
	v_mov_b32_e32 v12, s5
	s_and_not1_b32 vcc_lo, exec_lo, s6
	s_cbranch_vccz .LBB173_16
.LBB173_2:
	s_delay_alu instid0(VALU_DEP_2)
	v_cmp_ne_u32_e32 vcc_lo, 1, v1
	v_mov_b32_e32 v9, s2
	s_cbranch_vccz .LBB173_17
.LBB173_3:
	v_cmp_ne_u32_e32 vcc_lo, 1, v1
	v_mov_b32_e32 v10, s3
	s_cbranch_vccnz .LBB173_5
.LBB173_4:
	v_dual_mov_b32 v1, s2 :: v_dual_mov_b32 v2, s3
	flat_load_b32 v10, v[1:2] offset:4
.LBB173_5:
	s_waitcnt vmcnt(0) lgkmcnt(0)
	v_cmp_eq_f32_e32 vcc_lo, 0, v11
	v_cmp_eq_f32_e64 s2, 0, v12
	s_delay_alu instid0(VALU_DEP_1)
	s_and_b32 s4, vcc_lo, s2
	s_mov_b32 s2, -1
	s_and_saveexec_b32 s3, s4
; %bb.6:
	v_cmp_neq_f32_e32 vcc_lo, 1.0, v9
	v_cmp_neq_f32_e64 s2, 0, v10
	s_delay_alu instid0(VALU_DEP_1) | instskip(NEXT) | instid1(SALU_CYCLE_1)
	s_or_b32 s2, vcc_lo, s2
	s_or_not1_b32 s2, s2, exec_lo
; %bb.7:
	s_or_b32 exec_lo, exec_lo, s3
	s_and_saveexec_b32 s3, s2
	s_cbranch_execz .LBB173_44
; %bb.8:
	s_clause 0x1
	s_load_b128 s[4:7], s[0:1], 0x20
	s_load_b64 s[10:11], s[0:1], 0x30
	s_mov_b32 s9, 0
	s_waitcnt lgkmcnt(0)
	s_cmp_eq_u64 s[4:5], 0
	s_cbranch_scc1 .LBB173_10
; %bb.9:
	s_lshl_b64 s[2:3], s[8:9], 3
	s_delay_alu instid0(SALU_CYCLE_1)
	s_add_u32 s2, s4, s2
	s_addc_u32 s3, s5, s3
	s_load_b64 s[2:3], s[2:3], 0x0
	s_waitcnt lgkmcnt(0)
	s_sub_u32 s8, s2, s12
	s_subb_u32 s9, s3, 0
.LBB173_10:
	s_load_b32 s3, s[0:1], 0x8
	v_mul_u32_u24_e32 v1, 0x889, v0
	v_dual_mov_b32 v2, 0 :: v_dual_lshlrev_b32 v13, 3, v0
	s_delay_alu instid0(VALU_DEP_2) | instskip(NEXT) | instid1(VALU_DEP_1)
	v_lshrrev_b32_e32 v3, 16, v1
	v_mul_lo_u16 v1, v3, 30
	s_delay_alu instid0(VALU_DEP_1)
	v_sub_nc_u16 v14, v0, v1
	v_mov_b32_e32 v1, 0
	s_waitcnt lgkmcnt(0)
	s_cmp_eq_u32 s3, 1
	s_cselect_b32 s2, -1, 0
	s_cmp_lg_u32 s3, 1
	s_cselect_b32 s13, -1, 0
	s_lshl_b64 s[4:5], s[8:9], 3
	s_delay_alu instid0(SALU_CYCLE_1)
	s_add_u32 s6, s6, s4
	s_addc_u32 s7, s7, s5
	s_add_u32 s3, s6, 8
	s_addc_u32 s14, s7, 0
	s_add_u32 s4, s10, s4
	s_addc_u32 s5, s11, s5
	s_cmp_eq_u64 s[10:11], 0
	s_load_b64 s[10:11], s[0:1], 0x58
	s_cselect_b32 s5, s14, s5
	s_cselect_b32 s4, s3, s4
	s_load_b64 s[14:15], s[6:7], 0x0
	s_load_b64 s[16:17], s[4:5], 0x0
	s_waitcnt lgkmcnt(0)
	v_cmp_ge_i64_e64 s3, s[14:15], s[16:17]
	s_delay_alu instid0(VALU_DEP_1)
	s_and_b32 vcc_lo, exec_lo, s3
	s_cbranch_vccnz .LBB173_18
; %bb.11:
	v_dual_mov_b32 v2, 0 :: v_dual_and_b32 v1, 0xffff, v3
	v_cmp_gt_u32_e32 vcc_lo, 0x384, v0
	s_clause 0x1
	s_load_b128 s[4:7], s[0:1], 0x38
	s_load_b64 s[18:19], s[0:1], 0x48
	s_sub_u32 s0, s16, s12
	v_subrev_nc_u32_e32 v3, 30, v1
	v_and_b32_e32 v4, 0xffff, v14
	s_subb_u32 s1, s17, 0
	s_delay_alu instid0(VALU_DEP_2) | instskip(SKIP_1) | instid1(VALU_DEP_2)
	v_cndmask_b32_e32 v1, v3, v1, vcc_lo
	v_cmp_lt_u32_e32 vcc_lo, 0x383, v0
	v_cndmask_b32_e64 v1, v4, v1, s2
	v_cndmask_b32_e64 v15, 0, 1, vcc_lo
	s_sub_u32 s2, s14, s12
	s_subb_u32 s3, s15, 0
	s_mul_hi_u32 s16, s2, 0x1c20
	v_lshlrev_b64 v[3:4], 3, v[1:2]
	v_add_co_u32 v1, s14, s14, v15
	s_delay_alu instid0(VALU_DEP_1) | instskip(SKIP_2) | instid1(VALU_DEP_3)
	v_add_co_ci_u32_e64 v6, null, s15, 0, s14
	s_mul_i32 s17, s3, 0x1c20
	s_waitcnt lgkmcnt(0)
	v_add_co_u32 v3, vcc_lo, s18, v3
	v_add_co_ci_u32_e32 v4, vcc_lo, s19, v4, vcc_lo
	v_sub_co_u32 v5, vcc_lo, v1, s12
	v_subrev_co_ci_u32_e32 v6, vcc_lo, 0, v6, vcc_lo
	v_lshlrev_b32_e32 v1, 3, v0
	s_mul_i32 s14, s2, 0x1c20
	s_add_i32 s16, s16, s17
	s_delay_alu instid0(VALU_DEP_2) | instskip(SKIP_3) | instid1(VALU_DEP_1)
	v_lshlrev_b64 v[7:8], 3, v[5:6]
	s_add_u32 s6, s6, s14
	s_addc_u32 s7, s7, s16
	v_add_co_u32 v5, s6, s6, v1
	v_add_co_ci_u32_e64 v6, null, s7, 0, s6
	s_delay_alu instid0(VALU_DEP_3)
	v_add_co_u32 v7, vcc_lo, s4, v7
	v_add_co_ci_u32_e32 v8, vcc_lo, s5, v8, vcc_lo
	v_mov_b32_e32 v1, v2
	s_set_inst_prefetch_distance 0x1
	s_branch .LBB173_13
	.p2align	6
.LBB173_12:                             ;   in Loop: Header=BB173_13 Depth=1
	s_or_b32 exec_lo, exec_lo, s4
	s_add_u32 s2, s2, 1
	s_addc_u32 s3, s3, 0
	v_add_co_u32 v7, vcc_lo, v7, 8
	v_cmp_lt_i64_e64 s4, s[2:3], s[0:1]
	v_add_co_ci_u32_e32 v8, vcc_lo, 0, v8, vcc_lo
	s_delay_alu instid0(VALU_DEP_2)
	s_and_b32 vcc_lo, exec_lo, s4
	s_cbranch_vccz .LBB173_18
.LBB173_13:                             ; =>This Inner Loop Header: Depth=1
	v_add_co_u32 v16, s4, v15, s2
	s_delay_alu instid0(VALU_DEP_1) | instskip(SKIP_1) | instid1(VALU_DEP_1)
	v_add_co_ci_u32_e64 v17, null, 0, s3, s4
	s_mov_b32 s4, exec_lo
	v_cmpx_gt_i64_e64 s[0:1], v[16:17]
	s_cbranch_execz .LBB173_12
; %bb.14:                               ;   in Loop: Header=BB173_13 Depth=1
	global_load_b64 v[16:17], v[7:8], off
	s_waitcnt vmcnt(0)
	v_sub_co_u32 v18, vcc_lo, v16, s12
	v_subrev_co_ci_u32_e32 v20, vcc_lo, 0, v17, vcc_lo
	s_delay_alu instid0(VALU_DEP_2) | instskip(NEXT) | instid1(VALU_DEP_1)
	v_mad_u64_u32 v[16:17], null, 0xf0, v18, v[3:4]
	v_mad_u64_u32 v[18:19], null, 0xf0, v20, v[17:18]
	s_delay_alu instid0(VALU_DEP_1)
	v_mov_b32_e32 v17, v18
	global_load_b64 v[18:19], v[5:6], off
	global_load_b64 v[16:17], v[16:17], off
	v_add_co_u32 v5, vcc_lo, 0x1c20, v5
	v_add_co_ci_u32_e32 v6, vcc_lo, 0, v6, vcc_lo
	s_waitcnt vmcnt(0)
	v_fmac_f32_e32 v2, v19, v16
	v_fmac_f32_e32 v1, v18, v16
	s_delay_alu instid0(VALU_DEP_2) | instskip(NEXT) | instid1(VALU_DEP_2)
	v_fmac_f32_e32 v2, v18, v17
	v_fma_f32 v1, -v19, v17, v1
	s_branch .LBB173_12
.LBB173_15:
	v_dual_mov_b32 v1, s4 :: v_dual_mov_b32 v2, s5
	flat_load_b32 v11, v[1:2]
	v_cndmask_b32_e64 v1, 0, 1, s6
	v_mov_b32_e32 v12, s5
	s_and_not1_b32 vcc_lo, exec_lo, s6
	s_cbranch_vccnz .LBB173_2
.LBB173_16:
	v_dual_mov_b32 v2, s4 :: v_dual_mov_b32 v3, s5
	flat_load_b32 v12, v[2:3] offset:4
	v_cmp_ne_u32_e32 vcc_lo, 1, v1
	v_mov_b32_e32 v9, s2
	s_cbranch_vccnz .LBB173_3
.LBB173_17:
	v_dual_mov_b32 v2, s2 :: v_dual_mov_b32 v3, s3
	flat_load_b32 v9, v[2:3]
	v_cmp_ne_u32_e32 vcc_lo, 1, v1
	v_mov_b32_e32 v10, s3
	s_cbranch_vccz .LBB173_4
	s_branch .LBB173_5
.LBB173_18:
	s_set_inst_prefetch_distance 0x2
	s_and_b32 vcc_lo, exec_lo, s13
	ds_store_b64 v13, v[1:2]
	s_waitcnt lgkmcnt(0)
	s_barrier
	buffer_gl0_inv
	s_cbranch_vccz .LBB173_30
; %bb.19:
	s_mov_b32 s0, exec_lo
	v_cmpx_gt_u16_e32 14, v14
	s_cbranch_execz .LBB173_21
; %bb.20:
	ds_load_2addr_b64 v[3:6], v13 offset1:16
	s_waitcnt lgkmcnt(0)
	v_dual_add_f32 v3, v5, v3 :: v_dual_add_f32 v4, v6, v4
	ds_store_b64 v13, v[3:4]
.LBB173_21:
	s_or_b32 exec_lo, exec_lo, s0
	s_delay_alu instid0(SALU_CYCLE_1)
	s_mov_b32 s0, exec_lo
	s_waitcnt lgkmcnt(0)
	s_barrier
	buffer_gl0_inv
	v_cmpx_gt_u16_e32 8, v14
	s_cbranch_execz .LBB173_23
; %bb.22:
	ds_load_2addr_b64 v[3:6], v13 offset1:8
	s_waitcnt lgkmcnt(0)
	v_dual_add_f32 v3, v5, v3 :: v_dual_add_f32 v4, v6, v4
	ds_store_b64 v13, v[3:4]
.LBB173_23:
	s_or_b32 exec_lo, exec_lo, s0
	s_delay_alu instid0(SALU_CYCLE_1)
	s_mov_b32 s0, exec_lo
	s_waitcnt lgkmcnt(0)
	s_barrier
	buffer_gl0_inv
	;; [unrolled: 14-line block ×3, first 2 shown]
	v_cmpx_gt_u16_e32 2, v14
	s_cbranch_execz .LBB173_27
; %bb.26:
	ds_load_2addr_b64 v[3:6], v13 offset1:2
	s_waitcnt lgkmcnt(0)
	v_dual_add_f32 v3, v5, v3 :: v_dual_add_f32 v4, v6, v4
	ds_store_b64 v13, v[3:4]
.LBB173_27:
	s_or_b32 exec_lo, exec_lo, s0
	s_mov_b32 s1, 0
	s_mov_b32 s0, 0
	s_mov_b32 s2, exec_lo
	s_waitcnt lgkmcnt(0)
	s_barrier
	buffer_gl0_inv
                                        ; implicit-def: $vgpr4
                                        ; implicit-def: $vgpr3
	v_cmpx_gt_u32_e32 30, v0
	s_xor_b32 s2, exec_lo, s2
; %bb.28:
	v_mul_u32_u24_e32 v3, 30, v0
	s_mov_b32 s0, exec_lo
	s_delay_alu instid0(VALU_DEP_1)
	v_lshlrev_b32_e32 v4, 3, v3
	v_or_b32_e32 v3, 1, v3
; %bb.29:
	s_or_b32 exec_lo, exec_lo, s2
	s_delay_alu instid0(SALU_CYCLE_1)
	s_and_b32 vcc_lo, exec_lo, s1
	s_cbranch_vccnz .LBB173_31
	s_branch .LBB173_42
.LBB173_30:
	s_mov_b32 s0, 0
                                        ; implicit-def: $vgpr4
                                        ; implicit-def: $vgpr3
	s_cbranch_execz .LBB173_42
.LBB173_31:
	s_mov_b32 s1, exec_lo
	v_cmpx_gt_u32_e32 0x1a4, v0
	s_cbranch_execz .LBB173_33
; %bb.32:
	ds_load_b64 v[3:4], v13 offset:3840
	ds_load_b64 v[5:6], v13
	s_waitcnt lgkmcnt(0)
	v_dual_add_f32 v3, v3, v5 :: v_dual_add_f32 v4, v4, v6
	ds_store_b64 v13, v[3:4]
.LBB173_33:
	s_or_b32 exec_lo, exec_lo, s1
	s_delay_alu instid0(SALU_CYCLE_1)
	s_mov_b32 s1, exec_lo
	s_waitcnt lgkmcnt(0)
	s_barrier
	buffer_gl0_inv
	v_cmpx_gt_u32_e32 0xf0, v0
	s_cbranch_execz .LBB173_35
; %bb.34:
	ds_load_2addr_b64 v[3:6], v13 offset1:240
	s_waitcnt lgkmcnt(0)
	v_dual_add_f32 v3, v5, v3 :: v_dual_add_f32 v4, v6, v4
	ds_store_b64 v13, v[3:4]
.LBB173_35:
	s_or_b32 exec_lo, exec_lo, s1
	s_delay_alu instid0(SALU_CYCLE_1)
	s_mov_b32 s1, exec_lo
	s_waitcnt lgkmcnt(0)
	s_barrier
	buffer_gl0_inv
	v_cmpx_gt_u32_e32 0x78, v0
	s_cbranch_execz .LBB173_37
; %bb.36:
	ds_load_2addr_b64 v[3:6], v13 offset1:120
	s_waitcnt lgkmcnt(0)
	v_dual_add_f32 v3, v5, v3 :: v_dual_add_f32 v4, v6, v4
	ds_store_b64 v13, v[3:4]
.LBB173_37:
	;; [unrolled: 14-line block ×3, first 2 shown]
	s_or_b32 exec_lo, exec_lo, s1
	s_delay_alu instid0(SALU_CYCLE_1)
	s_mov_b32 s1, exec_lo
	s_waitcnt lgkmcnt(0)
	buffer_gl0_inv
                                        ; implicit-def: $vgpr3
	v_cmpx_gt_u32_e32 30, v0
; %bb.40:
	v_add_nc_u32_e32 v3, 30, v0
                                        ; kill: def $vgpr1 killed $sgpr0 killed $exec
	s_or_b32 s0, s0, exec_lo
                                        ; implicit-def: $vgpr2
; %bb.41:
	s_or_b32 exec_lo, exec_lo, s1
	v_mov_b32_e32 v4, v13
.LBB173_42:
	s_and_saveexec_b32 s1, s0
	s_cbranch_execnz .LBB173_45
; %bb.43:
	s_or_b32 exec_lo, exec_lo, s1
	v_cmp_gt_u32_e32 vcc_lo, 30, v0
	s_and_b32 exec_lo, exec_lo, vcc_lo
	s_cbranch_execnz .LBB173_46
.LBB173_44:
	s_nop 0
	s_sendmsg sendmsg(MSG_DEALLOC_VGPRS)
	s_endpgm
.LBB173_45:
	v_lshlrev_b32_e32 v3, 3, v3
	ds_load_2addr_b32 v[1:2], v4 offset1:1
	ds_load_b64 v[3:4], v3
	s_waitcnt lgkmcnt(0)
	v_dual_add_f32 v2, v4, v2 :: v_dual_add_f32 v1, v3, v1
	s_or_b32 exec_lo, exec_lo, s1
	v_cmp_gt_u32_e32 vcc_lo, 30, v0
	s_and_b32 exec_lo, exec_lo, vcc_lo
	s_cbranch_execz .LBB173_44
.LBB173_46:
	v_mul_f32_e64 v3, v2, -v12
	v_mul_f32_e32 v4, v2, v11
	v_cmp_eq_f32_e32 vcc_lo, 0, v9
	v_cmp_eq_f32_e64 s0, 0, v10
	s_mul_hi_u32 s1, s8, 0xf0
	v_fmac_f32_e32 v3, v11, v1
	v_fmac_f32_e32 v4, v12, v1
	s_mul_i32 s2, s8, 0xf0
	s_and_b32 s3, vcc_lo, s0
	s_mul_i32 s0, s9, 0xf0
	s_and_saveexec_b32 s4, s3
	s_delay_alu instid0(SALU_CYCLE_1)
	s_xor_b32 s3, exec_lo, s4
	s_cbranch_execz .LBB173_48
; %bb.47:
	v_lshlrev_b32_e32 v0, 3, v0
	s_add_i32 s5, s1, s0
	s_add_u32 s4, s10, s2
	s_addc_u32 s5, s11, s5
                                        ; implicit-def: $vgpr9
                                        ; implicit-def: $vgpr10
	global_store_b64 v0, v[3:4], s[4:5]
                                        ; implicit-def: $vgpr0
                                        ; implicit-def: $vgpr3
.LBB173_48:
	s_and_not1_saveexec_b32 s3, s3
	s_cbranch_execz .LBB173_44
; %bb.49:
	v_lshlrev_b32_e32 v2, 3, v0
	s_add_i32 s1, s1, s0
	s_add_u32 s0, s10, s2
	s_addc_u32 s1, s11, s1
	global_load_b64 v[0:1], v2, s[0:1]
	s_waitcnt vmcnt(0)
	v_fmac_f32_e32 v3, v9, v0
	v_fmac_f32_e32 v4, v10, v0
	s_delay_alu instid0(VALU_DEP_2) | instskip(NEXT) | instid1(VALU_DEP_2)
	v_fma_f32 v3, -v10, v1, v3
	v_fmac_f32_e32 v4, v9, v1
	global_store_b64 v2, v[3:4], s[0:1]
	s_nop 0
	s_sendmsg sendmsg(MSG_DEALLOC_VGPRS)
	s_endpgm
	.section	.rodata,"a",@progbits
	.p2align	6, 0x0
	.amdhsa_kernel _ZN9rocsparseL20bsrxmvn_17_32_kernelILj30E21rocsparse_complex_numIfEllS2_S2_S2_EEvT2_20rocsparse_direction_NS_24const_host_device_scalarIT0_EES3_PKS3_PKT1_SC_S9_PKT3_PKT4_S7_PT5_21rocsparse_index_base_b
		.amdhsa_group_segment_fixed_size 7200
		.amdhsa_private_segment_fixed_size 0
		.amdhsa_kernarg_size 104
		.amdhsa_user_sgpr_count 15
		.amdhsa_user_sgpr_dispatch_ptr 0
		.amdhsa_user_sgpr_queue_ptr 0
		.amdhsa_user_sgpr_kernarg_segment_ptr 1
		.amdhsa_user_sgpr_dispatch_id 0
		.amdhsa_user_sgpr_private_segment_size 0
		.amdhsa_wavefront_size32 1
		.amdhsa_uses_dynamic_stack 0
		.amdhsa_enable_private_segment 0
		.amdhsa_system_sgpr_workgroup_id_x 1
		.amdhsa_system_sgpr_workgroup_id_y 0
		.amdhsa_system_sgpr_workgroup_id_z 0
		.amdhsa_system_sgpr_workgroup_info 0
		.amdhsa_system_vgpr_workitem_id 0
		.amdhsa_next_free_vgpr 21
		.amdhsa_next_free_sgpr 20
		.amdhsa_reserve_vcc 1
		.amdhsa_float_round_mode_32 0
		.amdhsa_float_round_mode_16_64 0
		.amdhsa_float_denorm_mode_32 3
		.amdhsa_float_denorm_mode_16_64 3
		.amdhsa_dx10_clamp 1
		.amdhsa_ieee_mode 1
		.amdhsa_fp16_overflow 0
		.amdhsa_workgroup_processor_mode 1
		.amdhsa_memory_ordered 1
		.amdhsa_forward_progress 0
		.amdhsa_shared_vgpr_count 0
		.amdhsa_exception_fp_ieee_invalid_op 0
		.amdhsa_exception_fp_denorm_src 0
		.amdhsa_exception_fp_ieee_div_zero 0
		.amdhsa_exception_fp_ieee_overflow 0
		.amdhsa_exception_fp_ieee_underflow 0
		.amdhsa_exception_fp_ieee_inexact 0
		.amdhsa_exception_int_div_zero 0
	.end_amdhsa_kernel
	.section	.text._ZN9rocsparseL20bsrxmvn_17_32_kernelILj30E21rocsparse_complex_numIfEllS2_S2_S2_EEvT2_20rocsparse_direction_NS_24const_host_device_scalarIT0_EES3_PKS3_PKT1_SC_S9_PKT3_PKT4_S7_PT5_21rocsparse_index_base_b,"axG",@progbits,_ZN9rocsparseL20bsrxmvn_17_32_kernelILj30E21rocsparse_complex_numIfEllS2_S2_S2_EEvT2_20rocsparse_direction_NS_24const_host_device_scalarIT0_EES3_PKS3_PKT1_SC_S9_PKT3_PKT4_S7_PT5_21rocsparse_index_base_b,comdat
.Lfunc_end173:
	.size	_ZN9rocsparseL20bsrxmvn_17_32_kernelILj30E21rocsparse_complex_numIfEllS2_S2_S2_EEvT2_20rocsparse_direction_NS_24const_host_device_scalarIT0_EES3_PKS3_PKT1_SC_S9_PKT3_PKT4_S7_PT5_21rocsparse_index_base_b, .Lfunc_end173-_ZN9rocsparseL20bsrxmvn_17_32_kernelILj30E21rocsparse_complex_numIfEllS2_S2_S2_EEvT2_20rocsparse_direction_NS_24const_host_device_scalarIT0_EES3_PKS3_PKT1_SC_S9_PKT3_PKT4_S7_PT5_21rocsparse_index_base_b
                                        ; -- End function
	.section	.AMDGPU.csdata,"",@progbits
; Kernel info:
; codeLenInByte = 1904
; NumSgprs: 22
; NumVgprs: 21
; ScratchSize: 0
; MemoryBound: 0
; FloatMode: 240
; IeeeMode: 1
; LDSByteSize: 7200 bytes/workgroup (compile time only)
; SGPRBlocks: 2
; VGPRBlocks: 2
; NumSGPRsForWavesPerEU: 22
; NumVGPRsForWavesPerEU: 21
; Occupancy: 15
; WaveLimiterHint : 1
; COMPUTE_PGM_RSRC2:SCRATCH_EN: 0
; COMPUTE_PGM_RSRC2:USER_SGPR: 15
; COMPUTE_PGM_RSRC2:TRAP_HANDLER: 0
; COMPUTE_PGM_RSRC2:TGID_X_EN: 1
; COMPUTE_PGM_RSRC2:TGID_Y_EN: 0
; COMPUTE_PGM_RSRC2:TGID_Z_EN: 0
; COMPUTE_PGM_RSRC2:TIDIG_COMP_CNT: 0
	.section	.text._ZN9rocsparseL20bsrxmvn_17_32_kernelILj31E21rocsparse_complex_numIfEllS2_S2_S2_EEvT2_20rocsparse_direction_NS_24const_host_device_scalarIT0_EES3_PKS3_PKT1_SC_S9_PKT3_PKT4_S7_PT5_21rocsparse_index_base_b,"axG",@progbits,_ZN9rocsparseL20bsrxmvn_17_32_kernelILj31E21rocsparse_complex_numIfEllS2_S2_S2_EEvT2_20rocsparse_direction_NS_24const_host_device_scalarIT0_EES3_PKS3_PKT1_SC_S9_PKT3_PKT4_S7_PT5_21rocsparse_index_base_b,comdat
	.globl	_ZN9rocsparseL20bsrxmvn_17_32_kernelILj31E21rocsparse_complex_numIfEllS2_S2_S2_EEvT2_20rocsparse_direction_NS_24const_host_device_scalarIT0_EES3_PKS3_PKT1_SC_S9_PKT3_PKT4_S7_PT5_21rocsparse_index_base_b ; -- Begin function _ZN9rocsparseL20bsrxmvn_17_32_kernelILj31E21rocsparse_complex_numIfEllS2_S2_S2_EEvT2_20rocsparse_direction_NS_24const_host_device_scalarIT0_EES3_PKS3_PKT1_SC_S9_PKT3_PKT4_S7_PT5_21rocsparse_index_base_b
	.p2align	8
	.type	_ZN9rocsparseL20bsrxmvn_17_32_kernelILj31E21rocsparse_complex_numIfEllS2_S2_S2_EEvT2_20rocsparse_direction_NS_24const_host_device_scalarIT0_EES3_PKS3_PKT1_SC_S9_PKT3_PKT4_S7_PT5_21rocsparse_index_base_b,@function
_ZN9rocsparseL20bsrxmvn_17_32_kernelILj31E21rocsparse_complex_numIfEllS2_S2_S2_EEvT2_20rocsparse_direction_NS_24const_host_device_scalarIT0_EES3_PKS3_PKT1_SC_S9_PKT3_PKT4_S7_PT5_21rocsparse_index_base_b: ; @_ZN9rocsparseL20bsrxmvn_17_32_kernelILj31E21rocsparse_complex_numIfEllS2_S2_S2_EEvT2_20rocsparse_direction_NS_24const_host_device_scalarIT0_EES3_PKS3_PKT1_SC_S9_PKT3_PKT4_S7_PT5_21rocsparse_index_base_b
; %bb.0:
	s_clause 0x2
	s_load_b64 s[12:13], s[0:1], 0x60
	s_load_b64 s[4:5], s[0:1], 0x10
	;; [unrolled: 1-line block ×3, first 2 shown]
	s_mov_b32 s8, s15
	s_waitcnt lgkmcnt(0)
	s_bitcmp1_b32 s13, 0
	v_mov_b32_e32 v11, s4
	s_cselect_b32 s6, -1, 0
	s_delay_alu instid0(SALU_CYCLE_1)
	s_and_b32 vcc_lo, exec_lo, s6
	s_xor_b32 s6, s6, -1
	s_cbranch_vccz .LBB174_15
; %bb.1:
	v_cndmask_b32_e64 v1, 0, 1, s6
	v_mov_b32_e32 v12, s5
	s_and_not1_b32 vcc_lo, exec_lo, s6
	s_cbranch_vccz .LBB174_16
.LBB174_2:
	s_delay_alu instid0(VALU_DEP_2)
	v_cmp_ne_u32_e32 vcc_lo, 1, v1
	v_mov_b32_e32 v9, s2
	s_cbranch_vccz .LBB174_17
.LBB174_3:
	v_cmp_ne_u32_e32 vcc_lo, 1, v1
	v_mov_b32_e32 v10, s3
	s_cbranch_vccnz .LBB174_5
.LBB174_4:
	v_dual_mov_b32 v1, s2 :: v_dual_mov_b32 v2, s3
	flat_load_b32 v10, v[1:2] offset:4
.LBB174_5:
	s_waitcnt vmcnt(0) lgkmcnt(0)
	v_cmp_eq_f32_e32 vcc_lo, 0, v11
	v_cmp_eq_f32_e64 s2, 0, v12
	s_delay_alu instid0(VALU_DEP_1)
	s_and_b32 s4, vcc_lo, s2
	s_mov_b32 s2, -1
	s_and_saveexec_b32 s3, s4
; %bb.6:
	v_cmp_neq_f32_e32 vcc_lo, 1.0, v9
	v_cmp_neq_f32_e64 s2, 0, v10
	s_delay_alu instid0(VALU_DEP_1) | instskip(NEXT) | instid1(SALU_CYCLE_1)
	s_or_b32 s2, vcc_lo, s2
	s_or_not1_b32 s2, s2, exec_lo
; %bb.7:
	s_or_b32 exec_lo, exec_lo, s3
	s_and_saveexec_b32 s3, s2
	s_cbranch_execz .LBB174_44
; %bb.8:
	s_clause 0x1
	s_load_b128 s[4:7], s[0:1], 0x20
	s_load_b64 s[10:11], s[0:1], 0x30
	s_mov_b32 s9, 0
	s_waitcnt lgkmcnt(0)
	s_cmp_eq_u64 s[4:5], 0
	s_cbranch_scc1 .LBB174_10
; %bb.9:
	s_lshl_b64 s[2:3], s[8:9], 3
	s_delay_alu instid0(SALU_CYCLE_1)
	s_add_u32 s2, s4, s2
	s_addc_u32 s3, s5, s3
	s_load_b64 s[2:3], s[2:3], 0x0
	s_waitcnt lgkmcnt(0)
	s_sub_u32 s8, s2, s12
	s_subb_u32 s9, s3, 0
.LBB174_10:
	s_load_b32 s3, s[0:1], 0x8
	v_mul_u32_u24_e32 v1, 0x843, v0
	v_dual_mov_b32 v2, 0 :: v_dual_lshlrev_b32 v13, 3, v0
	s_delay_alu instid0(VALU_DEP_2) | instskip(NEXT) | instid1(VALU_DEP_1)
	v_lshrrev_b32_e32 v3, 16, v1
	v_mul_lo_u16 v1, v3, 31
	s_delay_alu instid0(VALU_DEP_1)
	v_sub_nc_u16 v14, v0, v1
	v_mov_b32_e32 v1, 0
	s_waitcnt lgkmcnt(0)
	s_cmp_eq_u32 s3, 1
	s_cselect_b32 s2, -1, 0
	s_cmp_lg_u32 s3, 1
	s_cselect_b32 s13, -1, 0
	s_lshl_b64 s[4:5], s[8:9], 3
	s_delay_alu instid0(SALU_CYCLE_1)
	s_add_u32 s6, s6, s4
	s_addc_u32 s7, s7, s5
	s_add_u32 s3, s6, 8
	s_addc_u32 s14, s7, 0
	;; [unrolled: 2-line block ×3, first 2 shown]
	s_cmp_eq_u64 s[10:11], 0
	s_load_b64 s[10:11], s[0:1], 0x58
	s_cselect_b32 s5, s14, s5
	s_cselect_b32 s4, s3, s4
	s_load_b64 s[14:15], s[6:7], 0x0
	s_load_b64 s[16:17], s[4:5], 0x0
	s_waitcnt lgkmcnt(0)
	v_cmp_ge_i64_e64 s3, s[14:15], s[16:17]
	s_delay_alu instid0(VALU_DEP_1)
	s_and_b32 vcc_lo, exec_lo, s3
	s_cbranch_vccnz .LBB174_18
; %bb.11:
	v_dual_mov_b32 v2, 0 :: v_dual_and_b32 v1, 0xffff, v3
	v_cmp_gt_u32_e32 vcc_lo, 0x3c1, v0
	s_clause 0x1
	s_load_b128 s[4:7], s[0:1], 0x38
	s_load_b64 s[18:19], s[0:1], 0x48
	s_sub_u32 s0, s16, s12
	v_subrev_nc_u32_e32 v3, 31, v1
	v_and_b32_e32 v4, 0xffff, v14
	s_subb_u32 s1, s17, 0
	s_delay_alu instid0(VALU_DEP_2) | instskip(SKIP_1) | instid1(VALU_DEP_2)
	v_cndmask_b32_e32 v1, v3, v1, vcc_lo
	v_cmp_lt_u32_e32 vcc_lo, 0x3c0, v0
	v_cndmask_b32_e64 v1, v4, v1, s2
	v_cndmask_b32_e64 v15, 0, 1, vcc_lo
	s_sub_u32 s2, s14, s12
	s_subb_u32 s3, s15, 0
	s_mul_hi_u32 s16, s2, 0x1e08
	v_lshlrev_b64 v[3:4], 3, v[1:2]
	v_add_co_u32 v1, s14, s14, v15
	s_delay_alu instid0(VALU_DEP_1) | instskip(SKIP_2) | instid1(VALU_DEP_3)
	v_add_co_ci_u32_e64 v6, null, s15, 0, s14
	s_mul_i32 s17, s3, 0x1e08
	s_waitcnt lgkmcnt(0)
	v_add_co_u32 v3, vcc_lo, s18, v3
	v_add_co_ci_u32_e32 v4, vcc_lo, s19, v4, vcc_lo
	v_sub_co_u32 v5, vcc_lo, v1, s12
	v_subrev_co_ci_u32_e32 v6, vcc_lo, 0, v6, vcc_lo
	v_lshlrev_b32_e32 v1, 3, v0
	s_mul_i32 s14, s2, 0x1e08
	s_add_i32 s16, s16, s17
	s_delay_alu instid0(VALU_DEP_2) | instskip(SKIP_3) | instid1(VALU_DEP_1)
	v_lshlrev_b64 v[7:8], 3, v[5:6]
	s_add_u32 s6, s6, s14
	s_addc_u32 s7, s7, s16
	v_add_co_u32 v5, s6, s6, v1
	v_add_co_ci_u32_e64 v6, null, s7, 0, s6
	s_delay_alu instid0(VALU_DEP_3)
	v_add_co_u32 v7, vcc_lo, s4, v7
	v_add_co_ci_u32_e32 v8, vcc_lo, s5, v8, vcc_lo
	v_mov_b32_e32 v1, v2
	s_set_inst_prefetch_distance 0x1
	s_branch .LBB174_13
	.p2align	6
.LBB174_12:                             ;   in Loop: Header=BB174_13 Depth=1
	s_or_b32 exec_lo, exec_lo, s4
	s_add_u32 s2, s2, 1
	s_addc_u32 s3, s3, 0
	v_add_co_u32 v7, vcc_lo, v7, 8
	v_cmp_lt_i64_e64 s4, s[2:3], s[0:1]
	v_add_co_ci_u32_e32 v8, vcc_lo, 0, v8, vcc_lo
	s_delay_alu instid0(VALU_DEP_2)
	s_and_b32 vcc_lo, exec_lo, s4
	s_cbranch_vccz .LBB174_18
.LBB174_13:                             ; =>This Inner Loop Header: Depth=1
	v_add_co_u32 v16, s4, v15, s2
	s_delay_alu instid0(VALU_DEP_1) | instskip(SKIP_1) | instid1(VALU_DEP_1)
	v_add_co_ci_u32_e64 v17, null, 0, s3, s4
	s_mov_b32 s4, exec_lo
	v_cmpx_gt_i64_e64 s[0:1], v[16:17]
	s_cbranch_execz .LBB174_12
; %bb.14:                               ;   in Loop: Header=BB174_13 Depth=1
	global_load_b64 v[16:17], v[7:8], off
	s_waitcnt vmcnt(0)
	v_sub_co_u32 v18, vcc_lo, v16, s12
	v_subrev_co_ci_u32_e32 v20, vcc_lo, 0, v17, vcc_lo
	s_delay_alu instid0(VALU_DEP_2) | instskip(NEXT) | instid1(VALU_DEP_1)
	v_mad_u64_u32 v[16:17], null, 0xf8, v18, v[3:4]
	v_mad_u64_u32 v[18:19], null, 0xf8, v20, v[17:18]
	s_delay_alu instid0(VALU_DEP_1)
	v_mov_b32_e32 v17, v18
	global_load_b64 v[18:19], v[5:6], off
	global_load_b64 v[16:17], v[16:17], off
	v_add_co_u32 v5, vcc_lo, 0x1e08, v5
	v_add_co_ci_u32_e32 v6, vcc_lo, 0, v6, vcc_lo
	s_waitcnt vmcnt(0)
	v_fmac_f32_e32 v2, v19, v16
	v_fmac_f32_e32 v1, v18, v16
	s_delay_alu instid0(VALU_DEP_2) | instskip(NEXT) | instid1(VALU_DEP_2)
	v_fmac_f32_e32 v2, v18, v17
	v_fma_f32 v1, -v19, v17, v1
	s_branch .LBB174_12
.LBB174_15:
	v_dual_mov_b32 v1, s4 :: v_dual_mov_b32 v2, s5
	flat_load_b32 v11, v[1:2]
	v_cndmask_b32_e64 v1, 0, 1, s6
	v_mov_b32_e32 v12, s5
	s_and_not1_b32 vcc_lo, exec_lo, s6
	s_cbranch_vccnz .LBB174_2
.LBB174_16:
	v_dual_mov_b32 v2, s4 :: v_dual_mov_b32 v3, s5
	flat_load_b32 v12, v[2:3] offset:4
	v_cmp_ne_u32_e32 vcc_lo, 1, v1
	v_mov_b32_e32 v9, s2
	s_cbranch_vccnz .LBB174_3
.LBB174_17:
	v_dual_mov_b32 v2, s2 :: v_dual_mov_b32 v3, s3
	flat_load_b32 v9, v[2:3]
	v_cmp_ne_u32_e32 vcc_lo, 1, v1
	v_mov_b32_e32 v10, s3
	s_cbranch_vccz .LBB174_4
	s_branch .LBB174_5
.LBB174_18:
	s_set_inst_prefetch_distance 0x2
	s_and_b32 vcc_lo, exec_lo, s13
	ds_store_b64 v13, v[1:2]
	s_waitcnt lgkmcnt(0)
	s_barrier
	buffer_gl0_inv
	s_cbranch_vccz .LBB174_30
; %bb.19:
	s_mov_b32 s0, exec_lo
	v_cmpx_gt_u16_e32 15, v14
	s_cbranch_execz .LBB174_21
; %bb.20:
	ds_load_2addr_b64 v[3:6], v13 offset1:16
	s_waitcnt lgkmcnt(0)
	v_dual_add_f32 v3, v5, v3 :: v_dual_add_f32 v4, v6, v4
	ds_store_b64 v13, v[3:4]
.LBB174_21:
	s_or_b32 exec_lo, exec_lo, s0
	s_delay_alu instid0(SALU_CYCLE_1)
	s_mov_b32 s0, exec_lo
	s_waitcnt lgkmcnt(0)
	s_barrier
	buffer_gl0_inv
	v_cmpx_gt_u16_e32 8, v14
	s_cbranch_execz .LBB174_23
; %bb.22:
	ds_load_2addr_b64 v[3:6], v13 offset1:8
	s_waitcnt lgkmcnt(0)
	v_dual_add_f32 v3, v5, v3 :: v_dual_add_f32 v4, v6, v4
	ds_store_b64 v13, v[3:4]
.LBB174_23:
	s_or_b32 exec_lo, exec_lo, s0
	s_delay_alu instid0(SALU_CYCLE_1)
	s_mov_b32 s0, exec_lo
	s_waitcnt lgkmcnt(0)
	s_barrier
	buffer_gl0_inv
	;; [unrolled: 14-line block ×3, first 2 shown]
	v_cmpx_gt_u16_e32 2, v14
	s_cbranch_execz .LBB174_27
; %bb.26:
	ds_load_2addr_b64 v[3:6], v13 offset1:2
	s_waitcnt lgkmcnt(0)
	v_dual_add_f32 v3, v5, v3 :: v_dual_add_f32 v4, v6, v4
	ds_store_b64 v13, v[3:4]
.LBB174_27:
	s_or_b32 exec_lo, exec_lo, s0
	s_mov_b32 s1, 0
	s_mov_b32 s0, 0
	s_mov_b32 s2, exec_lo
	s_waitcnt lgkmcnt(0)
	s_barrier
	buffer_gl0_inv
                                        ; implicit-def: $vgpr4
                                        ; implicit-def: $vgpr3
	v_cmpx_gt_u32_e32 31, v0
	s_xor_b32 s2, exec_lo, s2
; %bb.28:
	v_mul_u32_u24_e32 v4, 31, v0
	v_mad_u32_u24 v3, v0, 31, 1
	s_mov_b32 s0, exec_lo
	s_delay_alu instid0(VALU_DEP_2)
	v_lshlrev_b32_e32 v4, 3, v4
; %bb.29:
	s_or_b32 exec_lo, exec_lo, s2
	s_delay_alu instid0(SALU_CYCLE_1)
	s_and_b32 vcc_lo, exec_lo, s1
	s_cbranch_vccnz .LBB174_31
	s_branch .LBB174_42
.LBB174_30:
	s_mov_b32 s0, 0
                                        ; implicit-def: $vgpr4
                                        ; implicit-def: $vgpr3
	s_cbranch_execz .LBB174_42
.LBB174_31:
	s_mov_b32 s1, exec_lo
	v_cmpx_gt_u32_e32 0x1d1, v0
	s_cbranch_execz .LBB174_33
; %bb.32:
	ds_load_b64 v[3:4], v13 offset:3968
	ds_load_b64 v[5:6], v13
	s_waitcnt lgkmcnt(0)
	v_dual_add_f32 v3, v3, v5 :: v_dual_add_f32 v4, v4, v6
	ds_store_b64 v13, v[3:4]
.LBB174_33:
	s_or_b32 exec_lo, exec_lo, s1
	s_delay_alu instid0(SALU_CYCLE_1)
	s_mov_b32 s1, exec_lo
	s_waitcnt lgkmcnt(0)
	s_barrier
	buffer_gl0_inv
	v_cmpx_gt_u32_e32 0xf8, v0
	s_cbranch_execz .LBB174_35
; %bb.34:
	ds_load_2addr_b64 v[3:6], v13 offset1:248
	s_waitcnt lgkmcnt(0)
	v_dual_add_f32 v3, v5, v3 :: v_dual_add_f32 v4, v6, v4
	ds_store_b64 v13, v[3:4]
.LBB174_35:
	s_or_b32 exec_lo, exec_lo, s1
	s_delay_alu instid0(SALU_CYCLE_1)
	s_mov_b32 s1, exec_lo
	s_waitcnt lgkmcnt(0)
	s_barrier
	buffer_gl0_inv
	v_cmpx_gt_u32_e32 0x7c, v0
	s_cbranch_execz .LBB174_37
; %bb.36:
	ds_load_2addr_b64 v[3:6], v13 offset1:124
	s_waitcnt lgkmcnt(0)
	v_dual_add_f32 v3, v5, v3 :: v_dual_add_f32 v4, v6, v4
	ds_store_b64 v13, v[3:4]
.LBB174_37:
	;; [unrolled: 14-line block ×3, first 2 shown]
	s_or_b32 exec_lo, exec_lo, s1
	s_delay_alu instid0(SALU_CYCLE_1)
	s_mov_b32 s1, exec_lo
	s_waitcnt lgkmcnt(0)
	buffer_gl0_inv
                                        ; implicit-def: $vgpr3
	v_cmpx_gt_u32_e32 31, v0
; %bb.40:
	v_add_nc_u32_e32 v3, 31, v0
                                        ; kill: def $vgpr1 killed $sgpr0 killed $exec
	s_or_b32 s0, s0, exec_lo
                                        ; implicit-def: $vgpr2
; %bb.41:
	s_or_b32 exec_lo, exec_lo, s1
	v_mov_b32_e32 v4, v13
.LBB174_42:
	s_and_saveexec_b32 s1, s0
	s_cbranch_execnz .LBB174_45
; %bb.43:
	s_or_b32 exec_lo, exec_lo, s1
	v_cmp_gt_u32_e32 vcc_lo, 31, v0
	s_and_b32 exec_lo, exec_lo, vcc_lo
	s_cbranch_execnz .LBB174_46
.LBB174_44:
	s_nop 0
	s_sendmsg sendmsg(MSG_DEALLOC_VGPRS)
	s_endpgm
.LBB174_45:
	v_lshlrev_b32_e32 v3, 3, v3
	ds_load_2addr_b32 v[1:2], v4 offset1:1
	ds_load_b64 v[3:4], v3
	s_waitcnt lgkmcnt(0)
	v_dual_add_f32 v2, v4, v2 :: v_dual_add_f32 v1, v3, v1
	s_or_b32 exec_lo, exec_lo, s1
	v_cmp_gt_u32_e32 vcc_lo, 31, v0
	s_and_b32 exec_lo, exec_lo, vcc_lo
	s_cbranch_execz .LBB174_44
.LBB174_46:
	v_mul_f32_e64 v3, v2, -v12
	v_mul_f32_e32 v4, v2, v11
	v_cmp_eq_f32_e32 vcc_lo, 0, v9
	v_cmp_eq_f32_e64 s0, 0, v10
	s_mul_hi_u32 s1, s8, 0xf8
	v_fmac_f32_e32 v3, v11, v1
	v_fmac_f32_e32 v4, v12, v1
	s_mul_i32 s2, s8, 0xf8
	s_and_b32 s3, vcc_lo, s0
	s_mul_i32 s0, s9, 0xf8
	s_and_saveexec_b32 s4, s3
	s_delay_alu instid0(SALU_CYCLE_1)
	s_xor_b32 s3, exec_lo, s4
	s_cbranch_execz .LBB174_48
; %bb.47:
	v_lshlrev_b32_e32 v0, 3, v0
	s_add_i32 s5, s1, s0
	s_add_u32 s4, s10, s2
	s_addc_u32 s5, s11, s5
                                        ; implicit-def: $vgpr9
                                        ; implicit-def: $vgpr10
	global_store_b64 v0, v[3:4], s[4:5]
                                        ; implicit-def: $vgpr0
                                        ; implicit-def: $vgpr3
.LBB174_48:
	s_and_not1_saveexec_b32 s3, s3
	s_cbranch_execz .LBB174_44
; %bb.49:
	v_lshlrev_b32_e32 v2, 3, v0
	s_add_i32 s1, s1, s0
	s_add_u32 s0, s10, s2
	s_addc_u32 s1, s11, s1
	global_load_b64 v[0:1], v2, s[0:1]
	s_waitcnt vmcnt(0)
	v_fmac_f32_e32 v3, v9, v0
	v_fmac_f32_e32 v4, v10, v0
	s_delay_alu instid0(VALU_DEP_2) | instskip(NEXT) | instid1(VALU_DEP_2)
	v_fma_f32 v3, -v10, v1, v3
	v_fmac_f32_e32 v4, v9, v1
	global_store_b64 v2, v[3:4], s[0:1]
	s_nop 0
	s_sendmsg sendmsg(MSG_DEALLOC_VGPRS)
	s_endpgm
	.section	.rodata,"a",@progbits
	.p2align	6, 0x0
	.amdhsa_kernel _ZN9rocsparseL20bsrxmvn_17_32_kernelILj31E21rocsparse_complex_numIfEllS2_S2_S2_EEvT2_20rocsparse_direction_NS_24const_host_device_scalarIT0_EES3_PKS3_PKT1_SC_S9_PKT3_PKT4_S7_PT5_21rocsparse_index_base_b
		.amdhsa_group_segment_fixed_size 7688
		.amdhsa_private_segment_fixed_size 0
		.amdhsa_kernarg_size 104
		.amdhsa_user_sgpr_count 15
		.amdhsa_user_sgpr_dispatch_ptr 0
		.amdhsa_user_sgpr_queue_ptr 0
		.amdhsa_user_sgpr_kernarg_segment_ptr 1
		.amdhsa_user_sgpr_dispatch_id 0
		.amdhsa_user_sgpr_private_segment_size 0
		.amdhsa_wavefront_size32 1
		.amdhsa_uses_dynamic_stack 0
		.amdhsa_enable_private_segment 0
		.amdhsa_system_sgpr_workgroup_id_x 1
		.amdhsa_system_sgpr_workgroup_id_y 0
		.amdhsa_system_sgpr_workgroup_id_z 0
		.amdhsa_system_sgpr_workgroup_info 0
		.amdhsa_system_vgpr_workitem_id 0
		.amdhsa_next_free_vgpr 21
		.amdhsa_next_free_sgpr 20
		.amdhsa_reserve_vcc 1
		.amdhsa_float_round_mode_32 0
		.amdhsa_float_round_mode_16_64 0
		.amdhsa_float_denorm_mode_32 3
		.amdhsa_float_denorm_mode_16_64 3
		.amdhsa_dx10_clamp 1
		.amdhsa_ieee_mode 1
		.amdhsa_fp16_overflow 0
		.amdhsa_workgroup_processor_mode 1
		.amdhsa_memory_ordered 1
		.amdhsa_forward_progress 0
		.amdhsa_shared_vgpr_count 0
		.amdhsa_exception_fp_ieee_invalid_op 0
		.amdhsa_exception_fp_denorm_src 0
		.amdhsa_exception_fp_ieee_div_zero 0
		.amdhsa_exception_fp_ieee_overflow 0
		.amdhsa_exception_fp_ieee_underflow 0
		.amdhsa_exception_fp_ieee_inexact 0
		.amdhsa_exception_int_div_zero 0
	.end_amdhsa_kernel
	.section	.text._ZN9rocsparseL20bsrxmvn_17_32_kernelILj31E21rocsparse_complex_numIfEllS2_S2_S2_EEvT2_20rocsparse_direction_NS_24const_host_device_scalarIT0_EES3_PKS3_PKT1_SC_S9_PKT3_PKT4_S7_PT5_21rocsparse_index_base_b,"axG",@progbits,_ZN9rocsparseL20bsrxmvn_17_32_kernelILj31E21rocsparse_complex_numIfEllS2_S2_S2_EEvT2_20rocsparse_direction_NS_24const_host_device_scalarIT0_EES3_PKS3_PKT1_SC_S9_PKT3_PKT4_S7_PT5_21rocsparse_index_base_b,comdat
.Lfunc_end174:
	.size	_ZN9rocsparseL20bsrxmvn_17_32_kernelILj31E21rocsparse_complex_numIfEllS2_S2_S2_EEvT2_20rocsparse_direction_NS_24const_host_device_scalarIT0_EES3_PKS3_PKT1_SC_S9_PKT3_PKT4_S7_PT5_21rocsparse_index_base_b, .Lfunc_end174-_ZN9rocsparseL20bsrxmvn_17_32_kernelILj31E21rocsparse_complex_numIfEllS2_S2_S2_EEvT2_20rocsparse_direction_NS_24const_host_device_scalarIT0_EES3_PKS3_PKT1_SC_S9_PKT3_PKT4_S7_PT5_21rocsparse_index_base_b
                                        ; -- End function
	.section	.AMDGPU.csdata,"",@progbits
; Kernel info:
; codeLenInByte = 1908
; NumSgprs: 22
; NumVgprs: 21
; ScratchSize: 0
; MemoryBound: 0
; FloatMode: 240
; IeeeMode: 1
; LDSByteSize: 7688 bytes/workgroup (compile time only)
; SGPRBlocks: 2
; VGPRBlocks: 2
; NumSGPRsForWavesPerEU: 22
; NumVGPRsForWavesPerEU: 21
; Occupancy: 16
; WaveLimiterHint : 1
; COMPUTE_PGM_RSRC2:SCRATCH_EN: 0
; COMPUTE_PGM_RSRC2:USER_SGPR: 15
; COMPUTE_PGM_RSRC2:TRAP_HANDLER: 0
; COMPUTE_PGM_RSRC2:TGID_X_EN: 1
; COMPUTE_PGM_RSRC2:TGID_Y_EN: 0
; COMPUTE_PGM_RSRC2:TGID_Z_EN: 0
; COMPUTE_PGM_RSRC2:TIDIG_COMP_CNT: 0
	.section	.text._ZN9rocsparseL20bsrxmvn_17_32_kernelILj32E21rocsparse_complex_numIfEllS2_S2_S2_EEvT2_20rocsparse_direction_NS_24const_host_device_scalarIT0_EES3_PKS3_PKT1_SC_S9_PKT3_PKT4_S7_PT5_21rocsparse_index_base_b,"axG",@progbits,_ZN9rocsparseL20bsrxmvn_17_32_kernelILj32E21rocsparse_complex_numIfEllS2_S2_S2_EEvT2_20rocsparse_direction_NS_24const_host_device_scalarIT0_EES3_PKS3_PKT1_SC_S9_PKT3_PKT4_S7_PT5_21rocsparse_index_base_b,comdat
	.globl	_ZN9rocsparseL20bsrxmvn_17_32_kernelILj32E21rocsparse_complex_numIfEllS2_S2_S2_EEvT2_20rocsparse_direction_NS_24const_host_device_scalarIT0_EES3_PKS3_PKT1_SC_S9_PKT3_PKT4_S7_PT5_21rocsparse_index_base_b ; -- Begin function _ZN9rocsparseL20bsrxmvn_17_32_kernelILj32E21rocsparse_complex_numIfEllS2_S2_S2_EEvT2_20rocsparse_direction_NS_24const_host_device_scalarIT0_EES3_PKS3_PKT1_SC_S9_PKT3_PKT4_S7_PT5_21rocsparse_index_base_b
	.p2align	8
	.type	_ZN9rocsparseL20bsrxmvn_17_32_kernelILj32E21rocsparse_complex_numIfEllS2_S2_S2_EEvT2_20rocsparse_direction_NS_24const_host_device_scalarIT0_EES3_PKS3_PKT1_SC_S9_PKT3_PKT4_S7_PT5_21rocsparse_index_base_b,@function
_ZN9rocsparseL20bsrxmvn_17_32_kernelILj32E21rocsparse_complex_numIfEllS2_S2_S2_EEvT2_20rocsparse_direction_NS_24const_host_device_scalarIT0_EES3_PKS3_PKT1_SC_S9_PKT3_PKT4_S7_PT5_21rocsparse_index_base_b: ; @_ZN9rocsparseL20bsrxmvn_17_32_kernelILj32E21rocsparse_complex_numIfEllS2_S2_S2_EEvT2_20rocsparse_direction_NS_24const_host_device_scalarIT0_EES3_PKS3_PKT1_SC_S9_PKT3_PKT4_S7_PT5_21rocsparse_index_base_b
; %bb.0:
	s_clause 0x2
	s_load_b64 s[12:13], s[0:1], 0x60
	s_load_b64 s[4:5], s[0:1], 0x10
	;; [unrolled: 1-line block ×3, first 2 shown]
	s_mov_b32 s8, s15
	s_waitcnt lgkmcnt(0)
	s_bitcmp1_b32 s13, 0
	v_mov_b32_e32 v7, s4
	s_cselect_b32 s6, -1, 0
	s_delay_alu instid0(SALU_CYCLE_1)
	s_and_b32 vcc_lo, exec_lo, s6
	s_xor_b32 s6, s6, -1
	s_cbranch_vccz .LBB175_25
; %bb.1:
	v_cndmask_b32_e64 v1, 0, 1, s6
	v_mov_b32_e32 v8, s5
	s_and_not1_b32 vcc_lo, exec_lo, s6
	s_cbranch_vccz .LBB175_26
.LBB175_2:
	s_delay_alu instid0(VALU_DEP_2)
	v_cmp_ne_u32_e32 vcc_lo, 1, v1
	v_mov_b32_e32 v5, s2
	s_cbranch_vccz .LBB175_27
.LBB175_3:
	v_cmp_ne_u32_e32 vcc_lo, 1, v1
	v_mov_b32_e32 v6, s3
	s_cbranch_vccnz .LBB175_5
.LBB175_4:
	v_dual_mov_b32 v1, s2 :: v_dual_mov_b32 v2, s3
	flat_load_b32 v6, v[1:2] offset:4
.LBB175_5:
	s_waitcnt vmcnt(0) lgkmcnt(0)
	v_cmp_eq_f32_e32 vcc_lo, 0, v7
	v_cmp_eq_f32_e64 s2, 0, v8
	s_delay_alu instid0(VALU_DEP_1)
	s_and_b32 s4, vcc_lo, s2
	s_mov_b32 s2, -1
	s_and_saveexec_b32 s3, s4
; %bb.6:
	v_cmp_neq_f32_e32 vcc_lo, 1.0, v5
	v_cmp_neq_f32_e64 s2, 0, v6
	s_delay_alu instid0(VALU_DEP_1) | instskip(NEXT) | instid1(SALU_CYCLE_1)
	s_or_b32 s2, vcc_lo, s2
	s_or_not1_b32 s2, s2, exec_lo
; %bb.7:
	s_or_b32 exec_lo, exec_lo, s3
	s_and_saveexec_b32 s3, s2
	s_cbranch_execz .LBB175_42
; %bb.8:
	s_clause 0x1
	s_load_b128 s[4:7], s[0:1], 0x20
	s_load_b64 s[10:11], s[0:1], 0x30
	s_mov_b32 s9, 0
	s_delay_alu instid0(SALU_CYCLE_1)
	s_mov_b32 s13, s9
	s_waitcnt lgkmcnt(0)
	s_cmp_eq_u64 s[4:5], 0
	s_cbranch_scc1 .LBB175_10
; %bb.9:
	s_lshl_b64 s[2:3], s[8:9], 3
	s_delay_alu instid0(SALU_CYCLE_1)
	s_add_u32 s2, s4, s2
	s_addc_u32 s3, s5, s3
	s_load_b64 s[2:3], s[2:3], 0x0
	s_waitcnt lgkmcnt(0)
	s_sub_u32 s8, s2, s12
	s_subb_u32 s9, s3, 0
.LBB175_10:
	s_load_b32 s3, s[0:1], 0x8
	v_dual_mov_b32 v2, 0 :: v_dual_and_b32 v9, 31, v0
	v_mov_b32_e32 v1, 0
	s_waitcnt lgkmcnt(0)
	s_cmp_eq_u32 s3, 1
	s_cselect_b32 s2, -1, 0
	s_cmp_lg_u32 s3, 1
	s_cselect_b32 s18, -1, 0
	s_lshl_b64 s[4:5], s[8:9], 3
	s_delay_alu instid0(SALU_CYCLE_1)
	s_add_u32 s6, s6, s4
	s_addc_u32 s7, s7, s5
	s_add_u32 s3, s6, 8
	s_addc_u32 s14, s7, 0
	;; [unrolled: 2-line block ×3, first 2 shown]
	s_cmp_eq_u64 s[10:11], 0
	s_cselect_b32 s5, s14, s5
	s_cselect_b32 s4, s3, s4
	s_load_b64 s[14:15], s[6:7], 0x0
	s_load_b64 s[16:17], s[4:5], 0x0
	;; [unrolled: 1-line block ×3, first 2 shown]
	s_waitcnt lgkmcnt(0)
	v_cmp_ge_i64_e64 s3, s[14:15], s[16:17]
	s_delay_alu instid0(VALU_DEP_1)
	s_and_b32 vcc_lo, exec_lo, s3
	s_cbranch_vccnz .LBB175_13
; %bb.11:
	s_clause 0x1
	s_load_b64 s[20:21], s[0:1], 0x48
	s_load_b128 s[4:7], s[0:1], 0x38
	v_lshrrev_b32_e32 v1, 5, v0
	s_sub_u32 s0, s16, s12
	s_subb_u32 s1, s17, 0
	s_delay_alu instid0(VALU_DEP_1)
	v_cndmask_b32_e64 v1, v9, v1, s2
	s_sub_u32 s2, s14, s12
	s_subb_u32 s3, s15, 0
	v_mov_b32_e32 v2, 0
	s_lshl_b64 s[16:17], s[2:3], 13
	v_lshlrev_b32_e32 v1, 3, v1
	v_lshl_or_b32 v3, v0, 3, s16
	v_mov_b32_e32 v4, s17
	s_lshl_b64 s[14:15], s[14:15], 3
	s_lshl_b64 s[22:23], s[12:13], 3
	s_waitcnt lgkmcnt(0)
	v_add_co_u32 v10, s13, s20, v1
	v_mov_b32_e32 v1, v2
	v_add_co_u32 v3, vcc_lo, s6, v3
	v_add_co_ci_u32_e64 v11, null, s21, 0, s13
	v_add_co_ci_u32_e32 v4, vcc_lo, s7, v4, vcc_lo
	s_sub_u32 s6, s14, s22
	s_subb_u32 s7, s15, s23
	s_add_u32 s4, s4, s6
	s_addc_u32 s5, s5, s7
	.p2align	6
.LBB175_12:                             ; =>This Inner Loop Header: Depth=1
	s_load_b64 s[6:7], s[4:5], 0x0
	s_waitcnt lgkmcnt(0)
	s_sub_u32 s6, s6, s12
	s_subb_u32 s7, s7, 0
	s_delay_alu instid0(SALU_CYCLE_1)
	s_lshl_b64 s[6:7], s[6:7], 8
	s_add_u32 s2, s2, 1
	v_add_co_u32 v12, vcc_lo, v10, s6
	v_add_co_ci_u32_e32 v13, vcc_lo, s7, v11, vcc_lo
	s_addc_u32 s3, s3, 0
	s_add_u32 s4, s4, 8
	global_load_b64 v[14:15], v[3:4], off
	global_load_b64 v[12:13], v[12:13], off
	v_cmp_lt_i64_e64 s6, s[2:3], s[0:1]
	v_add_co_u32 v3, vcc_lo, 0x2000, v3
	v_add_co_ci_u32_e32 v4, vcc_lo, 0, v4, vcc_lo
	s_addc_u32 s5, s5, 0
	s_delay_alu instid0(VALU_DEP_3) | instskip(SKIP_3) | instid1(VALU_DEP_2)
	s_and_b32 vcc_lo, exec_lo, s6
	s_waitcnt vmcnt(0)
	v_fmac_f32_e32 v1, v14, v12
	v_fmac_f32_e32 v2, v15, v12
	v_fma_f32 v1, -v15, v13, v1
	s_delay_alu instid0(VALU_DEP_2)
	v_fmac_f32_e32 v2, v14, v13
	s_cbranch_vccnz .LBB175_12
.LBB175_13:
	v_lshlrev_b32_e32 v3, 3, v0
	s_and_b32 vcc_lo, exec_lo, s18
	ds_store_b64 v3, v[1:2]
	s_waitcnt lgkmcnt(0)
	s_barrier
	buffer_gl0_inv
	s_cbranch_vccz .LBB175_28
; %bb.14:
	s_mov_b32 s0, exec_lo
	v_cmpx_gt_u32_e32 16, v9
	s_cbranch_execz .LBB175_16
; %bb.15:
	ds_load_2addr_b64 v[10:13], v3 offset1:16
	s_waitcnt lgkmcnt(0)
	v_dual_add_f32 v10, v12, v10 :: v_dual_add_f32 v11, v13, v11
	ds_store_b64 v3, v[10:11]
.LBB175_16:
	s_or_b32 exec_lo, exec_lo, s0
	s_delay_alu instid0(SALU_CYCLE_1)
	s_mov_b32 s0, exec_lo
	s_waitcnt lgkmcnt(0)
	s_barrier
	buffer_gl0_inv
	v_cmpx_gt_u32_e32 8, v9
	s_cbranch_execz .LBB175_18
; %bb.17:
	ds_load_2addr_b64 v[10:13], v3 offset1:8
	s_waitcnt lgkmcnt(0)
	v_dual_add_f32 v10, v12, v10 :: v_dual_add_f32 v11, v13, v11
	ds_store_b64 v3, v[10:11]
.LBB175_18:
	s_or_b32 exec_lo, exec_lo, s0
	s_delay_alu instid0(SALU_CYCLE_1)
	s_mov_b32 s0, exec_lo
	s_waitcnt lgkmcnt(0)
	s_barrier
	buffer_gl0_inv
	;; [unrolled: 14-line block ×3, first 2 shown]
	v_cmpx_gt_u32_e32 2, v9
	s_cbranch_execz .LBB175_22
; %bb.21:
	ds_load_2addr_b64 v[9:12], v3 offset1:2
	s_waitcnt lgkmcnt(0)
	v_dual_add_f32 v9, v11, v9 :: v_dual_add_f32 v10, v12, v10
	ds_store_b64 v3, v[9:10]
.LBB175_22:
	s_or_b32 exec_lo, exec_lo, s0
	s_mov_b32 s1, 0
	s_mov_b32 s0, 0
	s_mov_b32 s2, exec_lo
	s_waitcnt lgkmcnt(0)
	s_barrier
	buffer_gl0_inv
                                        ; implicit-def: $vgpr9
                                        ; implicit-def: $vgpr4
	v_cmpx_gt_u32_e32 32, v0
	s_xor_b32 s2, exec_lo, s2
; %bb.23:
	v_mad_u32_u24 v9, 0xf8, v0, v3
	v_lshl_or_b32 v4, v0, 5, 1
	s_mov_b32 s0, exec_lo
; %bb.24:
	s_or_b32 exec_lo, exec_lo, s2
	s_delay_alu instid0(SALU_CYCLE_1)
	s_and_b32 vcc_lo, exec_lo, s1
	s_cbranch_vccnz .LBB175_29
	s_branch .LBB175_40
.LBB175_25:
	v_dual_mov_b32 v1, s4 :: v_dual_mov_b32 v2, s5
	flat_load_b32 v7, v[1:2]
	v_cndmask_b32_e64 v1, 0, 1, s6
	v_mov_b32_e32 v8, s5
	s_and_not1_b32 vcc_lo, exec_lo, s6
	s_cbranch_vccnz .LBB175_2
.LBB175_26:
	v_dual_mov_b32 v2, s4 :: v_dual_mov_b32 v3, s5
	flat_load_b32 v8, v[2:3] offset:4
	v_cmp_ne_u32_e32 vcc_lo, 1, v1
	v_mov_b32_e32 v5, s2
	s_cbranch_vccnz .LBB175_3
.LBB175_27:
	v_dual_mov_b32 v2, s2 :: v_dual_mov_b32 v3, s3
	flat_load_b32 v5, v[2:3]
	v_cmp_ne_u32_e32 vcc_lo, 1, v1
	v_mov_b32_e32 v6, s3
	s_cbranch_vccz .LBB175_4
	s_branch .LBB175_5
.LBB175_28:
	s_mov_b32 s0, 0
                                        ; implicit-def: $vgpr9
                                        ; implicit-def: $vgpr4
	s_cbranch_execz .LBB175_40
.LBB175_29:
	s_mov_b32 s1, exec_lo
	v_cmpx_gt_u32_e32 0x200, v0
	s_cbranch_execz .LBB175_31
; %bb.30:
	ds_load_2addr_stride64_b64 v[9:12], v3 offset1:8
	s_waitcnt lgkmcnt(0)
	v_dual_add_f32 v9, v11, v9 :: v_dual_add_f32 v10, v12, v10
	ds_store_b64 v3, v[9:10]
.LBB175_31:
	s_or_b32 exec_lo, exec_lo, s1
	s_delay_alu instid0(SALU_CYCLE_1)
	s_mov_b32 s1, exec_lo
	s_waitcnt lgkmcnt(0)
	s_barrier
	buffer_gl0_inv
	v_cmpx_gt_u32_e32 0x100, v0
	s_cbranch_execz .LBB175_33
; %bb.32:
	ds_load_2addr_stride64_b64 v[9:12], v3 offset1:4
	s_waitcnt lgkmcnt(0)
	v_dual_add_f32 v9, v11, v9 :: v_dual_add_f32 v10, v12, v10
	ds_store_b64 v3, v[9:10]
.LBB175_33:
	s_or_b32 exec_lo, exec_lo, s1
	s_delay_alu instid0(SALU_CYCLE_1)
	s_mov_b32 s1, exec_lo
	s_waitcnt lgkmcnt(0)
	s_barrier
	buffer_gl0_inv
	;; [unrolled: 14-line block ×3, first 2 shown]
	v_cmpx_gt_u32_e32 64, v0
	s_cbranch_execz .LBB175_37
; %bb.36:
	ds_load_2addr_stride64_b64 v[9:12], v3 offset1:1
	s_waitcnt lgkmcnt(0)
	v_dual_add_f32 v9, v11, v9 :: v_dual_add_f32 v10, v12, v10
	ds_store_b64 v3, v[9:10]
.LBB175_37:
	s_or_b32 exec_lo, exec_lo, s1
	s_delay_alu instid0(SALU_CYCLE_1)
	s_mov_b32 s1, exec_lo
	s_waitcnt lgkmcnt(0)
	buffer_gl0_inv
                                        ; implicit-def: $vgpr4
	v_cmpx_gt_u32_e32 32, v0
; %bb.38:
	v_or_b32_e32 v4, 32, v0
	s_or_b32 s0, s0, exec_lo
                                        ; implicit-def: $vgpr2
; %bb.39:
	s_or_b32 exec_lo, exec_lo, s1
	v_mov_b32_e32 v9, v3
.LBB175_40:
	s_and_saveexec_b32 s1, s0
	s_cbranch_execnz .LBB175_43
; %bb.41:
	s_or_b32 exec_lo, exec_lo, s1
	v_cmp_gt_u32_e32 vcc_lo, 32, v0
	s_and_b32 exec_lo, exec_lo, vcc_lo
	s_cbranch_execnz .LBB175_44
.LBB175_42:
	s_nop 0
	s_sendmsg sendmsg(MSG_DEALLOC_VGPRS)
	s_endpgm
.LBB175_43:
	v_lshlrev_b32_e32 v3, 3, v4
	ds_load_2addr_b32 v[1:2], v9 offset1:1
	ds_load_b64 v[3:4], v3
	s_waitcnt lgkmcnt(0)
	v_dual_add_f32 v2, v4, v2 :: v_dual_add_f32 v1, v3, v1
	s_or_b32 exec_lo, exec_lo, s1
	v_cmp_gt_u32_e32 vcc_lo, 32, v0
	s_and_b32 exec_lo, exec_lo, vcc_lo
	s_cbranch_execz .LBB175_42
.LBB175_44:
	v_mul_f32_e64 v3, v2, -v8
	v_mul_f32_e32 v4, v2, v7
	v_cmp_eq_f32_e32 vcc_lo, 0, v5
	v_cmp_eq_f32_e64 s0, 0, v6
	s_delay_alu instid0(VALU_DEP_4) | instskip(NEXT) | instid1(VALU_DEP_4)
	v_fmac_f32_e32 v3, v7, v1
	v_fmac_f32_e32 v4, v8, v1
	s_delay_alu instid0(VALU_DEP_3) | instskip(NEXT) | instid1(SALU_CYCLE_1)
	s_and_b32 s0, vcc_lo, s0
	s_and_saveexec_b32 s1, s0
	s_delay_alu instid0(SALU_CYCLE_1)
	s_xor_b32 s0, exec_lo, s1
	s_cbranch_execz .LBB175_46
; %bb.45:
	s_lshl_b64 s[2:3], s[8:9], 8
	v_lshlrev_b32_e32 v0, 3, v0
	s_add_u32 s2, s10, s2
	s_addc_u32 s3, s11, s3
                                        ; implicit-def: $vgpr5
                                        ; implicit-def: $vgpr6
	global_store_b64 v0, v[3:4], s[2:3]
                                        ; implicit-def: $vgpr0
                                        ; implicit-def: $vgpr3
.LBB175_46:
	s_and_not1_saveexec_b32 s0, s0
	s_cbranch_execz .LBB175_42
; %bb.47:
	s_lshl_b64 s[0:1], s[8:9], 8
	v_lshlrev_b32_e32 v2, 3, v0
	s_add_u32 s0, s10, s0
	s_addc_u32 s1, s11, s1
	global_load_b64 v[0:1], v2, s[0:1]
	s_waitcnt vmcnt(0)
	v_fmac_f32_e32 v3, v5, v0
	v_fmac_f32_e32 v4, v6, v0
	s_delay_alu instid0(VALU_DEP_2) | instskip(NEXT) | instid1(VALU_DEP_2)
	v_fma_f32 v3, -v6, v1, v3
	v_fmac_f32_e32 v4, v5, v1
	global_store_b64 v2, v[3:4], s[0:1]
	s_nop 0
	s_sendmsg sendmsg(MSG_DEALLOC_VGPRS)
	s_endpgm
	.section	.rodata,"a",@progbits
	.p2align	6, 0x0
	.amdhsa_kernel _ZN9rocsparseL20bsrxmvn_17_32_kernelILj32E21rocsparse_complex_numIfEllS2_S2_S2_EEvT2_20rocsparse_direction_NS_24const_host_device_scalarIT0_EES3_PKS3_PKT1_SC_S9_PKT3_PKT4_S7_PT5_21rocsparse_index_base_b
		.amdhsa_group_segment_fixed_size 8192
		.amdhsa_private_segment_fixed_size 0
		.amdhsa_kernarg_size 104
		.amdhsa_user_sgpr_count 15
		.amdhsa_user_sgpr_dispatch_ptr 0
		.amdhsa_user_sgpr_queue_ptr 0
		.amdhsa_user_sgpr_kernarg_segment_ptr 1
		.amdhsa_user_sgpr_dispatch_id 0
		.amdhsa_user_sgpr_private_segment_size 0
		.amdhsa_wavefront_size32 1
		.amdhsa_uses_dynamic_stack 0
		.amdhsa_enable_private_segment 0
		.amdhsa_system_sgpr_workgroup_id_x 1
		.amdhsa_system_sgpr_workgroup_id_y 0
		.amdhsa_system_sgpr_workgroup_id_z 0
		.amdhsa_system_sgpr_workgroup_info 0
		.amdhsa_system_vgpr_workitem_id 0
		.amdhsa_next_free_vgpr 16
		.amdhsa_next_free_sgpr 24
		.amdhsa_reserve_vcc 1
		.amdhsa_float_round_mode_32 0
		.amdhsa_float_round_mode_16_64 0
		.amdhsa_float_denorm_mode_32 3
		.amdhsa_float_denorm_mode_16_64 3
		.amdhsa_dx10_clamp 1
		.amdhsa_ieee_mode 1
		.amdhsa_fp16_overflow 0
		.amdhsa_workgroup_processor_mode 1
		.amdhsa_memory_ordered 1
		.amdhsa_forward_progress 0
		.amdhsa_shared_vgpr_count 0
		.amdhsa_exception_fp_ieee_invalid_op 0
		.amdhsa_exception_fp_denorm_src 0
		.amdhsa_exception_fp_ieee_div_zero 0
		.amdhsa_exception_fp_ieee_overflow 0
		.amdhsa_exception_fp_ieee_underflow 0
		.amdhsa_exception_fp_ieee_inexact 0
		.amdhsa_exception_int_div_zero 0
	.end_amdhsa_kernel
	.section	.text._ZN9rocsparseL20bsrxmvn_17_32_kernelILj32E21rocsparse_complex_numIfEllS2_S2_S2_EEvT2_20rocsparse_direction_NS_24const_host_device_scalarIT0_EES3_PKS3_PKT1_SC_S9_PKT3_PKT4_S7_PT5_21rocsparse_index_base_b,"axG",@progbits,_ZN9rocsparseL20bsrxmvn_17_32_kernelILj32E21rocsparse_complex_numIfEllS2_S2_S2_EEvT2_20rocsparse_direction_NS_24const_host_device_scalarIT0_EES3_PKS3_PKT1_SC_S9_PKT3_PKT4_S7_PT5_21rocsparse_index_base_b,comdat
.Lfunc_end175:
	.size	_ZN9rocsparseL20bsrxmvn_17_32_kernelILj32E21rocsparse_complex_numIfEllS2_S2_S2_EEvT2_20rocsparse_direction_NS_24const_host_device_scalarIT0_EES3_PKS3_PKT1_SC_S9_PKT3_PKT4_S7_PT5_21rocsparse_index_base_b, .Lfunc_end175-_ZN9rocsparseL20bsrxmvn_17_32_kernelILj32E21rocsparse_complex_numIfEllS2_S2_S2_EEvT2_20rocsparse_direction_NS_24const_host_device_scalarIT0_EES3_PKS3_PKT1_SC_S9_PKT3_PKT4_S7_PT5_21rocsparse_index_base_b
                                        ; -- End function
	.section	.AMDGPU.csdata,"",@progbits
; Kernel info:
; codeLenInByte = 1672
; NumSgprs: 26
; NumVgprs: 16
; ScratchSize: 0
; MemoryBound: 0
; FloatMode: 240
; IeeeMode: 1
; LDSByteSize: 8192 bytes/workgroup (compile time only)
; SGPRBlocks: 3
; VGPRBlocks: 1
; NumSGPRsForWavesPerEU: 26
; NumVGPRsForWavesPerEU: 16
; Occupancy: 16
; WaveLimiterHint : 1
; COMPUTE_PGM_RSRC2:SCRATCH_EN: 0
; COMPUTE_PGM_RSRC2:USER_SGPR: 15
; COMPUTE_PGM_RSRC2:TRAP_HANDLER: 0
; COMPUTE_PGM_RSRC2:TGID_X_EN: 1
; COMPUTE_PGM_RSRC2:TGID_Y_EN: 0
; COMPUTE_PGM_RSRC2:TGID_Z_EN: 0
; COMPUTE_PGM_RSRC2:TIDIG_COMP_CNT: 0
	.section	.text._ZN9rocsparseL20bsrxmvn_17_32_kernelILj17E21rocsparse_complex_numIdEllS2_S2_S2_EEvT2_20rocsparse_direction_NS_24const_host_device_scalarIT0_EES3_PKS3_PKT1_SC_S9_PKT3_PKT4_S7_PT5_21rocsparse_index_base_b,"axG",@progbits,_ZN9rocsparseL20bsrxmvn_17_32_kernelILj17E21rocsparse_complex_numIdEllS2_S2_S2_EEvT2_20rocsparse_direction_NS_24const_host_device_scalarIT0_EES3_PKS3_PKT1_SC_S9_PKT3_PKT4_S7_PT5_21rocsparse_index_base_b,comdat
	.globl	_ZN9rocsparseL20bsrxmvn_17_32_kernelILj17E21rocsparse_complex_numIdEllS2_S2_S2_EEvT2_20rocsparse_direction_NS_24const_host_device_scalarIT0_EES3_PKS3_PKT1_SC_S9_PKT3_PKT4_S7_PT5_21rocsparse_index_base_b ; -- Begin function _ZN9rocsparseL20bsrxmvn_17_32_kernelILj17E21rocsparse_complex_numIdEllS2_S2_S2_EEvT2_20rocsparse_direction_NS_24const_host_device_scalarIT0_EES3_PKS3_PKT1_SC_S9_PKT3_PKT4_S7_PT5_21rocsparse_index_base_b
	.p2align	8
	.type	_ZN9rocsparseL20bsrxmvn_17_32_kernelILj17E21rocsparse_complex_numIdEllS2_S2_S2_EEvT2_20rocsparse_direction_NS_24const_host_device_scalarIT0_EES3_PKS3_PKT1_SC_S9_PKT3_PKT4_S7_PT5_21rocsparse_index_base_b,@function
_ZN9rocsparseL20bsrxmvn_17_32_kernelILj17E21rocsparse_complex_numIdEllS2_S2_S2_EEvT2_20rocsparse_direction_NS_24const_host_device_scalarIT0_EES3_PKS3_PKT1_SC_S9_PKT3_PKT4_S7_PT5_21rocsparse_index_base_b: ; @_ZN9rocsparseL20bsrxmvn_17_32_kernelILj17E21rocsparse_complex_numIdEllS2_S2_S2_EEvT2_20rocsparse_direction_NS_24const_host_device_scalarIT0_EES3_PKS3_PKT1_SC_S9_PKT3_PKT4_S7_PT5_21rocsparse_index_base_b
; %bb.0:
	s_mov_b32 s12, s15
	s_clause 0x1
	s_load_b64 s[14:15], s[2:3], 0x70
	s_load_b128 s[4:7], s[2:3], 0x10
	s_load_b64 s[16:17], s[0:1], 0x4
	s_mov_b64 s[0:1], src_shared_base
	v_and_b32_e32 v18, 0x3ff, v0
	s_load_b128 s[8:11], s[2:3], 0x58
	v_bfe_u32 v2, v0, 10, 10
	v_bfe_u32 v0, v0, 20, 10
	s_waitcnt lgkmcnt(0)
	s_bitcmp1_b32 s15, 0
	v_mov_b32_e32 v11, s7
	s_cselect_b32 s0, -1, 0
	v_mov_b32_e32 v10, s6
	s_and_b32 vcc_lo, s0, exec_lo
	s_cselect_b32 s13, s1, s5
	s_lshr_b32 s15, s16, 16
	s_xor_b32 s6, s0, -1
	s_mul_i32 s15, s15, s17
	v_mov_b32_e32 v5, s13
	v_mul_lo_u32 v1, s15, v18
	s_delay_alu instid0(VALU_DEP_1) | instskip(SKIP_1) | instid1(VALU_DEP_2)
	v_mad_u32_u24 v1, v2, s17, v1
	v_dual_mov_b32 v2, s8 :: v_dual_mov_b32 v3, s9
	v_add_lshl_u32 v6, v1, v0, 3
	v_dual_mov_b32 v0, s4 :: v_dual_mov_b32 v1, s5
	ds_store_b64 v6, v[0:1] offset:6936
	ds_store_b64 v6, v[2:3] offset:4624
	v_add_nc_u32_e32 v4, 0x1b18, v6
	v_add_nc_u32_e32 v0, 0x1210, v6
	s_delay_alu instid0(VALU_DEP_2)
	v_cndmask_b32_e64 v4, s4, v4, s0
	flat_load_b64 v[8:9], v[4:5]
	s_cbranch_vccnz .LBB176_2
; %bb.1:
	v_dual_mov_b32 v1, s4 :: v_dual_mov_b32 v2, s5
	flat_load_b64 v[10:11], v[1:2] offset:8
.LBB176_2:
	s_and_b32 s4, s0, exec_lo
	s_cselect_b32 s1, s1, s9
	v_cndmask_b32_e64 v0, s8, v0, s0
	v_dual_mov_b32 v1, s1 :: v_dual_mov_b32 v6, s10
	v_mov_b32_e32 v7, s11
	s_and_not1_b32 vcc_lo, exec_lo, s6
	flat_load_b64 v[4:5], v[0:1]
	s_cbranch_vccnz .LBB176_4
; %bb.3:
	v_dual_mov_b32 v0, s8 :: v_dual_mov_b32 v1, s9
	flat_load_b64 v[6:7], v[0:1] offset:8
.LBB176_4:
	s_waitcnt vmcnt(1) lgkmcnt(1)
	v_cmp_eq_f64_e32 vcc_lo, 0, v[8:9]
	v_cmp_eq_f64_e64 s0, 0, v[10:11]
	s_delay_alu instid0(VALU_DEP_1)
	s_and_b32 s4, vcc_lo, s0
	s_mov_b32 s0, -1
	s_and_saveexec_b32 s1, s4
	s_cbranch_execz .LBB176_6
; %bb.5:
	s_waitcnt vmcnt(0) lgkmcnt(0)
	v_cmp_neq_f64_e32 vcc_lo, 1.0, v[4:5]
	v_cmp_neq_f64_e64 s0, 0, v[6:7]
	s_delay_alu instid0(VALU_DEP_1) | instskip(NEXT) | instid1(SALU_CYCLE_1)
	s_or_b32 s0, vcc_lo, s0
	s_or_not1_b32 s0, s0, exec_lo
.LBB176_6:
	s_or_b32 exec_lo, exec_lo, s1
	s_and_saveexec_b32 s1, s0
	s_cbranch_execz .LBB176_43
; %bb.7:
	s_clause 0x1
	s_load_b128 s[4:7], s[2:3], 0x28
	s_load_b64 s[8:9], s[2:3], 0x38
	s_mov_b32 s13, 0
	s_waitcnt lgkmcnt(0)
	s_cmp_eq_u64 s[4:5], 0
	s_cbranch_scc1 .LBB176_9
; %bb.8:
	s_lshl_b64 s[0:1], s[12:13], 3
	s_delay_alu instid0(SALU_CYCLE_1)
	s_add_u32 s0, s4, s0
	s_addc_u32 s1, s5, s1
	s_load_b64 s[0:1], s[0:1], 0x0
	s_waitcnt lgkmcnt(0)
	s_sub_u32 s12, s0, s14
	s_subb_u32 s13, s1, 0
.LBB176_9:
	s_load_b32 s1, s[2:3], 0x8
	v_mul_u32_u24_e32 v0, 0xf10, v18
	v_dual_mov_b32 v2, 0 :: v_dual_lshlrev_b32 v19, 4, v18
	v_mov_b32_e32 v3, 0
	s_delay_alu instid0(VALU_DEP_3) | instskip(NEXT) | instid1(VALU_DEP_1)
	v_lshrrev_b32_e32 v12, 16, v0
	v_mul_lo_u16 v0, v12, 17
	s_delay_alu instid0(VALU_DEP_1) | instskip(NEXT) | instid1(VALU_DEP_4)
	v_sub_nc_u16 v20, v18, v0
	v_dual_mov_b32 v0, v2 :: v_dual_mov_b32 v1, v3
	s_waitcnt lgkmcnt(0)
	s_cmp_eq_u32 s1, 1
	s_cselect_b32 s0, -1, 0
	s_cmp_lg_u32 s1, 1
	s_cselect_b32 s1, -1, 0
	s_lshl_b64 s[4:5], s[12:13], 3
	s_delay_alu instid0(SALU_CYCLE_1)
	s_add_u32 s6, s6, s4
	s_addc_u32 s7, s7, s5
	s_add_u32 s10, s6, 8
	s_addc_u32 s11, s7, 0
	;; [unrolled: 2-line block ×3, first 2 shown]
	s_cmp_eq_u64 s[8:9], 0
	s_load_b64 s[8:9], s[2:3], 0x68
	s_cselect_b32 s5, s11, s5
	s_cselect_b32 s4, s10, s4
	s_load_b64 s[16:17], s[6:7], 0x0
	s_load_b64 s[10:11], s[4:5], 0x0
	s_waitcnt lgkmcnt(0)
	v_cmp_ge_i64_e64 s4, s[16:17], s[10:11]
	s_delay_alu instid0(VALU_DEP_1)
	s_and_b32 vcc_lo, exec_lo, s4
	s_cbranch_vccnz .LBB176_14
; %bb.10:
	v_mul_lo_u16 v0, v12, 31
	v_and_b32_e32 v1, 0xffff, v18
	s_clause 0x1
	s_load_b64 s[18:19], s[2:3], 0x50
	s_load_b128 s[4:7], s[2:3], 0x40
	s_sub_u32 s2, s10, s14
	v_and_b32_e32 v2, 0xffff, v20
	v_lshrrev_b16 v0, 9, v0
	v_mul_u32_u24_e32 v1, 0xe3, v1
	s_subb_u32 s3, s11, 0
	s_sub_u32 s10, s16, s14
	s_subb_u32 s11, s17, 0
	v_mul_lo_u16 v0, v0, 17
	v_lshrrev_b32_e32 v21, 16, v1
	s_mul_hi_u32 s15, s10, 0x1210
	s_mul_i32 s21, s11, 0x1210
	s_mul_i32 s20, s10, 0x1210
	v_sub_nc_u16 v0, v12, v0
	v_add_co_u32 v1, s16, s16, v21
	s_delay_alu instid0(VALU_DEP_1) | instskip(NEXT) | instid1(VALU_DEP_3)
	v_add_co_ci_u32_e64 v3, null, s17, 0, s16
	v_and_b32_e32 v0, 0xff, v0
	s_add_i32 s15, s15, s21
	s_delay_alu instid0(VALU_DEP_1) | instskip(SKIP_2) | instid1(VALU_DEP_3)
	v_cndmask_b32_e64 v2, v2, v0, s0
	v_sub_co_u32 v0, vcc_lo, v1, s14
	v_subrev_co_ci_u32_e32 v1, vcc_lo, 0, v3, vcc_lo
	v_lshlrev_b32_e32 v2, 4, v2
	s_waitcnt lgkmcnt(0)
	s_add_u32 s0, s6, s20
	s_addc_u32 s6, s7, s15
	v_lshlrev_b64 v[0:1], 3, v[0:1]
	v_add_co_u32 v14, s0, s0, v19
	v_add_co_u32 v12, s7, s18, v2
	v_mov_b32_e32 v2, 0
	v_mov_b32_e32 v3, 0
	v_add_co_u32 v16, vcc_lo, s4, v0
	v_add_co_ci_u32_e64 v13, null, s19, 0, s7
	v_add_co_ci_u32_e64 v15, null, s6, 0, s0
	v_add_co_ci_u32_e32 v17, vcc_lo, s5, v1, vcc_lo
	v_dual_mov_b32 v0, v2 :: v_dual_mov_b32 v1, v3
	s_set_inst_prefetch_distance 0x1
	s_branch .LBB176_12
	.p2align	6
.LBB176_11:                             ;   in Loop: Header=BB176_12 Depth=1
	s_or_b32 exec_lo, exec_lo, s0
	s_add_u32 s10, s10, 1
	s_addc_u32 s11, s11, 0
	v_add_co_u32 v16, vcc_lo, v16, 8
	v_cmp_lt_i64_e64 s0, s[10:11], s[2:3]
	v_add_co_ci_u32_e32 v17, vcc_lo, 0, v17, vcc_lo
	s_delay_alu instid0(VALU_DEP_2)
	s_and_b32 vcc_lo, exec_lo, s0
	s_cbranch_vccz .LBB176_14
.LBB176_12:                             ; =>This Inner Loop Header: Depth=1
	v_add_co_u32 v22, s0, v21, s10
	s_delay_alu instid0(VALU_DEP_1) | instskip(SKIP_1) | instid1(VALU_DEP_1)
	v_add_co_ci_u32_e64 v23, null, 0, s11, s0
	s_mov_b32 s0, exec_lo
	v_cmpx_gt_i64_e64 s[2:3], v[22:23]
	s_cbranch_execz .LBB176_11
; %bb.13:                               ;   in Loop: Header=BB176_12 Depth=1
	global_load_b64 v[22:23], v[16:17], off
	s_waitcnt vmcnt(0)
	v_sub_co_u32 v22, vcc_lo, v22, s14
	v_subrev_co_ci_u32_e32 v25, vcc_lo, 0, v23, vcc_lo
	s_delay_alu instid0(VALU_DEP_2) | instskip(NEXT) | instid1(VALU_DEP_1)
	v_mad_u64_u32 v[26:27], null, 0x110, v22, v[12:13]
	v_mov_b32_e32 v22, v27
	s_delay_alu instid0(VALU_DEP_1) | instskip(NEXT) | instid1(VALU_DEP_1)
	v_mad_u64_u32 v[23:24], null, 0x110, v25, v[22:23]
	v_mov_b32_e32 v27, v23
	global_load_b128 v[22:25], v[14:15], off
	global_load_b128 v[26:29], v[26:27], off
	v_add_co_u32 v14, vcc_lo, 0x1210, v14
	v_add_co_ci_u32_e32 v15, vcc_lo, 0, v15, vcc_lo
	s_waitcnt vmcnt(0)
	v_fma_f64 v[0:1], v[22:23], v[26:27], v[0:1]
	v_fma_f64 v[2:3], v[24:25], v[26:27], v[2:3]
	s_delay_alu instid0(VALU_DEP_2) | instskip(NEXT) | instid1(VALU_DEP_2)
	v_fma_f64 v[0:1], -v[24:25], v[28:29], v[0:1]
	v_fma_f64 v[2:3], v[22:23], v[28:29], v[2:3]
	s_branch .LBB176_11
.LBB176_14:
	s_set_inst_prefetch_distance 0x2
	s_and_b32 vcc_lo, exec_lo, s1
	ds_store_b128 v19, v[0:3]
	s_waitcnt vmcnt(0) lgkmcnt(0)
	s_barrier
	buffer_gl0_inv
	s_cbranch_vccz .LBB176_26
; %bb.15:
	s_mov_b32 s0, exec_lo
	v_cmpx_eq_u16_e32 0, v20
	s_cbranch_execz .LBB176_17
; %bb.16:
	ds_load_b128 v[12:15], v19 offset:256
	ds_load_b128 v[21:24], v19
	s_waitcnt lgkmcnt(0)
	v_add_f64 v[12:13], v[12:13], v[21:22]
	v_add_f64 v[14:15], v[14:15], v[23:24]
	ds_store_b128 v19, v[12:15]
.LBB176_17:
	s_or_b32 exec_lo, exec_lo, s0
	s_delay_alu instid0(SALU_CYCLE_1)
	s_mov_b32 s0, exec_lo
	s_waitcnt lgkmcnt(0)
	s_barrier
	buffer_gl0_inv
	v_cmpx_gt_u16_e32 8, v20
	s_cbranch_execz .LBB176_19
; %bb.18:
	ds_load_b128 v[12:15], v19 offset:128
	ds_load_b128 v[21:24], v19
	s_waitcnt lgkmcnt(0)
	v_add_f64 v[12:13], v[12:13], v[21:22]
	v_add_f64 v[14:15], v[14:15], v[23:24]
	ds_store_b128 v19, v[12:15]
.LBB176_19:
	s_or_b32 exec_lo, exec_lo, s0
	s_delay_alu instid0(SALU_CYCLE_1)
	s_mov_b32 s0, exec_lo
	s_waitcnt lgkmcnt(0)
	s_barrier
	buffer_gl0_inv
	v_cmpx_gt_u16_e32 4, v20
	;; [unrolled: 16-line block ×3, first 2 shown]
	s_cbranch_execz .LBB176_23
; %bb.22:
	ds_load_b128 v[12:15], v19
	ds_load_b128 v[20:23], v19 offset:32
	s_waitcnt lgkmcnt(0)
	v_add_f64 v[12:13], v[20:21], v[12:13]
	v_add_f64 v[14:15], v[22:23], v[14:15]
	ds_store_b128 v19, v[12:15]
.LBB176_23:
	s_or_b32 exec_lo, exec_lo, s0
	v_dual_mov_b32 v15, v3 :: v_dual_mov_b32 v14, v2
	v_dual_mov_b32 v13, v1 :: v_dual_mov_b32 v12, v0
	s_mov_b32 s0, exec_lo
	s_waitcnt lgkmcnt(0)
	s_barrier
	buffer_gl0_inv
	v_cmpx_gt_u32_e32 17, v18
	s_cbranch_execz .LBB176_25
; %bb.24:
	v_mul_u32_u24_e32 v12, 17, v18
	s_delay_alu instid0(VALU_DEP_1)
	v_lshlrev_b32_e32 v16, 4, v12
	ds_load_b128 v[12:15], v16
	ds_load_b128 v[20:23], v16 offset:16
	s_waitcnt lgkmcnt(0)
	v_add_f64 v[12:13], v[20:21], v[12:13]
	v_add_f64 v[14:15], v[22:23], v[14:15]
.LBB176_25:
	s_or_b32 exec_lo, exec_lo, s0
	v_cmp_gt_u32_e64 s0, 17, v18
	s_branch .LBB176_38
.LBB176_26:
                                        ; implicit-def: $vgpr14_vgpr15
                                        ; implicit-def: $vgpr12_vgpr13
	v_cmp_gt_u32_e64 s0, 17, v18
	s_cbranch_execz .LBB176_38
; %bb.27:
	s_delay_alu instid0(VALU_DEP_1)
	s_and_saveexec_b32 s1, s0
	s_cbranch_execz .LBB176_29
; %bb.28:
	ds_load_b128 v[12:15], v19 offset:4352
	ds_load_b128 v[20:23], v19
	s_waitcnt lgkmcnt(0)
	v_add_f64 v[12:13], v[12:13], v[20:21]
	v_add_f64 v[14:15], v[14:15], v[22:23]
	ds_store_b128 v19, v[12:15]
.LBB176_29:
	s_or_b32 exec_lo, exec_lo, s1
	s_delay_alu instid0(SALU_CYCLE_1)
	s_mov_b32 s1, exec_lo
	s_waitcnt lgkmcnt(0)
	s_barrier
	buffer_gl0_inv
	v_cmpx_gt_u32_e32 0x88, v18
	s_cbranch_execz .LBB176_31
; %bb.30:
	ds_load_b128 v[12:15], v19 offset:2176
	ds_load_b128 v[20:23], v19
	s_waitcnt lgkmcnt(0)
	v_add_f64 v[12:13], v[12:13], v[20:21]
	v_add_f64 v[14:15], v[14:15], v[22:23]
	ds_store_b128 v19, v[12:15]
.LBB176_31:
	s_or_b32 exec_lo, exec_lo, s1
	s_delay_alu instid0(SALU_CYCLE_1)
	s_mov_b32 s1, exec_lo
	s_waitcnt lgkmcnt(0)
	s_barrier
	buffer_gl0_inv
	v_cmpx_gt_u32_e32 0x44, v18
	;; [unrolled: 16-line block ×3, first 2 shown]
	s_cbranch_execz .LBB176_35
; %bb.34:
	ds_load_b128 v[12:15], v19 offset:544
	ds_load_b128 v[20:23], v19
	s_waitcnt lgkmcnt(0)
	v_add_f64 v[12:13], v[12:13], v[20:21]
	v_add_f64 v[14:15], v[14:15], v[22:23]
	ds_store_b128 v19, v[12:15]
.LBB176_35:
	s_or_b32 exec_lo, exec_lo, s1
	s_waitcnt lgkmcnt(0)
	buffer_gl0_inv
	s_and_saveexec_b32 s1, s0
	s_cbranch_execz .LBB176_37
; %bb.36:
	ds_load_b128 v[0:3], v19 offset:272
	ds_load_b128 v[12:15], v19
	s_waitcnt lgkmcnt(0)
	v_add_f64 v[0:1], v[0:1], v[12:13]
	v_add_f64 v[2:3], v[2:3], v[14:15]
.LBB176_37:
	s_or_b32 exec_lo, exec_lo, s1
	s_delay_alu instid0(VALU_DEP_1) | instskip(NEXT) | instid1(VALU_DEP_3)
	v_dual_mov_b32 v15, v3 :: v_dual_mov_b32 v14, v2
	v_dual_mov_b32 v13, v1 :: v_dual_mov_b32 v12, v0
.LBB176_38:
	v_cmp_gt_u32_e32 vcc_lo, 17, v18
	s_and_b32 exec_lo, exec_lo, vcc_lo
	s_cbranch_execz .LBB176_43
; %bb.39:
	s_delay_alu instid0(VALU_DEP_3)
	v_mul_f64 v[0:1], v[14:15], -v[10:11]
	v_mul_f64 v[2:3], v[8:9], v[14:15]
	v_cmp_eq_f64_e32 vcc_lo, 0, v[4:5]
	v_cmp_eq_f64_e64 s0, 0, v[6:7]
	s_mul_hi_u32 s1, s12, 0x110
	s_mul_i32 s2, s12, 0x110
	s_delay_alu instid0(VALU_DEP_4) | instskip(NEXT) | instid1(VALU_DEP_4)
	v_fma_f64 v[0:1], v[8:9], v[12:13], v[0:1]
	v_fma_f64 v[2:3], v[10:11], v[12:13], v[2:3]
	s_delay_alu instid0(VALU_DEP_3) | instskip(SKIP_2) | instid1(SALU_CYCLE_1)
	s_and_b32 s3, vcc_lo, s0
	s_mul_i32 s0, s13, 0x110
	s_and_saveexec_b32 s4, s3
	s_xor_b32 s3, exec_lo, s4
	s_cbranch_execz .LBB176_41
; %bb.40:
	s_add_i32 s5, s1, s0
	s_add_u32 s4, s8, s2
	s_addc_u32 s5, s9, s5
                                        ; implicit-def: $vgpr4_vgpr5
                                        ; implicit-def: $vgpr6_vgpr7
	global_store_b128 v19, v[0:3], s[4:5]
                                        ; implicit-def: $vgpr19
                                        ; implicit-def: $vgpr0_vgpr1
.LBB176_41:
	s_and_not1_saveexec_b32 s3, s3
	s_cbranch_execz .LBB176_43
; %bb.42:
	s_add_i32 s1, s1, s0
	s_add_u32 s0, s8, s2
	s_addc_u32 s1, s9, s1
	global_load_b128 v[8:11], v19, s[0:1]
	s_waitcnt vmcnt(0)
	v_fma_f64 v[0:1], v[4:5], v[8:9], v[0:1]
	v_fma_f64 v[2:3], v[6:7], v[8:9], v[2:3]
	s_delay_alu instid0(VALU_DEP_2) | instskip(NEXT) | instid1(VALU_DEP_2)
	v_fma_f64 v[0:1], -v[6:7], v[10:11], v[0:1]
	v_fma_f64 v[2:3], v[4:5], v[10:11], v[2:3]
	global_store_b128 v19, v[0:3], s[0:1]
.LBB176_43:
	s_nop 0
	s_sendmsg sendmsg(MSG_DEALLOC_VGPRS)
	s_endpgm
	.section	.rodata,"a",@progbits
	.p2align	6, 0x0
	.amdhsa_kernel _ZN9rocsparseL20bsrxmvn_17_32_kernelILj17E21rocsparse_complex_numIdEllS2_S2_S2_EEvT2_20rocsparse_direction_NS_24const_host_device_scalarIT0_EES3_PKS3_PKT1_SC_S9_PKT3_PKT4_S7_PT5_21rocsparse_index_base_b
		.amdhsa_group_segment_fixed_size 9248
		.amdhsa_private_segment_fixed_size 0
		.amdhsa_kernarg_size 120
		.amdhsa_user_sgpr_count 15
		.amdhsa_user_sgpr_dispatch_ptr 1
		.amdhsa_user_sgpr_queue_ptr 0
		.amdhsa_user_sgpr_kernarg_segment_ptr 1
		.amdhsa_user_sgpr_dispatch_id 0
		.amdhsa_user_sgpr_private_segment_size 0
		.amdhsa_wavefront_size32 1
		.amdhsa_uses_dynamic_stack 0
		.amdhsa_enable_private_segment 0
		.amdhsa_system_sgpr_workgroup_id_x 1
		.amdhsa_system_sgpr_workgroup_id_y 0
		.amdhsa_system_sgpr_workgroup_id_z 0
		.amdhsa_system_sgpr_workgroup_info 0
		.amdhsa_system_vgpr_workitem_id 2
		.amdhsa_next_free_vgpr 30
		.amdhsa_next_free_sgpr 22
		.amdhsa_reserve_vcc 1
		.amdhsa_float_round_mode_32 0
		.amdhsa_float_round_mode_16_64 0
		.amdhsa_float_denorm_mode_32 3
		.amdhsa_float_denorm_mode_16_64 3
		.amdhsa_dx10_clamp 1
		.amdhsa_ieee_mode 1
		.amdhsa_fp16_overflow 0
		.amdhsa_workgroup_processor_mode 1
		.amdhsa_memory_ordered 1
		.amdhsa_forward_progress 0
		.amdhsa_shared_vgpr_count 0
		.amdhsa_exception_fp_ieee_invalid_op 0
		.amdhsa_exception_fp_denorm_src 0
		.amdhsa_exception_fp_ieee_div_zero 0
		.amdhsa_exception_fp_ieee_overflow 0
		.amdhsa_exception_fp_ieee_underflow 0
		.amdhsa_exception_fp_ieee_inexact 0
		.amdhsa_exception_int_div_zero 0
	.end_amdhsa_kernel
	.section	.text._ZN9rocsparseL20bsrxmvn_17_32_kernelILj17E21rocsparse_complex_numIdEllS2_S2_S2_EEvT2_20rocsparse_direction_NS_24const_host_device_scalarIT0_EES3_PKS3_PKT1_SC_S9_PKT3_PKT4_S7_PT5_21rocsparse_index_base_b,"axG",@progbits,_ZN9rocsparseL20bsrxmvn_17_32_kernelILj17E21rocsparse_complex_numIdEllS2_S2_S2_EEvT2_20rocsparse_direction_NS_24const_host_device_scalarIT0_EES3_PKS3_PKT1_SC_S9_PKT3_PKT4_S7_PT5_21rocsparse_index_base_b,comdat
.Lfunc_end176:
	.size	_ZN9rocsparseL20bsrxmvn_17_32_kernelILj17E21rocsparse_complex_numIdEllS2_S2_S2_EEvT2_20rocsparse_direction_NS_24const_host_device_scalarIT0_EES3_PKS3_PKT1_SC_S9_PKT3_PKT4_S7_PT5_21rocsparse_index_base_b, .Lfunc_end176-_ZN9rocsparseL20bsrxmvn_17_32_kernelILj17E21rocsparse_complex_numIdEllS2_S2_S2_EEvT2_20rocsparse_direction_NS_24const_host_device_scalarIT0_EES3_PKS3_PKT1_SC_S9_PKT3_PKT4_S7_PT5_21rocsparse_index_base_b
                                        ; -- End function
	.section	.AMDGPU.csdata,"",@progbits
; Kernel info:
; codeLenInByte = 2160
; NumSgprs: 24
; NumVgprs: 30
; ScratchSize: 0
; MemoryBound: 1
; FloatMode: 240
; IeeeMode: 1
; LDSByteSize: 9248 bytes/workgroup (compile time only)
; SGPRBlocks: 2
; VGPRBlocks: 3
; NumSGPRsForWavesPerEU: 24
; NumVGPRsForWavesPerEU: 30
; Occupancy: 15
; WaveLimiterHint : 1
; COMPUTE_PGM_RSRC2:SCRATCH_EN: 0
; COMPUTE_PGM_RSRC2:USER_SGPR: 15
; COMPUTE_PGM_RSRC2:TRAP_HANDLER: 0
; COMPUTE_PGM_RSRC2:TGID_X_EN: 1
; COMPUTE_PGM_RSRC2:TGID_Y_EN: 0
; COMPUTE_PGM_RSRC2:TGID_Z_EN: 0
; COMPUTE_PGM_RSRC2:TIDIG_COMP_CNT: 2
	.section	.text._ZN9rocsparseL20bsrxmvn_17_32_kernelILj18E21rocsparse_complex_numIdEllS2_S2_S2_EEvT2_20rocsparse_direction_NS_24const_host_device_scalarIT0_EES3_PKS3_PKT1_SC_S9_PKT3_PKT4_S7_PT5_21rocsparse_index_base_b,"axG",@progbits,_ZN9rocsparseL20bsrxmvn_17_32_kernelILj18E21rocsparse_complex_numIdEllS2_S2_S2_EEvT2_20rocsparse_direction_NS_24const_host_device_scalarIT0_EES3_PKS3_PKT1_SC_S9_PKT3_PKT4_S7_PT5_21rocsparse_index_base_b,comdat
	.globl	_ZN9rocsparseL20bsrxmvn_17_32_kernelILj18E21rocsparse_complex_numIdEllS2_S2_S2_EEvT2_20rocsparse_direction_NS_24const_host_device_scalarIT0_EES3_PKS3_PKT1_SC_S9_PKT3_PKT4_S7_PT5_21rocsparse_index_base_b ; -- Begin function _ZN9rocsparseL20bsrxmvn_17_32_kernelILj18E21rocsparse_complex_numIdEllS2_S2_S2_EEvT2_20rocsparse_direction_NS_24const_host_device_scalarIT0_EES3_PKS3_PKT1_SC_S9_PKT3_PKT4_S7_PT5_21rocsparse_index_base_b
	.p2align	8
	.type	_ZN9rocsparseL20bsrxmvn_17_32_kernelILj18E21rocsparse_complex_numIdEllS2_S2_S2_EEvT2_20rocsparse_direction_NS_24const_host_device_scalarIT0_EES3_PKS3_PKT1_SC_S9_PKT3_PKT4_S7_PT5_21rocsparse_index_base_b,@function
_ZN9rocsparseL20bsrxmvn_17_32_kernelILj18E21rocsparse_complex_numIdEllS2_S2_S2_EEvT2_20rocsparse_direction_NS_24const_host_device_scalarIT0_EES3_PKS3_PKT1_SC_S9_PKT3_PKT4_S7_PT5_21rocsparse_index_base_b: ; @_ZN9rocsparseL20bsrxmvn_17_32_kernelILj18E21rocsparse_complex_numIdEllS2_S2_S2_EEvT2_20rocsparse_direction_NS_24const_host_device_scalarIT0_EES3_PKS3_PKT1_SC_S9_PKT3_PKT4_S7_PT5_21rocsparse_index_base_b
; %bb.0:
	s_mov_b32 s12, s15
	s_clause 0x1
	s_load_b64 s[14:15], s[2:3], 0x70
	s_load_b128 s[4:7], s[2:3], 0x10
	s_load_b64 s[16:17], s[0:1], 0x4
	s_mov_b64 s[0:1], src_shared_base
	v_and_b32_e32 v18, 0x3ff, v0
	s_load_b128 s[8:11], s[2:3], 0x58
	v_bfe_u32 v2, v0, 10, 10
	v_bfe_u32 v0, v0, 20, 10
	s_waitcnt lgkmcnt(0)
	s_bitcmp1_b32 s15, 0
	v_mov_b32_e32 v11, s7
	s_cselect_b32 s0, -1, 0
	v_mov_b32_e32 v10, s6
	s_and_b32 vcc_lo, s0, exec_lo
	s_cselect_b32 s13, s1, s5
	s_lshr_b32 s15, s16, 16
	s_xor_b32 s6, s0, -1
	s_mul_i32 s15, s15, s17
	v_mov_b32_e32 v5, s13
	v_mul_lo_u32 v1, s15, v18
	s_delay_alu instid0(VALU_DEP_1) | instskip(SKIP_1) | instid1(VALU_DEP_2)
	v_mad_u32_u24 v1, v2, s17, v1
	v_dual_mov_b32 v2, s8 :: v_dual_mov_b32 v3, s9
	v_add_lshl_u32 v6, v1, v0, 3
	v_dual_mov_b32 v0, s4 :: v_dual_mov_b32 v1, s5
	ds_store_b64 v6, v[0:1] offset:7776
	ds_store_b64 v6, v[2:3] offset:5184
	v_add_nc_u32_e32 v4, 0x1e60, v6
	v_add_nc_u32_e32 v0, 0x1440, v6
	s_delay_alu instid0(VALU_DEP_2)
	v_cndmask_b32_e64 v4, s4, v4, s0
	flat_load_b64 v[8:9], v[4:5]
	s_cbranch_vccnz .LBB177_2
; %bb.1:
	v_dual_mov_b32 v1, s4 :: v_dual_mov_b32 v2, s5
	flat_load_b64 v[10:11], v[1:2] offset:8
.LBB177_2:
	s_and_b32 s4, s0, exec_lo
	s_cselect_b32 s1, s1, s9
	v_cndmask_b32_e64 v0, s8, v0, s0
	v_dual_mov_b32 v1, s1 :: v_dual_mov_b32 v6, s10
	v_mov_b32_e32 v7, s11
	s_and_not1_b32 vcc_lo, exec_lo, s6
	flat_load_b64 v[4:5], v[0:1]
	s_cbranch_vccnz .LBB177_4
; %bb.3:
	v_dual_mov_b32 v0, s8 :: v_dual_mov_b32 v1, s9
	flat_load_b64 v[6:7], v[0:1] offset:8
.LBB177_4:
	s_waitcnt vmcnt(1) lgkmcnt(1)
	v_cmp_eq_f64_e32 vcc_lo, 0, v[8:9]
	v_cmp_eq_f64_e64 s0, 0, v[10:11]
	s_delay_alu instid0(VALU_DEP_1)
	s_and_b32 s4, vcc_lo, s0
	s_mov_b32 s0, -1
	s_and_saveexec_b32 s1, s4
	s_cbranch_execz .LBB177_6
; %bb.5:
	s_waitcnt vmcnt(0) lgkmcnt(0)
	v_cmp_neq_f64_e32 vcc_lo, 1.0, v[4:5]
	v_cmp_neq_f64_e64 s0, 0, v[6:7]
	s_delay_alu instid0(VALU_DEP_1) | instskip(NEXT) | instid1(SALU_CYCLE_1)
	s_or_b32 s0, vcc_lo, s0
	s_or_not1_b32 s0, s0, exec_lo
.LBB177_6:
	s_or_b32 exec_lo, exec_lo, s1
	s_and_saveexec_b32 s1, s0
	s_cbranch_execz .LBB177_43
; %bb.7:
	s_clause 0x1
	s_load_b128 s[4:7], s[2:3], 0x28
	s_load_b64 s[8:9], s[2:3], 0x38
	s_mov_b32 s13, 0
	s_waitcnt lgkmcnt(0)
	s_cmp_eq_u64 s[4:5], 0
	s_cbranch_scc1 .LBB177_9
; %bb.8:
	s_lshl_b64 s[0:1], s[12:13], 3
	s_delay_alu instid0(SALU_CYCLE_1)
	s_add_u32 s0, s4, s0
	s_addc_u32 s1, s5, s1
	s_load_b64 s[0:1], s[0:1], 0x0
	s_waitcnt lgkmcnt(0)
	s_sub_u32 s12, s0, s14
	s_subb_u32 s13, s1, 0
.LBB177_9:
	s_load_b32 s1, s[2:3], 0x8
	v_mul_u32_u24_e32 v0, 0xe39, v18
	v_dual_mov_b32 v2, 0 :: v_dual_lshlrev_b32 v19, 4, v18
	v_mov_b32_e32 v3, 0
	s_delay_alu instid0(VALU_DEP_3) | instskip(NEXT) | instid1(VALU_DEP_1)
	v_lshrrev_b32_e32 v12, 16, v0
	v_mul_lo_u16 v0, v12, 18
	s_delay_alu instid0(VALU_DEP_1) | instskip(NEXT) | instid1(VALU_DEP_4)
	v_sub_nc_u16 v20, v18, v0
	v_dual_mov_b32 v0, v2 :: v_dual_mov_b32 v1, v3
	s_waitcnt lgkmcnt(0)
	s_cmp_eq_u32 s1, 1
	s_cselect_b32 s0, -1, 0
	s_cmp_lg_u32 s1, 1
	s_cselect_b32 s1, -1, 0
	s_lshl_b64 s[4:5], s[12:13], 3
	s_delay_alu instid0(SALU_CYCLE_1)
	s_add_u32 s6, s6, s4
	s_addc_u32 s7, s7, s5
	s_add_u32 s10, s6, 8
	s_addc_u32 s11, s7, 0
	s_add_u32 s4, s8, s4
	s_addc_u32 s5, s9, s5
	s_cmp_eq_u64 s[8:9], 0
	s_load_b64 s[8:9], s[2:3], 0x68
	s_cselect_b32 s5, s11, s5
	s_cselect_b32 s4, s10, s4
	s_load_b64 s[16:17], s[6:7], 0x0
	s_load_b64 s[10:11], s[4:5], 0x0
	s_waitcnt lgkmcnt(0)
	v_cmp_ge_i64_e64 s4, s[16:17], s[10:11]
	s_delay_alu instid0(VALU_DEP_1)
	s_and_b32 vcc_lo, exec_lo, s4
	s_cbranch_vccnz .LBB177_14
; %bb.10:
	v_mul_lo_u16 v0, v12, 15
	v_and_b32_e32 v1, 0xffff, v18
	s_clause 0x1
	s_load_b64 s[18:19], s[2:3], 0x50
	s_load_b128 s[4:7], s[2:3], 0x40
	s_sub_u32 s2, s10, s14
	v_and_b32_e32 v2, 0xffff, v20
	v_lshrrev_b16 v0, 8, v0
	v_mul_u32_u24_e32 v1, 0x195, v1
	s_subb_u32 s3, s11, 0
	s_sub_u32 s10, s16, s14
	s_subb_u32 s11, s17, 0
	v_mul_lo_u16 v0, v0, 18
	v_lshrrev_b32_e32 v21, 17, v1
	s_mul_hi_u32 s15, s10, 0x1440
	s_mul_i32 s21, s11, 0x1440
	s_mul_i32 s20, s10, 0x1440
	v_sub_nc_u16 v0, v12, v0
	v_add_co_u32 v1, s16, s16, v21
	s_delay_alu instid0(VALU_DEP_1) | instskip(NEXT) | instid1(VALU_DEP_3)
	v_add_co_ci_u32_e64 v3, null, s17, 0, s16
	v_and_b32_e32 v0, 0xff, v0
	s_add_i32 s15, s15, s21
	s_delay_alu instid0(VALU_DEP_1) | instskip(SKIP_2) | instid1(VALU_DEP_3)
	v_cndmask_b32_e64 v2, v2, v0, s0
	v_sub_co_u32 v0, vcc_lo, v1, s14
	v_subrev_co_ci_u32_e32 v1, vcc_lo, 0, v3, vcc_lo
	v_lshlrev_b32_e32 v2, 4, v2
	s_waitcnt lgkmcnt(0)
	s_add_u32 s0, s6, s20
	s_addc_u32 s6, s7, s15
	v_lshlrev_b64 v[0:1], 3, v[0:1]
	v_add_co_u32 v14, s0, s0, v19
	v_add_co_u32 v12, s7, s18, v2
	v_mov_b32_e32 v2, 0
	v_mov_b32_e32 v3, 0
	v_add_co_u32 v16, vcc_lo, s4, v0
	v_add_co_ci_u32_e64 v13, null, s19, 0, s7
	v_add_co_ci_u32_e64 v15, null, s6, 0, s0
	v_add_co_ci_u32_e32 v17, vcc_lo, s5, v1, vcc_lo
	v_dual_mov_b32 v0, v2 :: v_dual_mov_b32 v1, v3
	s_set_inst_prefetch_distance 0x1
	s_branch .LBB177_12
	.p2align	6
.LBB177_11:                             ;   in Loop: Header=BB177_12 Depth=1
	s_or_b32 exec_lo, exec_lo, s0
	s_add_u32 s10, s10, 1
	s_addc_u32 s11, s11, 0
	v_add_co_u32 v16, vcc_lo, v16, 8
	v_cmp_lt_i64_e64 s0, s[10:11], s[2:3]
	v_add_co_ci_u32_e32 v17, vcc_lo, 0, v17, vcc_lo
	s_delay_alu instid0(VALU_DEP_2)
	s_and_b32 vcc_lo, exec_lo, s0
	s_cbranch_vccz .LBB177_14
.LBB177_12:                             ; =>This Inner Loop Header: Depth=1
	v_add_co_u32 v22, s0, v21, s10
	s_delay_alu instid0(VALU_DEP_1) | instskip(SKIP_1) | instid1(VALU_DEP_1)
	v_add_co_ci_u32_e64 v23, null, 0, s11, s0
	s_mov_b32 s0, exec_lo
	v_cmpx_gt_i64_e64 s[2:3], v[22:23]
	s_cbranch_execz .LBB177_11
; %bb.13:                               ;   in Loop: Header=BB177_12 Depth=1
	global_load_b64 v[22:23], v[16:17], off
	s_waitcnt vmcnt(0)
	v_sub_co_u32 v22, vcc_lo, v22, s14
	v_subrev_co_ci_u32_e32 v25, vcc_lo, 0, v23, vcc_lo
	s_delay_alu instid0(VALU_DEP_2) | instskip(NEXT) | instid1(VALU_DEP_1)
	v_mad_u64_u32 v[26:27], null, 0x120, v22, v[12:13]
	v_mov_b32_e32 v22, v27
	s_delay_alu instid0(VALU_DEP_1) | instskip(NEXT) | instid1(VALU_DEP_1)
	v_mad_u64_u32 v[23:24], null, 0x120, v25, v[22:23]
	v_mov_b32_e32 v27, v23
	global_load_b128 v[22:25], v[14:15], off
	global_load_b128 v[26:29], v[26:27], off
	v_add_co_u32 v14, vcc_lo, 0x1440, v14
	v_add_co_ci_u32_e32 v15, vcc_lo, 0, v15, vcc_lo
	s_waitcnt vmcnt(0)
	v_fma_f64 v[0:1], v[22:23], v[26:27], v[0:1]
	v_fma_f64 v[2:3], v[24:25], v[26:27], v[2:3]
	s_delay_alu instid0(VALU_DEP_2) | instskip(NEXT) | instid1(VALU_DEP_2)
	v_fma_f64 v[0:1], -v[24:25], v[28:29], v[0:1]
	v_fma_f64 v[2:3], v[22:23], v[28:29], v[2:3]
	s_branch .LBB177_11
.LBB177_14:
	s_set_inst_prefetch_distance 0x2
	s_and_b32 vcc_lo, exec_lo, s1
	ds_store_b128 v19, v[0:3]
	s_waitcnt vmcnt(0) lgkmcnt(0)
	s_barrier
	buffer_gl0_inv
	s_cbranch_vccz .LBB177_26
; %bb.15:
	v_cmp_gt_u16_e32 vcc_lo, 2, v20
	s_and_saveexec_b32 s0, vcc_lo
	s_cbranch_execz .LBB177_17
; %bb.16:
	ds_load_b128 v[12:15], v19 offset:256
	ds_load_b128 v[21:24], v19
	s_waitcnt lgkmcnt(0)
	v_add_f64 v[12:13], v[12:13], v[21:22]
	v_add_f64 v[14:15], v[14:15], v[23:24]
	ds_store_b128 v19, v[12:15]
.LBB177_17:
	s_or_b32 exec_lo, exec_lo, s0
	s_delay_alu instid0(SALU_CYCLE_1)
	s_mov_b32 s1, exec_lo
	s_waitcnt lgkmcnt(0)
	s_barrier
	buffer_gl0_inv
	v_cmpx_gt_u16_e32 8, v20
	s_cbranch_execz .LBB177_19
; %bb.18:
	ds_load_b128 v[12:15], v19 offset:128
	ds_load_b128 v[21:24], v19
	s_waitcnt lgkmcnt(0)
	v_add_f64 v[12:13], v[12:13], v[21:22]
	v_add_f64 v[14:15], v[14:15], v[23:24]
	ds_store_b128 v19, v[12:15]
.LBB177_19:
	s_or_b32 exec_lo, exec_lo, s1
	s_delay_alu instid0(SALU_CYCLE_1)
	s_mov_b32 s1, exec_lo
	s_waitcnt lgkmcnt(0)
	s_barrier
	buffer_gl0_inv
	v_cmpx_gt_u16_e32 4, v20
	s_cbranch_execz .LBB177_21
; %bb.20:
	ds_load_b128 v[12:15], v19 offset:64
	ds_load_b128 v[20:23], v19
	s_waitcnt lgkmcnt(0)
	v_add_f64 v[12:13], v[12:13], v[20:21]
	v_add_f64 v[14:15], v[14:15], v[22:23]
	ds_store_b128 v19, v[12:15]
.LBB177_21:
	s_or_b32 exec_lo, exec_lo, s1
	s_waitcnt lgkmcnt(0)
	s_barrier
	buffer_gl0_inv
	s_and_saveexec_b32 s0, vcc_lo
	s_cbranch_execz .LBB177_23
; %bb.22:
	ds_load_b128 v[12:15], v19
	ds_load_b128 v[20:23], v19 offset:32
	s_waitcnt lgkmcnt(0)
	v_add_f64 v[12:13], v[20:21], v[12:13]
	v_add_f64 v[14:15], v[22:23], v[14:15]
	ds_store_b128 v19, v[12:15]
.LBB177_23:
	s_or_b32 exec_lo, exec_lo, s0
	v_dual_mov_b32 v15, v3 :: v_dual_mov_b32 v14, v2
	v_dual_mov_b32 v13, v1 :: v_dual_mov_b32 v12, v0
	s_mov_b32 s0, exec_lo
	s_waitcnt lgkmcnt(0)
	s_barrier
	buffer_gl0_inv
	v_cmpx_gt_u32_e32 18, v18
	s_cbranch_execz .LBB177_25
; %bb.24:
	v_mul_u32_u24_e32 v12, 18, v18
	s_delay_alu instid0(VALU_DEP_1)
	v_lshlrev_b32_e32 v16, 4, v12
	ds_load_b128 v[12:15], v16
	ds_load_b128 v[20:23], v16 offset:16
	s_waitcnt lgkmcnt(0)
	v_add_f64 v[12:13], v[20:21], v[12:13]
	v_add_f64 v[14:15], v[22:23], v[14:15]
.LBB177_25:
	s_or_b32 exec_lo, exec_lo, s0
	s_branch .LBB177_38
.LBB177_26:
                                        ; implicit-def: $vgpr14_vgpr15
                                        ; implicit-def: $vgpr12_vgpr13
	s_cbranch_execz .LBB177_38
; %bb.27:
	v_cmp_gt_u32_e32 vcc_lo, 36, v18
	s_and_saveexec_b32 s0, vcc_lo
	s_cbranch_execz .LBB177_29
; %bb.28:
	ds_load_b128 v[12:15], v19 offset:4608
	ds_load_b128 v[20:23], v19
	s_waitcnt lgkmcnt(0)
	v_add_f64 v[12:13], v[12:13], v[20:21]
	v_add_f64 v[14:15], v[14:15], v[22:23]
	ds_store_b128 v19, v[12:15]
.LBB177_29:
	s_or_b32 exec_lo, exec_lo, s0
	s_delay_alu instid0(SALU_CYCLE_1)
	s_mov_b32 s1, exec_lo
	s_waitcnt lgkmcnt(0)
	s_barrier
	buffer_gl0_inv
	v_cmpx_gt_u32_e32 0x90, v18
	s_cbranch_execz .LBB177_31
; %bb.30:
	ds_load_b128 v[12:15], v19 offset:2304
	ds_load_b128 v[20:23], v19
	s_waitcnt lgkmcnt(0)
	v_add_f64 v[12:13], v[12:13], v[20:21]
	v_add_f64 v[14:15], v[14:15], v[22:23]
	ds_store_b128 v19, v[12:15]
.LBB177_31:
	s_or_b32 exec_lo, exec_lo, s1
	s_delay_alu instid0(SALU_CYCLE_1)
	s_mov_b32 s1, exec_lo
	s_waitcnt lgkmcnt(0)
	s_barrier
	buffer_gl0_inv
	v_cmpx_gt_u32_e32 0x48, v18
	s_cbranch_execz .LBB177_33
; %bb.32:
	ds_load_b128 v[12:15], v19 offset:1152
	ds_load_b128 v[20:23], v19
	s_waitcnt lgkmcnt(0)
	v_add_f64 v[12:13], v[12:13], v[20:21]
	v_add_f64 v[14:15], v[14:15], v[22:23]
	ds_store_b128 v19, v[12:15]
.LBB177_33:
	s_or_b32 exec_lo, exec_lo, s1
	s_waitcnt lgkmcnt(0)
	s_barrier
	buffer_gl0_inv
	s_and_saveexec_b32 s0, vcc_lo
	s_cbranch_execz .LBB177_35
; %bb.34:
	ds_load_b128 v[12:15], v19 offset:576
	ds_load_b128 v[20:23], v19
	s_waitcnt lgkmcnt(0)
	v_add_f64 v[12:13], v[12:13], v[20:21]
	v_add_f64 v[14:15], v[14:15], v[22:23]
	ds_store_b128 v19, v[12:15]
.LBB177_35:
	s_or_b32 exec_lo, exec_lo, s0
	s_delay_alu instid0(SALU_CYCLE_1)
	s_mov_b32 s0, exec_lo
	s_waitcnt lgkmcnt(0)
	buffer_gl0_inv
	v_cmpx_gt_u32_e32 18, v18
	s_cbranch_execz .LBB177_37
; %bb.36:
	ds_load_b128 v[0:3], v19 offset:288
	ds_load_b128 v[12:15], v19
	s_waitcnt lgkmcnt(0)
	v_add_f64 v[0:1], v[0:1], v[12:13]
	v_add_f64 v[2:3], v[2:3], v[14:15]
.LBB177_37:
	s_or_b32 exec_lo, exec_lo, s0
	s_delay_alu instid0(VALU_DEP_1) | instskip(NEXT) | instid1(VALU_DEP_3)
	v_dual_mov_b32 v15, v3 :: v_dual_mov_b32 v14, v2
	v_dual_mov_b32 v13, v1 :: v_dual_mov_b32 v12, v0
.LBB177_38:
	v_cmp_gt_u32_e32 vcc_lo, 18, v18
	s_and_b32 exec_lo, exec_lo, vcc_lo
	s_cbranch_execz .LBB177_43
; %bb.39:
	s_delay_alu instid0(VALU_DEP_2)
	v_mul_f64 v[0:1], v[14:15], -v[10:11]
	v_mul_f64 v[2:3], v[8:9], v[14:15]
	v_cmp_eq_f64_e32 vcc_lo, 0, v[4:5]
	v_cmp_eq_f64_e64 s0, 0, v[6:7]
	s_mul_hi_u32 s1, s12, 0x120
	s_mul_i32 s2, s12, 0x120
	s_delay_alu instid0(VALU_DEP_4) | instskip(NEXT) | instid1(VALU_DEP_4)
	v_fma_f64 v[0:1], v[8:9], v[12:13], v[0:1]
	v_fma_f64 v[2:3], v[10:11], v[12:13], v[2:3]
	s_delay_alu instid0(VALU_DEP_3) | instskip(SKIP_2) | instid1(SALU_CYCLE_1)
	s_and_b32 s3, vcc_lo, s0
	s_mul_i32 s0, s13, 0x120
	s_and_saveexec_b32 s4, s3
	s_xor_b32 s3, exec_lo, s4
	s_cbranch_execz .LBB177_41
; %bb.40:
	s_add_i32 s5, s1, s0
	s_add_u32 s4, s8, s2
	s_addc_u32 s5, s9, s5
                                        ; implicit-def: $vgpr4_vgpr5
                                        ; implicit-def: $vgpr6_vgpr7
	global_store_b128 v19, v[0:3], s[4:5]
                                        ; implicit-def: $vgpr19
                                        ; implicit-def: $vgpr0_vgpr1
.LBB177_41:
	s_and_not1_saveexec_b32 s3, s3
	s_cbranch_execz .LBB177_43
; %bb.42:
	s_add_i32 s1, s1, s0
	s_add_u32 s0, s8, s2
	s_addc_u32 s1, s9, s1
	global_load_b128 v[8:11], v19, s[0:1]
	s_waitcnt vmcnt(0)
	v_fma_f64 v[0:1], v[4:5], v[8:9], v[0:1]
	v_fma_f64 v[2:3], v[6:7], v[8:9], v[2:3]
	s_delay_alu instid0(VALU_DEP_2) | instskip(NEXT) | instid1(VALU_DEP_2)
	v_fma_f64 v[0:1], -v[6:7], v[10:11], v[0:1]
	v_fma_f64 v[2:3], v[4:5], v[10:11], v[2:3]
	global_store_b128 v19, v[0:3], s[0:1]
.LBB177_43:
	s_nop 0
	s_sendmsg sendmsg(MSG_DEALLOC_VGPRS)
	s_endpgm
	.section	.rodata,"a",@progbits
	.p2align	6, 0x0
	.amdhsa_kernel _ZN9rocsparseL20bsrxmvn_17_32_kernelILj18E21rocsparse_complex_numIdEllS2_S2_S2_EEvT2_20rocsparse_direction_NS_24const_host_device_scalarIT0_EES3_PKS3_PKT1_SC_S9_PKT3_PKT4_S7_PT5_21rocsparse_index_base_b
		.amdhsa_group_segment_fixed_size 10368
		.amdhsa_private_segment_fixed_size 0
		.amdhsa_kernarg_size 120
		.amdhsa_user_sgpr_count 15
		.amdhsa_user_sgpr_dispatch_ptr 1
		.amdhsa_user_sgpr_queue_ptr 0
		.amdhsa_user_sgpr_kernarg_segment_ptr 1
		.amdhsa_user_sgpr_dispatch_id 0
		.amdhsa_user_sgpr_private_segment_size 0
		.amdhsa_wavefront_size32 1
		.amdhsa_uses_dynamic_stack 0
		.amdhsa_enable_private_segment 0
		.amdhsa_system_sgpr_workgroup_id_x 1
		.amdhsa_system_sgpr_workgroup_id_y 0
		.amdhsa_system_sgpr_workgroup_id_z 0
		.amdhsa_system_sgpr_workgroup_info 0
		.amdhsa_system_vgpr_workitem_id 2
		.amdhsa_next_free_vgpr 30
		.amdhsa_next_free_sgpr 22
		.amdhsa_reserve_vcc 1
		.amdhsa_float_round_mode_32 0
		.amdhsa_float_round_mode_16_64 0
		.amdhsa_float_denorm_mode_32 3
		.amdhsa_float_denorm_mode_16_64 3
		.amdhsa_dx10_clamp 1
		.amdhsa_ieee_mode 1
		.amdhsa_fp16_overflow 0
		.amdhsa_workgroup_processor_mode 1
		.amdhsa_memory_ordered 1
		.amdhsa_forward_progress 0
		.amdhsa_shared_vgpr_count 0
		.amdhsa_exception_fp_ieee_invalid_op 0
		.amdhsa_exception_fp_denorm_src 0
		.amdhsa_exception_fp_ieee_div_zero 0
		.amdhsa_exception_fp_ieee_overflow 0
		.amdhsa_exception_fp_ieee_underflow 0
		.amdhsa_exception_fp_ieee_inexact 0
		.amdhsa_exception_int_div_zero 0
	.end_amdhsa_kernel
	.section	.text._ZN9rocsparseL20bsrxmvn_17_32_kernelILj18E21rocsparse_complex_numIdEllS2_S2_S2_EEvT2_20rocsparse_direction_NS_24const_host_device_scalarIT0_EES3_PKS3_PKT1_SC_S9_PKT3_PKT4_S7_PT5_21rocsparse_index_base_b,"axG",@progbits,_ZN9rocsparseL20bsrxmvn_17_32_kernelILj18E21rocsparse_complex_numIdEllS2_S2_S2_EEvT2_20rocsparse_direction_NS_24const_host_device_scalarIT0_EES3_PKS3_PKT1_SC_S9_PKT3_PKT4_S7_PT5_21rocsparse_index_base_b,comdat
.Lfunc_end177:
	.size	_ZN9rocsparseL20bsrxmvn_17_32_kernelILj18E21rocsparse_complex_numIdEllS2_S2_S2_EEvT2_20rocsparse_direction_NS_24const_host_device_scalarIT0_EES3_PKS3_PKT1_SC_S9_PKT3_PKT4_S7_PT5_21rocsparse_index_base_b, .Lfunc_end177-_ZN9rocsparseL20bsrxmvn_17_32_kernelILj18E21rocsparse_complex_numIdEllS2_S2_S2_EEvT2_20rocsparse_direction_NS_24const_host_device_scalarIT0_EES3_PKS3_PKT1_SC_S9_PKT3_PKT4_S7_PT5_21rocsparse_index_base_b
                                        ; -- End function
	.section	.AMDGPU.csdata,"",@progbits
; Kernel info:
; codeLenInByte = 2136
; NumSgprs: 24
; NumVgprs: 30
; ScratchSize: 0
; MemoryBound: 1
; FloatMode: 240
; IeeeMode: 1
; LDSByteSize: 10368 bytes/workgroup (compile time only)
; SGPRBlocks: 2
; VGPRBlocks: 3
; NumSGPRsForWavesPerEU: 24
; NumVGPRsForWavesPerEU: 30
; Occupancy: 14
; WaveLimiterHint : 1
; COMPUTE_PGM_RSRC2:SCRATCH_EN: 0
; COMPUTE_PGM_RSRC2:USER_SGPR: 15
; COMPUTE_PGM_RSRC2:TRAP_HANDLER: 0
; COMPUTE_PGM_RSRC2:TGID_X_EN: 1
; COMPUTE_PGM_RSRC2:TGID_Y_EN: 0
; COMPUTE_PGM_RSRC2:TGID_Z_EN: 0
; COMPUTE_PGM_RSRC2:TIDIG_COMP_CNT: 2
	.section	.text._ZN9rocsparseL20bsrxmvn_17_32_kernelILj19E21rocsparse_complex_numIdEllS2_S2_S2_EEvT2_20rocsparse_direction_NS_24const_host_device_scalarIT0_EES3_PKS3_PKT1_SC_S9_PKT3_PKT4_S7_PT5_21rocsparse_index_base_b,"axG",@progbits,_ZN9rocsparseL20bsrxmvn_17_32_kernelILj19E21rocsparse_complex_numIdEllS2_S2_S2_EEvT2_20rocsparse_direction_NS_24const_host_device_scalarIT0_EES3_PKS3_PKT1_SC_S9_PKT3_PKT4_S7_PT5_21rocsparse_index_base_b,comdat
	.globl	_ZN9rocsparseL20bsrxmvn_17_32_kernelILj19E21rocsparse_complex_numIdEllS2_S2_S2_EEvT2_20rocsparse_direction_NS_24const_host_device_scalarIT0_EES3_PKS3_PKT1_SC_S9_PKT3_PKT4_S7_PT5_21rocsparse_index_base_b ; -- Begin function _ZN9rocsparseL20bsrxmvn_17_32_kernelILj19E21rocsparse_complex_numIdEllS2_S2_S2_EEvT2_20rocsparse_direction_NS_24const_host_device_scalarIT0_EES3_PKS3_PKT1_SC_S9_PKT3_PKT4_S7_PT5_21rocsparse_index_base_b
	.p2align	8
	.type	_ZN9rocsparseL20bsrxmvn_17_32_kernelILj19E21rocsparse_complex_numIdEllS2_S2_S2_EEvT2_20rocsparse_direction_NS_24const_host_device_scalarIT0_EES3_PKS3_PKT1_SC_S9_PKT3_PKT4_S7_PT5_21rocsparse_index_base_b,@function
_ZN9rocsparseL20bsrxmvn_17_32_kernelILj19E21rocsparse_complex_numIdEllS2_S2_S2_EEvT2_20rocsparse_direction_NS_24const_host_device_scalarIT0_EES3_PKS3_PKT1_SC_S9_PKT3_PKT4_S7_PT5_21rocsparse_index_base_b: ; @_ZN9rocsparseL20bsrxmvn_17_32_kernelILj19E21rocsparse_complex_numIdEllS2_S2_S2_EEvT2_20rocsparse_direction_NS_24const_host_device_scalarIT0_EES3_PKS3_PKT1_SC_S9_PKT3_PKT4_S7_PT5_21rocsparse_index_base_b
; %bb.0:
	s_mov_b32 s12, s15
	s_clause 0x1
	s_load_b64 s[14:15], s[2:3], 0x70
	s_load_b128 s[4:7], s[2:3], 0x10
	s_load_b64 s[16:17], s[0:1], 0x4
	s_mov_b64 s[0:1], src_shared_base
	v_and_b32_e32 v18, 0x3ff, v0
	s_load_b128 s[8:11], s[2:3], 0x58
	v_bfe_u32 v2, v0, 10, 10
	v_bfe_u32 v0, v0, 20, 10
	s_waitcnt lgkmcnt(0)
	s_bitcmp1_b32 s15, 0
	v_mov_b32_e32 v11, s7
	s_cselect_b32 s0, -1, 0
	v_mov_b32_e32 v10, s6
	s_and_b32 vcc_lo, s0, exec_lo
	s_cselect_b32 s13, s1, s5
	s_lshr_b32 s15, s16, 16
	s_xor_b32 s6, s0, -1
	s_mul_i32 s15, s15, s17
	v_mov_b32_e32 v5, s13
	v_mul_lo_u32 v1, s15, v18
	s_delay_alu instid0(VALU_DEP_1) | instskip(SKIP_1) | instid1(VALU_DEP_2)
	v_mad_u32_u24 v1, v2, s17, v1
	v_dual_mov_b32 v2, s8 :: v_dual_mov_b32 v3, s9
	v_add_lshl_u32 v6, v1, v0, 3
	v_dual_mov_b32 v0, s4 :: v_dual_mov_b32 v1, s5
	ds_store_b64 v6, v[0:1] offset:8664
	ds_store_b64 v6, v[2:3] offset:5776
	v_add_nc_u32_e32 v4, 0x21d8, v6
	v_add_nc_u32_e32 v0, 0x1690, v6
	s_delay_alu instid0(VALU_DEP_2)
	v_cndmask_b32_e64 v4, s4, v4, s0
	flat_load_b64 v[8:9], v[4:5]
	s_cbranch_vccnz .LBB178_2
; %bb.1:
	v_dual_mov_b32 v1, s4 :: v_dual_mov_b32 v2, s5
	flat_load_b64 v[10:11], v[1:2] offset:8
.LBB178_2:
	s_and_b32 s4, s0, exec_lo
	s_cselect_b32 s1, s1, s9
	v_cndmask_b32_e64 v0, s8, v0, s0
	v_dual_mov_b32 v1, s1 :: v_dual_mov_b32 v6, s10
	v_mov_b32_e32 v7, s11
	s_and_not1_b32 vcc_lo, exec_lo, s6
	flat_load_b64 v[4:5], v[0:1]
	s_cbranch_vccnz .LBB178_4
; %bb.3:
	v_dual_mov_b32 v0, s8 :: v_dual_mov_b32 v1, s9
	flat_load_b64 v[6:7], v[0:1] offset:8
.LBB178_4:
	s_waitcnt vmcnt(1) lgkmcnt(1)
	v_cmp_eq_f64_e32 vcc_lo, 0, v[8:9]
	v_cmp_eq_f64_e64 s0, 0, v[10:11]
	s_delay_alu instid0(VALU_DEP_1)
	s_and_b32 s4, vcc_lo, s0
	s_mov_b32 s0, -1
	s_and_saveexec_b32 s1, s4
	s_cbranch_execz .LBB178_6
; %bb.5:
	s_waitcnt vmcnt(0) lgkmcnt(0)
	v_cmp_neq_f64_e32 vcc_lo, 1.0, v[4:5]
	v_cmp_neq_f64_e64 s0, 0, v[6:7]
	s_delay_alu instid0(VALU_DEP_1) | instskip(NEXT) | instid1(SALU_CYCLE_1)
	s_or_b32 s0, vcc_lo, s0
	s_or_not1_b32 s0, s0, exec_lo
.LBB178_6:
	s_or_b32 exec_lo, exec_lo, s1
	s_and_saveexec_b32 s1, s0
	s_cbranch_execz .LBB178_43
; %bb.7:
	s_clause 0x1
	s_load_b128 s[4:7], s[2:3], 0x28
	s_load_b64 s[8:9], s[2:3], 0x38
	s_mov_b32 s13, 0
	s_waitcnt lgkmcnt(0)
	s_cmp_eq_u64 s[4:5], 0
	s_cbranch_scc1 .LBB178_9
; %bb.8:
	s_lshl_b64 s[0:1], s[12:13], 3
	s_delay_alu instid0(SALU_CYCLE_1)
	s_add_u32 s0, s4, s0
	s_addc_u32 s1, s5, s1
	s_load_b64 s[0:1], s[0:1], 0x0
	s_waitcnt lgkmcnt(0)
	s_sub_u32 s12, s0, s14
	s_subb_u32 s13, s1, 0
.LBB178_9:
	s_load_b32 s1, s[2:3], 0x8
	v_mul_u32_u24_e32 v0, 0xd7a, v18
	v_dual_mov_b32 v2, 0 :: v_dual_lshlrev_b32 v19, 4, v18
	v_mov_b32_e32 v3, 0
	s_delay_alu instid0(VALU_DEP_3) | instskip(NEXT) | instid1(VALU_DEP_1)
	v_lshrrev_b32_e32 v12, 16, v0
	v_mul_lo_u16 v0, v12, 19
	s_delay_alu instid0(VALU_DEP_1) | instskip(NEXT) | instid1(VALU_DEP_4)
	v_sub_nc_u16 v20, v18, v0
	v_dual_mov_b32 v0, v2 :: v_dual_mov_b32 v1, v3
	s_waitcnt lgkmcnt(0)
	s_cmp_eq_u32 s1, 1
	s_cselect_b32 s0, -1, 0
	s_cmp_lg_u32 s1, 1
	s_cselect_b32 s1, -1, 0
	s_lshl_b64 s[4:5], s[12:13], 3
	s_delay_alu instid0(SALU_CYCLE_1)
	s_add_u32 s6, s6, s4
	s_addc_u32 s7, s7, s5
	s_add_u32 s10, s6, 8
	s_addc_u32 s11, s7, 0
	;; [unrolled: 2-line block ×3, first 2 shown]
	s_cmp_eq_u64 s[8:9], 0
	s_load_b64 s[8:9], s[2:3], 0x68
	s_cselect_b32 s5, s11, s5
	s_cselect_b32 s4, s10, s4
	s_load_b64 s[16:17], s[6:7], 0x0
	s_load_b64 s[10:11], s[4:5], 0x0
	s_waitcnt lgkmcnt(0)
	v_cmp_ge_i64_e64 s4, s[16:17], s[10:11]
	s_delay_alu instid0(VALU_DEP_1)
	s_and_b32 vcc_lo, exec_lo, s4
	s_cbranch_vccnz .LBB178_14
; %bb.10:
	v_mul_lo_u16 v0, v12, 14
	v_and_b32_e32 v1, 0xffff, v18
	s_clause 0x1
	s_load_b64 s[18:19], s[2:3], 0x50
	s_load_b128 s[4:7], s[2:3], 0x40
	s_sub_u32 s2, s10, s14
	v_and_b32_e32 v2, 0xffff, v20
	v_lshrrev_b16 v0, 8, v0
	v_mul_u32_u24_e32 v1, 0xb6, v1
	s_subb_u32 s3, s11, 0
	s_sub_u32 s10, s16, s14
	s_subb_u32 s11, s17, 0
	v_mul_lo_u16 v0, v0, 19
	v_lshrrev_b32_e32 v21, 16, v1
	s_mul_hi_u32 s15, s10, 0x1690
	s_mul_i32 s21, s11, 0x1690
	s_mul_i32 s20, s10, 0x1690
	v_sub_nc_u16 v0, v12, v0
	v_add_co_u32 v1, s16, s16, v21
	s_delay_alu instid0(VALU_DEP_1) | instskip(NEXT) | instid1(VALU_DEP_3)
	v_add_co_ci_u32_e64 v3, null, s17, 0, s16
	v_and_b32_e32 v0, 0xff, v0
	s_add_i32 s15, s15, s21
	s_delay_alu instid0(VALU_DEP_1) | instskip(SKIP_2) | instid1(VALU_DEP_3)
	v_cndmask_b32_e64 v2, v2, v0, s0
	v_sub_co_u32 v0, vcc_lo, v1, s14
	v_subrev_co_ci_u32_e32 v1, vcc_lo, 0, v3, vcc_lo
	v_lshlrev_b32_e32 v2, 4, v2
	s_waitcnt lgkmcnt(0)
	s_add_u32 s0, s6, s20
	s_addc_u32 s6, s7, s15
	v_lshlrev_b64 v[0:1], 3, v[0:1]
	v_add_co_u32 v14, s0, s0, v19
	v_add_co_u32 v12, s7, s18, v2
	v_mov_b32_e32 v2, 0
	v_mov_b32_e32 v3, 0
	v_add_co_u32 v16, vcc_lo, s4, v0
	v_add_co_ci_u32_e64 v13, null, s19, 0, s7
	v_add_co_ci_u32_e64 v15, null, s6, 0, s0
	v_add_co_ci_u32_e32 v17, vcc_lo, s5, v1, vcc_lo
	v_dual_mov_b32 v0, v2 :: v_dual_mov_b32 v1, v3
	s_set_inst_prefetch_distance 0x1
	s_branch .LBB178_12
	.p2align	6
.LBB178_11:                             ;   in Loop: Header=BB178_12 Depth=1
	s_or_b32 exec_lo, exec_lo, s0
	s_add_u32 s10, s10, 1
	s_addc_u32 s11, s11, 0
	v_add_co_u32 v16, vcc_lo, v16, 8
	v_cmp_lt_i64_e64 s0, s[10:11], s[2:3]
	v_add_co_ci_u32_e32 v17, vcc_lo, 0, v17, vcc_lo
	s_delay_alu instid0(VALU_DEP_2)
	s_and_b32 vcc_lo, exec_lo, s0
	s_cbranch_vccz .LBB178_14
.LBB178_12:                             ; =>This Inner Loop Header: Depth=1
	v_add_co_u32 v22, s0, v21, s10
	s_delay_alu instid0(VALU_DEP_1) | instskip(SKIP_1) | instid1(VALU_DEP_1)
	v_add_co_ci_u32_e64 v23, null, 0, s11, s0
	s_mov_b32 s0, exec_lo
	v_cmpx_gt_i64_e64 s[2:3], v[22:23]
	s_cbranch_execz .LBB178_11
; %bb.13:                               ;   in Loop: Header=BB178_12 Depth=1
	global_load_b64 v[22:23], v[16:17], off
	s_waitcnt vmcnt(0)
	v_sub_co_u32 v22, vcc_lo, v22, s14
	v_subrev_co_ci_u32_e32 v25, vcc_lo, 0, v23, vcc_lo
	s_delay_alu instid0(VALU_DEP_2) | instskip(NEXT) | instid1(VALU_DEP_1)
	v_mad_u64_u32 v[26:27], null, 0x130, v22, v[12:13]
	v_mov_b32_e32 v22, v27
	s_delay_alu instid0(VALU_DEP_1) | instskip(NEXT) | instid1(VALU_DEP_1)
	v_mad_u64_u32 v[23:24], null, 0x130, v25, v[22:23]
	v_mov_b32_e32 v27, v23
	global_load_b128 v[22:25], v[14:15], off
	global_load_b128 v[26:29], v[26:27], off
	v_add_co_u32 v14, vcc_lo, 0x1690, v14
	v_add_co_ci_u32_e32 v15, vcc_lo, 0, v15, vcc_lo
	s_waitcnt vmcnt(0)
	v_fma_f64 v[0:1], v[22:23], v[26:27], v[0:1]
	v_fma_f64 v[2:3], v[24:25], v[26:27], v[2:3]
	s_delay_alu instid0(VALU_DEP_2) | instskip(NEXT) | instid1(VALU_DEP_2)
	v_fma_f64 v[0:1], -v[24:25], v[28:29], v[0:1]
	v_fma_f64 v[2:3], v[22:23], v[28:29], v[2:3]
	s_branch .LBB178_11
.LBB178_14:
	s_set_inst_prefetch_distance 0x2
	s_and_b32 vcc_lo, exec_lo, s1
	ds_store_b128 v19, v[0:3]
	s_waitcnt vmcnt(0) lgkmcnt(0)
	s_barrier
	buffer_gl0_inv
	s_cbranch_vccz .LBB178_26
; %bb.15:
	s_mov_b32 s0, exec_lo
	v_cmpx_gt_u16_e32 3, v20
	s_cbranch_execz .LBB178_17
; %bb.16:
	ds_load_b128 v[12:15], v19 offset:256
	ds_load_b128 v[21:24], v19
	s_waitcnt lgkmcnt(0)
	v_add_f64 v[12:13], v[12:13], v[21:22]
	v_add_f64 v[14:15], v[14:15], v[23:24]
	ds_store_b128 v19, v[12:15]
.LBB178_17:
	s_or_b32 exec_lo, exec_lo, s0
	s_delay_alu instid0(SALU_CYCLE_1)
	s_mov_b32 s0, exec_lo
	s_waitcnt lgkmcnt(0)
	s_barrier
	buffer_gl0_inv
	v_cmpx_gt_u16_e32 8, v20
	s_cbranch_execz .LBB178_19
; %bb.18:
	ds_load_b128 v[12:15], v19 offset:128
	ds_load_b128 v[21:24], v19
	s_waitcnt lgkmcnt(0)
	v_add_f64 v[12:13], v[12:13], v[21:22]
	v_add_f64 v[14:15], v[14:15], v[23:24]
	ds_store_b128 v19, v[12:15]
.LBB178_19:
	s_or_b32 exec_lo, exec_lo, s0
	s_delay_alu instid0(SALU_CYCLE_1)
	s_mov_b32 s0, exec_lo
	s_waitcnt lgkmcnt(0)
	s_barrier
	buffer_gl0_inv
	;; [unrolled: 16-line block ×3, first 2 shown]
	v_cmpx_gt_u16_e32 2, v20
	s_cbranch_execz .LBB178_23
; %bb.22:
	ds_load_b128 v[12:15], v19
	ds_load_b128 v[20:23], v19 offset:32
	s_waitcnt lgkmcnt(0)
	v_add_f64 v[12:13], v[20:21], v[12:13]
	v_add_f64 v[14:15], v[22:23], v[14:15]
	ds_store_b128 v19, v[12:15]
.LBB178_23:
	s_or_b32 exec_lo, exec_lo, s0
	v_dual_mov_b32 v15, v3 :: v_dual_mov_b32 v14, v2
	v_dual_mov_b32 v13, v1 :: v_dual_mov_b32 v12, v0
	s_mov_b32 s0, exec_lo
	s_waitcnt lgkmcnt(0)
	s_barrier
	buffer_gl0_inv
	v_cmpx_gt_u32_e32 19, v18
	s_cbranch_execz .LBB178_25
; %bb.24:
	v_mul_u32_u24_e32 v12, 19, v18
	s_delay_alu instid0(VALU_DEP_1)
	v_lshlrev_b32_e32 v16, 4, v12
	ds_load_b128 v[12:15], v16
	ds_load_b128 v[20:23], v16 offset:16
	s_waitcnt lgkmcnt(0)
	v_add_f64 v[12:13], v[20:21], v[12:13]
	v_add_f64 v[14:15], v[22:23], v[14:15]
.LBB178_25:
	s_or_b32 exec_lo, exec_lo, s0
	s_branch .LBB178_38
.LBB178_26:
                                        ; implicit-def: $vgpr14_vgpr15
                                        ; implicit-def: $vgpr12_vgpr13
	s_cbranch_execz .LBB178_38
; %bb.27:
	s_mov_b32 s0, exec_lo
	v_cmpx_gt_u32_e32 57, v18
	s_cbranch_execz .LBB178_29
; %bb.28:
	ds_load_b128 v[12:15], v19 offset:4864
	ds_load_b128 v[20:23], v19
	s_waitcnt lgkmcnt(0)
	v_add_f64 v[12:13], v[12:13], v[20:21]
	v_add_f64 v[14:15], v[14:15], v[22:23]
	ds_store_b128 v19, v[12:15]
.LBB178_29:
	s_or_b32 exec_lo, exec_lo, s0
	s_delay_alu instid0(SALU_CYCLE_1)
	s_mov_b32 s0, exec_lo
	s_waitcnt lgkmcnt(0)
	s_barrier
	buffer_gl0_inv
	v_cmpx_gt_u32_e32 0x98, v18
	s_cbranch_execz .LBB178_31
; %bb.30:
	ds_load_b128 v[12:15], v19 offset:2432
	ds_load_b128 v[20:23], v19
	s_waitcnt lgkmcnt(0)
	v_add_f64 v[12:13], v[12:13], v[20:21]
	v_add_f64 v[14:15], v[14:15], v[22:23]
	ds_store_b128 v19, v[12:15]
.LBB178_31:
	s_or_b32 exec_lo, exec_lo, s0
	s_delay_alu instid0(SALU_CYCLE_1)
	s_mov_b32 s0, exec_lo
	s_waitcnt lgkmcnt(0)
	s_barrier
	buffer_gl0_inv
	;; [unrolled: 16-line block ×3, first 2 shown]
	v_cmpx_gt_u32_e32 38, v18
	s_cbranch_execz .LBB178_35
; %bb.34:
	ds_load_b128 v[12:15], v19 offset:608
	ds_load_b128 v[20:23], v19
	s_waitcnt lgkmcnt(0)
	v_add_f64 v[12:13], v[12:13], v[20:21]
	v_add_f64 v[14:15], v[14:15], v[22:23]
	ds_store_b128 v19, v[12:15]
.LBB178_35:
	s_or_b32 exec_lo, exec_lo, s0
	s_delay_alu instid0(SALU_CYCLE_1)
	s_mov_b32 s0, exec_lo
	s_waitcnt lgkmcnt(0)
	buffer_gl0_inv
	v_cmpx_gt_u32_e32 19, v18
	s_cbranch_execz .LBB178_37
; %bb.36:
	ds_load_b128 v[0:3], v19 offset:304
	ds_load_b128 v[12:15], v19
	s_waitcnt lgkmcnt(0)
	v_add_f64 v[0:1], v[0:1], v[12:13]
	v_add_f64 v[2:3], v[2:3], v[14:15]
.LBB178_37:
	s_or_b32 exec_lo, exec_lo, s0
	s_delay_alu instid0(VALU_DEP_1) | instskip(NEXT) | instid1(VALU_DEP_3)
	v_dual_mov_b32 v15, v3 :: v_dual_mov_b32 v14, v2
	v_dual_mov_b32 v13, v1 :: v_dual_mov_b32 v12, v0
.LBB178_38:
	v_cmp_gt_u32_e32 vcc_lo, 19, v18
	s_and_b32 exec_lo, exec_lo, vcc_lo
	s_cbranch_execz .LBB178_43
; %bb.39:
	s_delay_alu instid0(VALU_DEP_2)
	v_mul_f64 v[0:1], v[14:15], -v[10:11]
	v_mul_f64 v[2:3], v[8:9], v[14:15]
	v_cmp_eq_f64_e32 vcc_lo, 0, v[4:5]
	v_cmp_eq_f64_e64 s0, 0, v[6:7]
	s_mul_hi_u32 s1, s12, 0x130
	s_mul_i32 s2, s12, 0x130
	s_delay_alu instid0(VALU_DEP_4) | instskip(NEXT) | instid1(VALU_DEP_4)
	v_fma_f64 v[0:1], v[8:9], v[12:13], v[0:1]
	v_fma_f64 v[2:3], v[10:11], v[12:13], v[2:3]
	s_delay_alu instid0(VALU_DEP_3) | instskip(SKIP_2) | instid1(SALU_CYCLE_1)
	s_and_b32 s3, vcc_lo, s0
	s_mul_i32 s0, s13, 0x130
	s_and_saveexec_b32 s4, s3
	s_xor_b32 s3, exec_lo, s4
	s_cbranch_execz .LBB178_41
; %bb.40:
	s_add_i32 s5, s1, s0
	s_add_u32 s4, s8, s2
	s_addc_u32 s5, s9, s5
                                        ; implicit-def: $vgpr4_vgpr5
                                        ; implicit-def: $vgpr6_vgpr7
	global_store_b128 v19, v[0:3], s[4:5]
                                        ; implicit-def: $vgpr19
                                        ; implicit-def: $vgpr0_vgpr1
.LBB178_41:
	s_and_not1_saveexec_b32 s3, s3
	s_cbranch_execz .LBB178_43
; %bb.42:
	s_add_i32 s1, s1, s0
	s_add_u32 s0, s8, s2
	s_addc_u32 s1, s9, s1
	global_load_b128 v[8:11], v19, s[0:1]
	s_waitcnt vmcnt(0)
	v_fma_f64 v[0:1], v[4:5], v[8:9], v[0:1]
	v_fma_f64 v[2:3], v[6:7], v[8:9], v[2:3]
	s_delay_alu instid0(VALU_DEP_2) | instskip(NEXT) | instid1(VALU_DEP_2)
	v_fma_f64 v[0:1], -v[6:7], v[10:11], v[0:1]
	v_fma_f64 v[2:3], v[4:5], v[10:11], v[2:3]
	global_store_b128 v19, v[0:3], s[0:1]
.LBB178_43:
	s_nop 0
	s_sendmsg sendmsg(MSG_DEALLOC_VGPRS)
	s_endpgm
	.section	.rodata,"a",@progbits
	.p2align	6, 0x0
	.amdhsa_kernel _ZN9rocsparseL20bsrxmvn_17_32_kernelILj19E21rocsparse_complex_numIdEllS2_S2_S2_EEvT2_20rocsparse_direction_NS_24const_host_device_scalarIT0_EES3_PKS3_PKT1_SC_S9_PKT3_PKT4_S7_PT5_21rocsparse_index_base_b
		.amdhsa_group_segment_fixed_size 11552
		.amdhsa_private_segment_fixed_size 0
		.amdhsa_kernarg_size 120
		.amdhsa_user_sgpr_count 15
		.amdhsa_user_sgpr_dispatch_ptr 1
		.amdhsa_user_sgpr_queue_ptr 0
		.amdhsa_user_sgpr_kernarg_segment_ptr 1
		.amdhsa_user_sgpr_dispatch_id 0
		.amdhsa_user_sgpr_private_segment_size 0
		.amdhsa_wavefront_size32 1
		.amdhsa_uses_dynamic_stack 0
		.amdhsa_enable_private_segment 0
		.amdhsa_system_sgpr_workgroup_id_x 1
		.amdhsa_system_sgpr_workgroup_id_y 0
		.amdhsa_system_sgpr_workgroup_id_z 0
		.amdhsa_system_sgpr_workgroup_info 0
		.amdhsa_system_vgpr_workitem_id 2
		.amdhsa_next_free_vgpr 30
		.amdhsa_next_free_sgpr 22
		.amdhsa_reserve_vcc 1
		.amdhsa_float_round_mode_32 0
		.amdhsa_float_round_mode_16_64 0
		.amdhsa_float_denorm_mode_32 3
		.amdhsa_float_denorm_mode_16_64 3
		.amdhsa_dx10_clamp 1
		.amdhsa_ieee_mode 1
		.amdhsa_fp16_overflow 0
		.amdhsa_workgroup_processor_mode 1
		.amdhsa_memory_ordered 1
		.amdhsa_forward_progress 0
		.amdhsa_shared_vgpr_count 0
		.amdhsa_exception_fp_ieee_invalid_op 0
		.amdhsa_exception_fp_denorm_src 0
		.amdhsa_exception_fp_ieee_div_zero 0
		.amdhsa_exception_fp_ieee_overflow 0
		.amdhsa_exception_fp_ieee_underflow 0
		.amdhsa_exception_fp_ieee_inexact 0
		.amdhsa_exception_int_div_zero 0
	.end_amdhsa_kernel
	.section	.text._ZN9rocsparseL20bsrxmvn_17_32_kernelILj19E21rocsparse_complex_numIdEllS2_S2_S2_EEvT2_20rocsparse_direction_NS_24const_host_device_scalarIT0_EES3_PKS3_PKT1_SC_S9_PKT3_PKT4_S7_PT5_21rocsparse_index_base_b,"axG",@progbits,_ZN9rocsparseL20bsrxmvn_17_32_kernelILj19E21rocsparse_complex_numIdEllS2_S2_S2_EEvT2_20rocsparse_direction_NS_24const_host_device_scalarIT0_EES3_PKS3_PKT1_SC_S9_PKT3_PKT4_S7_PT5_21rocsparse_index_base_b,comdat
.Lfunc_end178:
	.size	_ZN9rocsparseL20bsrxmvn_17_32_kernelILj19E21rocsparse_complex_numIdEllS2_S2_S2_EEvT2_20rocsparse_direction_NS_24const_host_device_scalarIT0_EES3_PKS3_PKT1_SC_S9_PKT3_PKT4_S7_PT5_21rocsparse_index_base_b, .Lfunc_end178-_ZN9rocsparseL20bsrxmvn_17_32_kernelILj19E21rocsparse_complex_numIdEllS2_S2_S2_EEvT2_20rocsparse_direction_NS_24const_host_device_scalarIT0_EES3_PKS3_PKT1_SC_S9_PKT3_PKT4_S7_PT5_21rocsparse_index_base_b
                                        ; -- End function
	.section	.AMDGPU.csdata,"",@progbits
; Kernel info:
; codeLenInByte = 2152
; NumSgprs: 24
; NumVgprs: 30
; ScratchSize: 0
; MemoryBound: 1
; FloatMode: 240
; IeeeMode: 1
; LDSByteSize: 11552 bytes/workgroup (compile time only)
; SGPRBlocks: 2
; VGPRBlocks: 3
; NumSGPRsForWavesPerEU: 24
; NumVGPRsForWavesPerEU: 30
; Occupancy: 15
; WaveLimiterHint : 1
; COMPUTE_PGM_RSRC2:SCRATCH_EN: 0
; COMPUTE_PGM_RSRC2:USER_SGPR: 15
; COMPUTE_PGM_RSRC2:TRAP_HANDLER: 0
; COMPUTE_PGM_RSRC2:TGID_X_EN: 1
; COMPUTE_PGM_RSRC2:TGID_Y_EN: 0
; COMPUTE_PGM_RSRC2:TGID_Z_EN: 0
; COMPUTE_PGM_RSRC2:TIDIG_COMP_CNT: 2
	.section	.text._ZN9rocsparseL20bsrxmvn_17_32_kernelILj20E21rocsparse_complex_numIdEllS2_S2_S2_EEvT2_20rocsparse_direction_NS_24const_host_device_scalarIT0_EES3_PKS3_PKT1_SC_S9_PKT3_PKT4_S7_PT5_21rocsparse_index_base_b,"axG",@progbits,_ZN9rocsparseL20bsrxmvn_17_32_kernelILj20E21rocsparse_complex_numIdEllS2_S2_S2_EEvT2_20rocsparse_direction_NS_24const_host_device_scalarIT0_EES3_PKS3_PKT1_SC_S9_PKT3_PKT4_S7_PT5_21rocsparse_index_base_b,comdat
	.globl	_ZN9rocsparseL20bsrxmvn_17_32_kernelILj20E21rocsparse_complex_numIdEllS2_S2_S2_EEvT2_20rocsparse_direction_NS_24const_host_device_scalarIT0_EES3_PKS3_PKT1_SC_S9_PKT3_PKT4_S7_PT5_21rocsparse_index_base_b ; -- Begin function _ZN9rocsparseL20bsrxmvn_17_32_kernelILj20E21rocsparse_complex_numIdEllS2_S2_S2_EEvT2_20rocsparse_direction_NS_24const_host_device_scalarIT0_EES3_PKS3_PKT1_SC_S9_PKT3_PKT4_S7_PT5_21rocsparse_index_base_b
	.p2align	8
	.type	_ZN9rocsparseL20bsrxmvn_17_32_kernelILj20E21rocsparse_complex_numIdEllS2_S2_S2_EEvT2_20rocsparse_direction_NS_24const_host_device_scalarIT0_EES3_PKS3_PKT1_SC_S9_PKT3_PKT4_S7_PT5_21rocsparse_index_base_b,@function
_ZN9rocsparseL20bsrxmvn_17_32_kernelILj20E21rocsparse_complex_numIdEllS2_S2_S2_EEvT2_20rocsparse_direction_NS_24const_host_device_scalarIT0_EES3_PKS3_PKT1_SC_S9_PKT3_PKT4_S7_PT5_21rocsparse_index_base_b: ; @_ZN9rocsparseL20bsrxmvn_17_32_kernelILj20E21rocsparse_complex_numIdEllS2_S2_S2_EEvT2_20rocsparse_direction_NS_24const_host_device_scalarIT0_EES3_PKS3_PKT1_SC_S9_PKT3_PKT4_S7_PT5_21rocsparse_index_base_b
; %bb.0:
	s_mov_b32 s12, s15
	s_clause 0x1
	s_load_b64 s[14:15], s[2:3], 0x70
	s_load_b128 s[4:7], s[2:3], 0x10
	s_load_b64 s[16:17], s[0:1], 0x4
	s_mov_b64 s[0:1], src_shared_base
	v_and_b32_e32 v18, 0x3ff, v0
	s_load_b128 s[8:11], s[2:3], 0x58
	v_bfe_u32 v2, v0, 10, 10
	v_bfe_u32 v0, v0, 20, 10
	s_waitcnt lgkmcnt(0)
	s_bitcmp1_b32 s15, 0
	v_mov_b32_e32 v11, s7
	s_cselect_b32 s0, -1, 0
	v_mov_b32_e32 v10, s6
	s_and_b32 vcc_lo, s0, exec_lo
	s_cselect_b32 s13, s1, s5
	s_lshr_b32 s15, s16, 16
	s_xor_b32 s6, s0, -1
	s_mul_i32 s15, s15, s17
	v_mov_b32_e32 v5, s13
	v_mul_lo_u32 v1, s15, v18
	s_delay_alu instid0(VALU_DEP_1) | instskip(SKIP_1) | instid1(VALU_DEP_2)
	v_mad_u32_u24 v1, v2, s17, v1
	v_dual_mov_b32 v2, s8 :: v_dual_mov_b32 v3, s9
	v_add_lshl_u32 v6, v1, v0, 3
	v_dual_mov_b32 v0, s4 :: v_dual_mov_b32 v1, s5
	ds_store_b64 v6, v[0:1] offset:9600
	ds_store_b64 v6, v[2:3] offset:6400
	v_add_nc_u32_e32 v4, 0x2580, v6
	v_add_nc_u32_e32 v0, 0x1900, v6
	s_delay_alu instid0(VALU_DEP_2)
	v_cndmask_b32_e64 v4, s4, v4, s0
	flat_load_b64 v[8:9], v[4:5]
	s_cbranch_vccnz .LBB179_2
; %bb.1:
	v_dual_mov_b32 v1, s4 :: v_dual_mov_b32 v2, s5
	flat_load_b64 v[10:11], v[1:2] offset:8
.LBB179_2:
	s_and_b32 s4, s0, exec_lo
	s_cselect_b32 s1, s1, s9
	v_cndmask_b32_e64 v0, s8, v0, s0
	v_dual_mov_b32 v1, s1 :: v_dual_mov_b32 v6, s10
	v_mov_b32_e32 v7, s11
	s_and_not1_b32 vcc_lo, exec_lo, s6
	flat_load_b64 v[4:5], v[0:1]
	s_cbranch_vccnz .LBB179_4
; %bb.3:
	v_dual_mov_b32 v0, s8 :: v_dual_mov_b32 v1, s9
	flat_load_b64 v[6:7], v[0:1] offset:8
.LBB179_4:
	s_waitcnt vmcnt(1) lgkmcnt(1)
	v_cmp_eq_f64_e32 vcc_lo, 0, v[8:9]
	v_cmp_eq_f64_e64 s0, 0, v[10:11]
	s_delay_alu instid0(VALU_DEP_1)
	s_and_b32 s4, vcc_lo, s0
	s_mov_b32 s0, -1
	s_and_saveexec_b32 s1, s4
	s_cbranch_execz .LBB179_6
; %bb.5:
	s_waitcnt vmcnt(0) lgkmcnt(0)
	v_cmp_neq_f64_e32 vcc_lo, 1.0, v[4:5]
	v_cmp_neq_f64_e64 s0, 0, v[6:7]
	s_delay_alu instid0(VALU_DEP_1) | instskip(NEXT) | instid1(SALU_CYCLE_1)
	s_or_b32 s0, vcc_lo, s0
	s_or_not1_b32 s0, s0, exec_lo
.LBB179_6:
	s_or_b32 exec_lo, exec_lo, s1
	s_and_saveexec_b32 s1, s0
	s_cbranch_execz .LBB179_43
; %bb.7:
	s_clause 0x1
	s_load_b128 s[4:7], s[2:3], 0x28
	s_load_b64 s[8:9], s[2:3], 0x38
	s_mov_b32 s13, 0
	s_waitcnt lgkmcnt(0)
	s_cmp_eq_u64 s[4:5], 0
	s_cbranch_scc1 .LBB179_9
; %bb.8:
	s_lshl_b64 s[0:1], s[12:13], 3
	s_delay_alu instid0(SALU_CYCLE_1)
	s_add_u32 s0, s4, s0
	s_addc_u32 s1, s5, s1
	s_load_b64 s[0:1], s[0:1], 0x0
	s_waitcnt lgkmcnt(0)
	s_sub_u32 s12, s0, s14
	s_subb_u32 s13, s1, 0
.LBB179_9:
	s_load_b32 s1, s[2:3], 0x8
	v_mul_u32_u24_e32 v0, 0xccd, v18
	v_dual_mov_b32 v2, 0 :: v_dual_lshlrev_b32 v19, 4, v18
	v_mov_b32_e32 v3, 0
	s_delay_alu instid0(VALU_DEP_3) | instskip(NEXT) | instid1(VALU_DEP_1)
	v_lshrrev_b32_e32 v12, 16, v0
	v_mul_lo_u16 v0, v12, 20
	s_delay_alu instid0(VALU_DEP_1) | instskip(NEXT) | instid1(VALU_DEP_4)
	v_sub_nc_u16 v20, v18, v0
	v_dual_mov_b32 v0, v2 :: v_dual_mov_b32 v1, v3
	s_waitcnt lgkmcnt(0)
	s_cmp_eq_u32 s1, 1
	s_cselect_b32 s0, -1, 0
	s_cmp_lg_u32 s1, 1
	s_cselect_b32 s1, -1, 0
	s_lshl_b64 s[4:5], s[12:13], 3
	s_delay_alu instid0(SALU_CYCLE_1)
	s_add_u32 s6, s6, s4
	s_addc_u32 s7, s7, s5
	s_add_u32 s10, s6, 8
	s_addc_u32 s11, s7, 0
	s_add_u32 s4, s8, s4
	s_addc_u32 s5, s9, s5
	s_cmp_eq_u64 s[8:9], 0
	s_load_b64 s[8:9], s[2:3], 0x68
	s_cselect_b32 s5, s11, s5
	s_cselect_b32 s4, s10, s4
	s_load_b64 s[16:17], s[6:7], 0x0
	s_load_b64 s[10:11], s[4:5], 0x0
	s_waitcnt lgkmcnt(0)
	v_cmp_ge_i64_e64 s4, s[16:17], s[10:11]
	s_delay_alu instid0(VALU_DEP_1)
	s_and_b32 vcc_lo, exec_lo, s4
	s_cbranch_vccnz .LBB179_14
; %bb.10:
	v_mul_lo_u16 v0, v12, 13
	v_and_b32_e32 v1, 0xffff, v18
	s_clause 0x1
	s_load_b64 s[18:19], s[2:3], 0x50
	s_load_b128 s[4:7], s[2:3], 0x40
	s_sub_u32 s2, s10, s14
	v_and_b32_e32 v2, 0xffff, v20
	v_lshrrev_b16 v0, 8, v0
	v_mul_u32_u24_e32 v1, 0xa4, v1
	s_subb_u32 s3, s11, 0
	s_sub_u32 s10, s16, s14
	s_subb_u32 s11, s17, 0
	v_mul_lo_u16 v0, v0, 20
	v_lshrrev_b32_e32 v21, 16, v1
	s_mul_hi_u32 s15, s10, 0x1900
	s_mul_i32 s21, s11, 0x1900
	s_mul_i32 s20, s10, 0x1900
	v_sub_nc_u16 v0, v12, v0
	v_add_co_u32 v1, s16, s16, v21
	s_delay_alu instid0(VALU_DEP_1) | instskip(NEXT) | instid1(VALU_DEP_3)
	v_add_co_ci_u32_e64 v3, null, s17, 0, s16
	v_and_b32_e32 v0, 0xff, v0
	s_add_i32 s15, s15, s21
	s_delay_alu instid0(VALU_DEP_1) | instskip(SKIP_2) | instid1(VALU_DEP_3)
	v_cndmask_b32_e64 v2, v2, v0, s0
	v_sub_co_u32 v0, vcc_lo, v1, s14
	v_subrev_co_ci_u32_e32 v1, vcc_lo, 0, v3, vcc_lo
	v_lshlrev_b32_e32 v2, 4, v2
	s_waitcnt lgkmcnt(0)
	s_add_u32 s0, s6, s20
	s_addc_u32 s6, s7, s15
	v_lshlrev_b64 v[0:1], 3, v[0:1]
	v_add_co_u32 v14, s0, s0, v19
	v_add_co_u32 v12, s7, s18, v2
	v_mov_b32_e32 v2, 0
	v_mov_b32_e32 v3, 0
	v_add_co_u32 v16, vcc_lo, s4, v0
	v_add_co_ci_u32_e64 v13, null, s19, 0, s7
	v_add_co_ci_u32_e64 v15, null, s6, 0, s0
	v_add_co_ci_u32_e32 v17, vcc_lo, s5, v1, vcc_lo
	v_dual_mov_b32 v0, v2 :: v_dual_mov_b32 v1, v3
	s_set_inst_prefetch_distance 0x1
	s_branch .LBB179_12
	.p2align	6
.LBB179_11:                             ;   in Loop: Header=BB179_12 Depth=1
	s_or_b32 exec_lo, exec_lo, s0
	s_add_u32 s10, s10, 1
	s_addc_u32 s11, s11, 0
	v_add_co_u32 v16, vcc_lo, v16, 8
	v_cmp_lt_i64_e64 s0, s[10:11], s[2:3]
	v_add_co_ci_u32_e32 v17, vcc_lo, 0, v17, vcc_lo
	s_delay_alu instid0(VALU_DEP_2)
	s_and_b32 vcc_lo, exec_lo, s0
	s_cbranch_vccz .LBB179_14
.LBB179_12:                             ; =>This Inner Loop Header: Depth=1
	v_add_co_u32 v22, s0, v21, s10
	s_delay_alu instid0(VALU_DEP_1) | instskip(SKIP_1) | instid1(VALU_DEP_1)
	v_add_co_ci_u32_e64 v23, null, 0, s11, s0
	s_mov_b32 s0, exec_lo
	v_cmpx_gt_i64_e64 s[2:3], v[22:23]
	s_cbranch_execz .LBB179_11
; %bb.13:                               ;   in Loop: Header=BB179_12 Depth=1
	global_load_b64 v[22:23], v[16:17], off
	s_waitcnt vmcnt(0)
	v_sub_co_u32 v22, vcc_lo, v22, s14
	v_subrev_co_ci_u32_e32 v25, vcc_lo, 0, v23, vcc_lo
	s_delay_alu instid0(VALU_DEP_2) | instskip(NEXT) | instid1(VALU_DEP_1)
	v_mad_u64_u32 v[26:27], null, 0x140, v22, v[12:13]
	v_mov_b32_e32 v22, v27
	s_delay_alu instid0(VALU_DEP_1) | instskip(NEXT) | instid1(VALU_DEP_1)
	v_mad_u64_u32 v[23:24], null, 0x140, v25, v[22:23]
	v_mov_b32_e32 v27, v23
	global_load_b128 v[22:25], v[14:15], off
	global_load_b128 v[26:29], v[26:27], off
	v_add_co_u32 v14, vcc_lo, 0x1900, v14
	v_add_co_ci_u32_e32 v15, vcc_lo, 0, v15, vcc_lo
	s_waitcnt vmcnt(0)
	v_fma_f64 v[0:1], v[22:23], v[26:27], v[0:1]
	v_fma_f64 v[2:3], v[24:25], v[26:27], v[2:3]
	s_delay_alu instid0(VALU_DEP_2) | instskip(NEXT) | instid1(VALU_DEP_2)
	v_fma_f64 v[0:1], -v[24:25], v[28:29], v[0:1]
	v_fma_f64 v[2:3], v[22:23], v[28:29], v[2:3]
	s_branch .LBB179_11
.LBB179_14:
	s_set_inst_prefetch_distance 0x2
	s_and_b32 vcc_lo, exec_lo, s1
	ds_store_b128 v19, v[0:3]
	s_waitcnt vmcnt(0) lgkmcnt(0)
	s_barrier
	buffer_gl0_inv
	s_cbranch_vccz .LBB179_26
; %bb.15:
	v_cmp_gt_u16_e32 vcc_lo, 4, v20
	s_and_saveexec_b32 s0, vcc_lo
	s_cbranch_execz .LBB179_17
; %bb.16:
	ds_load_b128 v[12:15], v19 offset:256
	ds_load_b128 v[21:24], v19
	s_waitcnt lgkmcnt(0)
	v_add_f64 v[12:13], v[12:13], v[21:22]
	v_add_f64 v[14:15], v[14:15], v[23:24]
	ds_store_b128 v19, v[12:15]
.LBB179_17:
	s_or_b32 exec_lo, exec_lo, s0
	s_delay_alu instid0(SALU_CYCLE_1)
	s_mov_b32 s1, exec_lo
	s_waitcnt lgkmcnt(0)
	s_barrier
	buffer_gl0_inv
	v_cmpx_gt_u16_e32 8, v20
	s_cbranch_execz .LBB179_19
; %bb.18:
	ds_load_b128 v[12:15], v19 offset:128
	ds_load_b128 v[21:24], v19
	s_waitcnt lgkmcnt(0)
	v_add_f64 v[12:13], v[12:13], v[21:22]
	v_add_f64 v[14:15], v[14:15], v[23:24]
	ds_store_b128 v19, v[12:15]
.LBB179_19:
	s_or_b32 exec_lo, exec_lo, s1
	s_waitcnt lgkmcnt(0)
	s_barrier
	buffer_gl0_inv
	s_and_saveexec_b32 s0, vcc_lo
	s_cbranch_execz .LBB179_21
; %bb.20:
	ds_load_b128 v[12:15], v19 offset:64
	ds_load_b128 v[21:24], v19
	s_waitcnt lgkmcnt(0)
	v_add_f64 v[12:13], v[12:13], v[21:22]
	v_add_f64 v[14:15], v[14:15], v[23:24]
	ds_store_b128 v19, v[12:15]
.LBB179_21:
	s_or_b32 exec_lo, exec_lo, s0
	s_delay_alu instid0(SALU_CYCLE_1)
	s_mov_b32 s0, exec_lo
	s_waitcnt lgkmcnt(0)
	s_barrier
	buffer_gl0_inv
	v_cmpx_gt_u16_e32 2, v20
	s_cbranch_execz .LBB179_23
; %bb.22:
	ds_load_b128 v[12:15], v19
	ds_load_b128 v[20:23], v19 offset:32
	s_waitcnt lgkmcnt(0)
	v_add_f64 v[12:13], v[20:21], v[12:13]
	v_add_f64 v[14:15], v[22:23], v[14:15]
	ds_store_b128 v19, v[12:15]
.LBB179_23:
	s_or_b32 exec_lo, exec_lo, s0
	v_dual_mov_b32 v15, v3 :: v_dual_mov_b32 v14, v2
	v_dual_mov_b32 v13, v1 :: v_dual_mov_b32 v12, v0
	s_mov_b32 s0, exec_lo
	s_waitcnt lgkmcnt(0)
	s_barrier
	buffer_gl0_inv
	v_cmpx_gt_u32_e32 20, v18
	s_cbranch_execz .LBB179_25
; %bb.24:
	v_mul_u32_u24_e32 v12, 20, v18
	s_delay_alu instid0(VALU_DEP_1)
	v_lshlrev_b32_e32 v16, 4, v12
	ds_load_b128 v[12:15], v16
	ds_load_b128 v[20:23], v16 offset:16
	s_waitcnt lgkmcnt(0)
	v_add_f64 v[12:13], v[20:21], v[12:13]
	v_add_f64 v[14:15], v[22:23], v[14:15]
.LBB179_25:
	s_or_b32 exec_lo, exec_lo, s0
	s_branch .LBB179_38
.LBB179_26:
                                        ; implicit-def: $vgpr14_vgpr15
                                        ; implicit-def: $vgpr12_vgpr13
	s_cbranch_execz .LBB179_38
; %bb.27:
	v_cmp_gt_u32_e32 vcc_lo, 0x50, v18
	s_and_saveexec_b32 s0, vcc_lo
	s_cbranch_execz .LBB179_29
; %bb.28:
	ds_load_b128 v[12:15], v19 offset:5120
	ds_load_b128 v[20:23], v19
	s_waitcnt lgkmcnt(0)
	v_add_f64 v[12:13], v[12:13], v[20:21]
	v_add_f64 v[14:15], v[14:15], v[22:23]
	ds_store_b128 v19, v[12:15]
.LBB179_29:
	s_or_b32 exec_lo, exec_lo, s0
	s_delay_alu instid0(SALU_CYCLE_1)
	s_mov_b32 s1, exec_lo
	s_waitcnt lgkmcnt(0)
	s_barrier
	buffer_gl0_inv
	v_cmpx_gt_u32_e32 0xa0, v18
	s_cbranch_execz .LBB179_31
; %bb.30:
	ds_load_b128 v[12:15], v19 offset:2560
	ds_load_b128 v[20:23], v19
	s_waitcnt lgkmcnt(0)
	v_add_f64 v[12:13], v[12:13], v[20:21]
	v_add_f64 v[14:15], v[14:15], v[22:23]
	ds_store_b128 v19, v[12:15]
.LBB179_31:
	s_or_b32 exec_lo, exec_lo, s1
	s_waitcnt lgkmcnt(0)
	s_barrier
	buffer_gl0_inv
	s_and_saveexec_b32 s0, vcc_lo
	s_cbranch_execz .LBB179_33
; %bb.32:
	ds_load_b128 v[12:15], v19 offset:1280
	ds_load_b128 v[20:23], v19
	s_waitcnt lgkmcnt(0)
	v_add_f64 v[12:13], v[12:13], v[20:21]
	v_add_f64 v[14:15], v[14:15], v[22:23]
	ds_store_b128 v19, v[12:15]
.LBB179_33:
	s_or_b32 exec_lo, exec_lo, s0
	s_delay_alu instid0(SALU_CYCLE_1)
	s_mov_b32 s0, exec_lo
	s_waitcnt lgkmcnt(0)
	s_barrier
	buffer_gl0_inv
	v_cmpx_gt_u32_e32 40, v18
	s_cbranch_execz .LBB179_35
; %bb.34:
	ds_load_b128 v[12:15], v19 offset:640
	ds_load_b128 v[20:23], v19
	s_waitcnt lgkmcnt(0)
	v_add_f64 v[12:13], v[12:13], v[20:21]
	v_add_f64 v[14:15], v[14:15], v[22:23]
	ds_store_b128 v19, v[12:15]
.LBB179_35:
	s_or_b32 exec_lo, exec_lo, s0
	s_delay_alu instid0(SALU_CYCLE_1)
	s_mov_b32 s0, exec_lo
	s_waitcnt lgkmcnt(0)
	buffer_gl0_inv
	v_cmpx_gt_u32_e32 20, v18
	s_cbranch_execz .LBB179_37
; %bb.36:
	ds_load_b128 v[0:3], v19 offset:320
	ds_load_b128 v[12:15], v19
	s_waitcnt lgkmcnt(0)
	v_add_f64 v[0:1], v[0:1], v[12:13]
	v_add_f64 v[2:3], v[2:3], v[14:15]
.LBB179_37:
	s_or_b32 exec_lo, exec_lo, s0
	s_delay_alu instid0(VALU_DEP_1) | instskip(NEXT) | instid1(VALU_DEP_3)
	v_dual_mov_b32 v15, v3 :: v_dual_mov_b32 v14, v2
	v_dual_mov_b32 v13, v1 :: v_dual_mov_b32 v12, v0
.LBB179_38:
	v_cmp_gt_u32_e32 vcc_lo, 20, v18
	s_and_b32 exec_lo, exec_lo, vcc_lo
	s_cbranch_execz .LBB179_43
; %bb.39:
	s_delay_alu instid0(VALU_DEP_2)
	v_mul_f64 v[0:1], v[14:15], -v[10:11]
	v_mul_f64 v[2:3], v[8:9], v[14:15]
	v_cmp_eq_f64_e32 vcc_lo, 0, v[4:5]
	v_cmp_eq_f64_e64 s0, 0, v[6:7]
	s_mul_hi_u32 s1, s12, 0x140
	s_mul_i32 s2, s12, 0x140
	s_delay_alu instid0(VALU_DEP_4) | instskip(NEXT) | instid1(VALU_DEP_4)
	v_fma_f64 v[0:1], v[8:9], v[12:13], v[0:1]
	v_fma_f64 v[2:3], v[10:11], v[12:13], v[2:3]
	s_delay_alu instid0(VALU_DEP_3) | instskip(SKIP_2) | instid1(SALU_CYCLE_1)
	s_and_b32 s3, vcc_lo, s0
	s_mul_i32 s0, s13, 0x140
	s_and_saveexec_b32 s4, s3
	s_xor_b32 s3, exec_lo, s4
	s_cbranch_execz .LBB179_41
; %bb.40:
	s_add_i32 s5, s1, s0
	s_add_u32 s4, s8, s2
	s_addc_u32 s5, s9, s5
                                        ; implicit-def: $vgpr4_vgpr5
                                        ; implicit-def: $vgpr6_vgpr7
	global_store_b128 v19, v[0:3], s[4:5]
                                        ; implicit-def: $vgpr19
                                        ; implicit-def: $vgpr0_vgpr1
.LBB179_41:
	s_and_not1_saveexec_b32 s3, s3
	s_cbranch_execz .LBB179_43
; %bb.42:
	s_add_i32 s1, s1, s0
	s_add_u32 s0, s8, s2
	s_addc_u32 s1, s9, s1
	global_load_b128 v[8:11], v19, s[0:1]
	s_waitcnt vmcnt(0)
	v_fma_f64 v[0:1], v[4:5], v[8:9], v[0:1]
	v_fma_f64 v[2:3], v[6:7], v[8:9], v[2:3]
	s_delay_alu instid0(VALU_DEP_2) | instskip(NEXT) | instid1(VALU_DEP_2)
	v_fma_f64 v[0:1], -v[6:7], v[10:11], v[0:1]
	v_fma_f64 v[2:3], v[4:5], v[10:11], v[2:3]
	global_store_b128 v19, v[0:3], s[0:1]
.LBB179_43:
	s_nop 0
	s_sendmsg sendmsg(MSG_DEALLOC_VGPRS)
	s_endpgm
	.section	.rodata,"a",@progbits
	.p2align	6, 0x0
	.amdhsa_kernel _ZN9rocsparseL20bsrxmvn_17_32_kernelILj20E21rocsparse_complex_numIdEllS2_S2_S2_EEvT2_20rocsparse_direction_NS_24const_host_device_scalarIT0_EES3_PKS3_PKT1_SC_S9_PKT3_PKT4_S7_PT5_21rocsparse_index_base_b
		.amdhsa_group_segment_fixed_size 12800
		.amdhsa_private_segment_fixed_size 0
		.amdhsa_kernarg_size 120
		.amdhsa_user_sgpr_count 15
		.amdhsa_user_sgpr_dispatch_ptr 1
		.amdhsa_user_sgpr_queue_ptr 0
		.amdhsa_user_sgpr_kernarg_segment_ptr 1
		.amdhsa_user_sgpr_dispatch_id 0
		.amdhsa_user_sgpr_private_segment_size 0
		.amdhsa_wavefront_size32 1
		.amdhsa_uses_dynamic_stack 0
		.amdhsa_enable_private_segment 0
		.amdhsa_system_sgpr_workgroup_id_x 1
		.amdhsa_system_sgpr_workgroup_id_y 0
		.amdhsa_system_sgpr_workgroup_id_z 0
		.amdhsa_system_sgpr_workgroup_info 0
		.amdhsa_system_vgpr_workitem_id 2
		.amdhsa_next_free_vgpr 30
		.amdhsa_next_free_sgpr 22
		.amdhsa_reserve_vcc 1
		.amdhsa_float_round_mode_32 0
		.amdhsa_float_round_mode_16_64 0
		.amdhsa_float_denorm_mode_32 3
		.amdhsa_float_denorm_mode_16_64 3
		.amdhsa_dx10_clamp 1
		.amdhsa_ieee_mode 1
		.amdhsa_fp16_overflow 0
		.amdhsa_workgroup_processor_mode 1
		.amdhsa_memory_ordered 1
		.amdhsa_forward_progress 0
		.amdhsa_shared_vgpr_count 0
		.amdhsa_exception_fp_ieee_invalid_op 0
		.amdhsa_exception_fp_denorm_src 0
		.amdhsa_exception_fp_ieee_div_zero 0
		.amdhsa_exception_fp_ieee_overflow 0
		.amdhsa_exception_fp_ieee_underflow 0
		.amdhsa_exception_fp_ieee_inexact 0
		.amdhsa_exception_int_div_zero 0
	.end_amdhsa_kernel
	.section	.text._ZN9rocsparseL20bsrxmvn_17_32_kernelILj20E21rocsparse_complex_numIdEllS2_S2_S2_EEvT2_20rocsparse_direction_NS_24const_host_device_scalarIT0_EES3_PKS3_PKT1_SC_S9_PKT3_PKT4_S7_PT5_21rocsparse_index_base_b,"axG",@progbits,_ZN9rocsparseL20bsrxmvn_17_32_kernelILj20E21rocsparse_complex_numIdEllS2_S2_S2_EEvT2_20rocsparse_direction_NS_24const_host_device_scalarIT0_EES3_PKS3_PKT1_SC_S9_PKT3_PKT4_S7_PT5_21rocsparse_index_base_b,comdat
.Lfunc_end179:
	.size	_ZN9rocsparseL20bsrxmvn_17_32_kernelILj20E21rocsparse_complex_numIdEllS2_S2_S2_EEvT2_20rocsparse_direction_NS_24const_host_device_scalarIT0_EES3_PKS3_PKT1_SC_S9_PKT3_PKT4_S7_PT5_21rocsparse_index_base_b, .Lfunc_end179-_ZN9rocsparseL20bsrxmvn_17_32_kernelILj20E21rocsparse_complex_numIdEllS2_S2_S2_EEvT2_20rocsparse_direction_NS_24const_host_device_scalarIT0_EES3_PKS3_PKT1_SC_S9_PKT3_PKT4_S7_PT5_21rocsparse_index_base_b
                                        ; -- End function
	.section	.AMDGPU.csdata,"",@progbits
; Kernel info:
; codeLenInByte = 2136
; NumSgprs: 24
; NumVgprs: 30
; ScratchSize: 0
; MemoryBound: 1
; FloatMode: 240
; IeeeMode: 1
; LDSByteSize: 12800 bytes/workgroup (compile time only)
; SGPRBlocks: 2
; VGPRBlocks: 3
; NumSGPRsForWavesPerEU: 24
; NumVGPRsForWavesPerEU: 30
; Occupancy: 13
; WaveLimiterHint : 1
; COMPUTE_PGM_RSRC2:SCRATCH_EN: 0
; COMPUTE_PGM_RSRC2:USER_SGPR: 15
; COMPUTE_PGM_RSRC2:TRAP_HANDLER: 0
; COMPUTE_PGM_RSRC2:TGID_X_EN: 1
; COMPUTE_PGM_RSRC2:TGID_Y_EN: 0
; COMPUTE_PGM_RSRC2:TGID_Z_EN: 0
; COMPUTE_PGM_RSRC2:TIDIG_COMP_CNT: 2
	.section	.text._ZN9rocsparseL20bsrxmvn_17_32_kernelILj21E21rocsparse_complex_numIdEllS2_S2_S2_EEvT2_20rocsparse_direction_NS_24const_host_device_scalarIT0_EES3_PKS3_PKT1_SC_S9_PKT3_PKT4_S7_PT5_21rocsparse_index_base_b,"axG",@progbits,_ZN9rocsparseL20bsrxmvn_17_32_kernelILj21E21rocsparse_complex_numIdEllS2_S2_S2_EEvT2_20rocsparse_direction_NS_24const_host_device_scalarIT0_EES3_PKS3_PKT1_SC_S9_PKT3_PKT4_S7_PT5_21rocsparse_index_base_b,comdat
	.globl	_ZN9rocsparseL20bsrxmvn_17_32_kernelILj21E21rocsparse_complex_numIdEllS2_S2_S2_EEvT2_20rocsparse_direction_NS_24const_host_device_scalarIT0_EES3_PKS3_PKT1_SC_S9_PKT3_PKT4_S7_PT5_21rocsparse_index_base_b ; -- Begin function _ZN9rocsparseL20bsrxmvn_17_32_kernelILj21E21rocsparse_complex_numIdEllS2_S2_S2_EEvT2_20rocsparse_direction_NS_24const_host_device_scalarIT0_EES3_PKS3_PKT1_SC_S9_PKT3_PKT4_S7_PT5_21rocsparse_index_base_b
	.p2align	8
	.type	_ZN9rocsparseL20bsrxmvn_17_32_kernelILj21E21rocsparse_complex_numIdEllS2_S2_S2_EEvT2_20rocsparse_direction_NS_24const_host_device_scalarIT0_EES3_PKS3_PKT1_SC_S9_PKT3_PKT4_S7_PT5_21rocsparse_index_base_b,@function
_ZN9rocsparseL20bsrxmvn_17_32_kernelILj21E21rocsparse_complex_numIdEllS2_S2_S2_EEvT2_20rocsparse_direction_NS_24const_host_device_scalarIT0_EES3_PKS3_PKT1_SC_S9_PKT3_PKT4_S7_PT5_21rocsparse_index_base_b: ; @_ZN9rocsparseL20bsrxmvn_17_32_kernelILj21E21rocsparse_complex_numIdEllS2_S2_S2_EEvT2_20rocsparse_direction_NS_24const_host_device_scalarIT0_EES3_PKS3_PKT1_SC_S9_PKT3_PKT4_S7_PT5_21rocsparse_index_base_b
; %bb.0:
	s_mov_b32 s12, s15
	s_clause 0x1
	s_load_b64 s[14:15], s[2:3], 0x70
	s_load_b128 s[4:7], s[2:3], 0x10
	s_load_b64 s[16:17], s[0:1], 0x4
	s_mov_b64 s[0:1], src_shared_base
	v_and_b32_e32 v18, 0x3ff, v0
	s_load_b128 s[8:11], s[2:3], 0x58
	v_bfe_u32 v2, v0, 10, 10
	v_bfe_u32 v0, v0, 20, 10
	s_waitcnt lgkmcnt(0)
	s_bitcmp1_b32 s15, 0
	v_mov_b32_e32 v11, s7
	s_cselect_b32 s0, -1, 0
	v_mov_b32_e32 v10, s6
	s_and_b32 vcc_lo, s0, exec_lo
	s_cselect_b32 s13, s1, s5
	s_lshr_b32 s15, s16, 16
	s_xor_b32 s6, s0, -1
	s_mul_i32 s15, s15, s17
	v_mov_b32_e32 v5, s13
	v_mul_lo_u32 v1, s15, v18
	s_delay_alu instid0(VALU_DEP_1) | instskip(SKIP_1) | instid1(VALU_DEP_2)
	v_mad_u32_u24 v1, v2, s17, v1
	v_dual_mov_b32 v2, s8 :: v_dual_mov_b32 v3, s9
	v_add_lshl_u32 v6, v1, v0, 3
	v_dual_mov_b32 v0, s4 :: v_dual_mov_b32 v1, s5
	ds_store_b64 v6, v[0:1] offset:10584
	ds_store_b64 v6, v[2:3] offset:7056
	v_add_nc_u32_e32 v4, 0x2958, v6
	v_add_nc_u32_e32 v0, 0x1b90, v6
	s_delay_alu instid0(VALU_DEP_2)
	v_cndmask_b32_e64 v4, s4, v4, s0
	flat_load_b64 v[8:9], v[4:5]
	s_cbranch_vccnz .LBB180_2
; %bb.1:
	v_dual_mov_b32 v1, s4 :: v_dual_mov_b32 v2, s5
	flat_load_b64 v[10:11], v[1:2] offset:8
.LBB180_2:
	s_and_b32 s4, s0, exec_lo
	s_cselect_b32 s1, s1, s9
	v_cndmask_b32_e64 v0, s8, v0, s0
	v_dual_mov_b32 v1, s1 :: v_dual_mov_b32 v6, s10
	v_mov_b32_e32 v7, s11
	s_and_not1_b32 vcc_lo, exec_lo, s6
	flat_load_b64 v[4:5], v[0:1]
	s_cbranch_vccnz .LBB180_4
; %bb.3:
	v_dual_mov_b32 v0, s8 :: v_dual_mov_b32 v1, s9
	flat_load_b64 v[6:7], v[0:1] offset:8
.LBB180_4:
	s_waitcnt vmcnt(1) lgkmcnt(1)
	v_cmp_eq_f64_e32 vcc_lo, 0, v[8:9]
	v_cmp_eq_f64_e64 s0, 0, v[10:11]
	s_delay_alu instid0(VALU_DEP_1)
	s_and_b32 s4, vcc_lo, s0
	s_mov_b32 s0, -1
	s_and_saveexec_b32 s1, s4
	s_cbranch_execz .LBB180_6
; %bb.5:
	s_waitcnt vmcnt(0) lgkmcnt(0)
	v_cmp_neq_f64_e32 vcc_lo, 1.0, v[4:5]
	v_cmp_neq_f64_e64 s0, 0, v[6:7]
	s_delay_alu instid0(VALU_DEP_1) | instskip(NEXT) | instid1(SALU_CYCLE_1)
	s_or_b32 s0, vcc_lo, s0
	s_or_not1_b32 s0, s0, exec_lo
.LBB180_6:
	s_or_b32 exec_lo, exec_lo, s1
	s_and_saveexec_b32 s1, s0
	s_cbranch_execz .LBB180_43
; %bb.7:
	s_clause 0x1
	s_load_b128 s[4:7], s[2:3], 0x28
	s_load_b64 s[8:9], s[2:3], 0x38
	s_mov_b32 s13, 0
	s_waitcnt lgkmcnt(0)
	s_cmp_eq_u64 s[4:5], 0
	s_cbranch_scc1 .LBB180_9
; %bb.8:
	s_lshl_b64 s[0:1], s[12:13], 3
	s_delay_alu instid0(SALU_CYCLE_1)
	s_add_u32 s0, s4, s0
	s_addc_u32 s1, s5, s1
	s_load_b64 s[0:1], s[0:1], 0x0
	s_waitcnt lgkmcnt(0)
	s_sub_u32 s12, s0, s14
	s_subb_u32 s13, s1, 0
.LBB180_9:
	s_load_b32 s1, s[2:3], 0x8
	v_mul_u32_u24_e32 v0, 0xc31, v18
	v_dual_mov_b32 v2, 0 :: v_dual_lshlrev_b32 v19, 4, v18
	v_mov_b32_e32 v3, 0
	s_delay_alu instid0(VALU_DEP_3) | instskip(NEXT) | instid1(VALU_DEP_1)
	v_lshrrev_b32_e32 v12, 16, v0
	v_mul_lo_u16 v0, v12, 21
	s_delay_alu instid0(VALU_DEP_1) | instskip(NEXT) | instid1(VALU_DEP_4)
	v_sub_nc_u16 v20, v18, v0
	v_dual_mov_b32 v0, v2 :: v_dual_mov_b32 v1, v3
	s_waitcnt lgkmcnt(0)
	s_cmp_eq_u32 s1, 1
	s_cselect_b32 s0, -1, 0
	s_cmp_lg_u32 s1, 1
	s_cselect_b32 s1, -1, 0
	s_lshl_b64 s[4:5], s[12:13], 3
	s_delay_alu instid0(SALU_CYCLE_1)
	s_add_u32 s6, s6, s4
	s_addc_u32 s7, s7, s5
	s_add_u32 s10, s6, 8
	s_addc_u32 s11, s7, 0
	;; [unrolled: 2-line block ×3, first 2 shown]
	s_cmp_eq_u64 s[8:9], 0
	s_load_b64 s[8:9], s[2:3], 0x68
	s_cselect_b32 s5, s11, s5
	s_cselect_b32 s4, s10, s4
	s_load_b64 s[16:17], s[6:7], 0x0
	s_load_b64 s[10:11], s[4:5], 0x0
	s_waitcnt lgkmcnt(0)
	v_cmp_ge_i64_e64 s4, s[16:17], s[10:11]
	s_delay_alu instid0(VALU_DEP_1)
	s_and_b32 vcc_lo, exec_lo, s4
	s_cbranch_vccnz .LBB180_14
; %bb.10:
	v_mul_lo_u16 v0, v12, 25
	v_and_b32_e32 v1, 0xffff, v18
	s_clause 0x1
	s_load_b64 s[18:19], s[2:3], 0x50
	s_load_b128 s[4:7], s[2:3], 0x40
	s_sub_u32 s2, s10, s14
	v_and_b32_e32 v2, 0xffff, v20
	v_lshrrev_b16 v0, 9, v0
	v_mul_u32_u24_e32 v1, 0x253, v1
	s_subb_u32 s3, s11, 0
	s_sub_u32 s10, s16, s14
	s_subb_u32 s11, s17, 0
	v_mul_lo_u16 v0, v0, 21
	v_lshrrev_b32_e32 v21, 18, v1
	s_mul_hi_u32 s15, s10, 0x1b90
	s_mul_i32 s21, s11, 0x1b90
	s_mul_i32 s20, s10, 0x1b90
	v_sub_nc_u16 v0, v12, v0
	v_add_co_u32 v1, s16, s16, v21
	s_delay_alu instid0(VALU_DEP_1) | instskip(NEXT) | instid1(VALU_DEP_3)
	v_add_co_ci_u32_e64 v3, null, s17, 0, s16
	v_and_b32_e32 v0, 0xff, v0
	s_add_i32 s15, s15, s21
	s_delay_alu instid0(VALU_DEP_1) | instskip(SKIP_2) | instid1(VALU_DEP_3)
	v_cndmask_b32_e64 v2, v2, v0, s0
	v_sub_co_u32 v0, vcc_lo, v1, s14
	v_subrev_co_ci_u32_e32 v1, vcc_lo, 0, v3, vcc_lo
	v_lshlrev_b32_e32 v2, 4, v2
	s_waitcnt lgkmcnt(0)
	s_add_u32 s0, s6, s20
	s_addc_u32 s6, s7, s15
	v_lshlrev_b64 v[0:1], 3, v[0:1]
	v_add_co_u32 v14, s0, s0, v19
	v_add_co_u32 v12, s7, s18, v2
	v_mov_b32_e32 v2, 0
	v_mov_b32_e32 v3, 0
	v_add_co_u32 v16, vcc_lo, s4, v0
	v_add_co_ci_u32_e64 v13, null, s19, 0, s7
	v_add_co_ci_u32_e64 v15, null, s6, 0, s0
	v_add_co_ci_u32_e32 v17, vcc_lo, s5, v1, vcc_lo
	v_dual_mov_b32 v0, v2 :: v_dual_mov_b32 v1, v3
	s_set_inst_prefetch_distance 0x1
	s_branch .LBB180_12
	.p2align	6
.LBB180_11:                             ;   in Loop: Header=BB180_12 Depth=1
	s_or_b32 exec_lo, exec_lo, s0
	s_add_u32 s10, s10, 1
	s_addc_u32 s11, s11, 0
	v_add_co_u32 v16, vcc_lo, v16, 8
	v_cmp_lt_i64_e64 s0, s[10:11], s[2:3]
	v_add_co_ci_u32_e32 v17, vcc_lo, 0, v17, vcc_lo
	s_delay_alu instid0(VALU_DEP_2)
	s_and_b32 vcc_lo, exec_lo, s0
	s_cbranch_vccz .LBB180_14
.LBB180_12:                             ; =>This Inner Loop Header: Depth=1
	v_add_co_u32 v22, s0, v21, s10
	s_delay_alu instid0(VALU_DEP_1) | instskip(SKIP_1) | instid1(VALU_DEP_1)
	v_add_co_ci_u32_e64 v23, null, 0, s11, s0
	s_mov_b32 s0, exec_lo
	v_cmpx_gt_i64_e64 s[2:3], v[22:23]
	s_cbranch_execz .LBB180_11
; %bb.13:                               ;   in Loop: Header=BB180_12 Depth=1
	global_load_b64 v[22:23], v[16:17], off
	s_waitcnt vmcnt(0)
	v_sub_co_u32 v22, vcc_lo, v22, s14
	v_subrev_co_ci_u32_e32 v25, vcc_lo, 0, v23, vcc_lo
	s_delay_alu instid0(VALU_DEP_2) | instskip(NEXT) | instid1(VALU_DEP_1)
	v_mad_u64_u32 v[26:27], null, 0x150, v22, v[12:13]
	v_mov_b32_e32 v22, v27
	s_delay_alu instid0(VALU_DEP_1) | instskip(NEXT) | instid1(VALU_DEP_1)
	v_mad_u64_u32 v[23:24], null, 0x150, v25, v[22:23]
	v_mov_b32_e32 v27, v23
	global_load_b128 v[22:25], v[14:15], off
	global_load_b128 v[26:29], v[26:27], off
	v_add_co_u32 v14, vcc_lo, 0x1b90, v14
	v_add_co_ci_u32_e32 v15, vcc_lo, 0, v15, vcc_lo
	s_waitcnt vmcnt(0)
	v_fma_f64 v[0:1], v[22:23], v[26:27], v[0:1]
	v_fma_f64 v[2:3], v[24:25], v[26:27], v[2:3]
	s_delay_alu instid0(VALU_DEP_2) | instskip(NEXT) | instid1(VALU_DEP_2)
	v_fma_f64 v[0:1], -v[24:25], v[28:29], v[0:1]
	v_fma_f64 v[2:3], v[22:23], v[28:29], v[2:3]
	s_branch .LBB180_11
.LBB180_14:
	s_set_inst_prefetch_distance 0x2
	s_and_b32 vcc_lo, exec_lo, s1
	ds_store_b128 v19, v[0:3]
	s_waitcnt vmcnt(0) lgkmcnt(0)
	s_barrier
	buffer_gl0_inv
	s_cbranch_vccz .LBB180_26
; %bb.15:
	s_mov_b32 s0, exec_lo
	v_cmpx_gt_u16_e32 5, v20
	s_cbranch_execz .LBB180_17
; %bb.16:
	ds_load_b128 v[12:15], v19 offset:256
	ds_load_b128 v[21:24], v19
	s_waitcnt lgkmcnt(0)
	v_add_f64 v[12:13], v[12:13], v[21:22]
	v_add_f64 v[14:15], v[14:15], v[23:24]
	ds_store_b128 v19, v[12:15]
.LBB180_17:
	s_or_b32 exec_lo, exec_lo, s0
	s_delay_alu instid0(SALU_CYCLE_1)
	s_mov_b32 s0, exec_lo
	s_waitcnt lgkmcnt(0)
	s_barrier
	buffer_gl0_inv
	v_cmpx_gt_u16_e32 8, v20
	s_cbranch_execz .LBB180_19
; %bb.18:
	ds_load_b128 v[12:15], v19 offset:128
	ds_load_b128 v[21:24], v19
	s_waitcnt lgkmcnt(0)
	v_add_f64 v[12:13], v[12:13], v[21:22]
	v_add_f64 v[14:15], v[14:15], v[23:24]
	ds_store_b128 v19, v[12:15]
.LBB180_19:
	s_or_b32 exec_lo, exec_lo, s0
	s_delay_alu instid0(SALU_CYCLE_1)
	s_mov_b32 s0, exec_lo
	s_waitcnt lgkmcnt(0)
	s_barrier
	buffer_gl0_inv
	v_cmpx_gt_u16_e32 4, v20
	s_cbranch_execz .LBB180_21
; %bb.20:
	ds_load_b128 v[12:15], v19 offset:64
	ds_load_b128 v[21:24], v19
	s_waitcnt lgkmcnt(0)
	v_add_f64 v[12:13], v[12:13], v[21:22]
	v_add_f64 v[14:15], v[14:15], v[23:24]
	ds_store_b128 v19, v[12:15]
.LBB180_21:
	s_or_b32 exec_lo, exec_lo, s0
	s_delay_alu instid0(SALU_CYCLE_1)
	s_mov_b32 s0, exec_lo
	s_waitcnt lgkmcnt(0)
	s_barrier
	buffer_gl0_inv
	v_cmpx_gt_u16_e32 2, v20
	s_cbranch_execz .LBB180_23
; %bb.22:
	ds_load_b128 v[12:15], v19
	ds_load_b128 v[20:23], v19 offset:32
	s_waitcnt lgkmcnt(0)
	v_add_f64 v[12:13], v[20:21], v[12:13]
	v_add_f64 v[14:15], v[22:23], v[14:15]
	ds_store_b128 v19, v[12:15]
.LBB180_23:
	s_or_b32 exec_lo, exec_lo, s0
	v_dual_mov_b32 v15, v3 :: v_dual_mov_b32 v14, v2
	v_dual_mov_b32 v13, v1 :: v_dual_mov_b32 v12, v0
	s_mov_b32 s0, exec_lo
	s_waitcnt lgkmcnt(0)
	s_barrier
	buffer_gl0_inv
	v_cmpx_gt_u32_e32 21, v18
	s_cbranch_execz .LBB180_25
; %bb.24:
	v_mul_u32_u24_e32 v12, 21, v18
	s_delay_alu instid0(VALU_DEP_1)
	v_lshlrev_b32_e32 v16, 4, v12
	ds_load_b128 v[12:15], v16
	ds_load_b128 v[20:23], v16 offset:16
	s_waitcnt lgkmcnt(0)
	v_add_f64 v[12:13], v[20:21], v[12:13]
	v_add_f64 v[14:15], v[22:23], v[14:15]
.LBB180_25:
	s_or_b32 exec_lo, exec_lo, s0
	s_branch .LBB180_38
.LBB180_26:
                                        ; implicit-def: $vgpr14_vgpr15
                                        ; implicit-def: $vgpr12_vgpr13
	s_cbranch_execz .LBB180_38
; %bb.27:
	s_mov_b32 s0, exec_lo
	v_cmpx_gt_u32_e32 0x69, v18
	s_cbranch_execz .LBB180_29
; %bb.28:
	ds_load_b128 v[12:15], v19 offset:5376
	ds_load_b128 v[20:23], v19
	s_waitcnt lgkmcnt(0)
	v_add_f64 v[12:13], v[12:13], v[20:21]
	v_add_f64 v[14:15], v[14:15], v[22:23]
	ds_store_b128 v19, v[12:15]
.LBB180_29:
	s_or_b32 exec_lo, exec_lo, s0
	s_delay_alu instid0(SALU_CYCLE_1)
	s_mov_b32 s0, exec_lo
	s_waitcnt lgkmcnt(0)
	s_barrier
	buffer_gl0_inv
	v_cmpx_gt_u32_e32 0xa8, v18
	s_cbranch_execz .LBB180_31
; %bb.30:
	ds_load_b128 v[12:15], v19 offset:2688
	ds_load_b128 v[20:23], v19
	s_waitcnt lgkmcnt(0)
	v_add_f64 v[12:13], v[12:13], v[20:21]
	v_add_f64 v[14:15], v[14:15], v[22:23]
	ds_store_b128 v19, v[12:15]
.LBB180_31:
	s_or_b32 exec_lo, exec_lo, s0
	s_delay_alu instid0(SALU_CYCLE_1)
	s_mov_b32 s0, exec_lo
	s_waitcnt lgkmcnt(0)
	s_barrier
	buffer_gl0_inv
	;; [unrolled: 16-line block ×3, first 2 shown]
	v_cmpx_gt_u32_e32 42, v18
	s_cbranch_execz .LBB180_35
; %bb.34:
	ds_load_b128 v[12:15], v19 offset:672
	ds_load_b128 v[20:23], v19
	s_waitcnt lgkmcnt(0)
	v_add_f64 v[12:13], v[12:13], v[20:21]
	v_add_f64 v[14:15], v[14:15], v[22:23]
	ds_store_b128 v19, v[12:15]
.LBB180_35:
	s_or_b32 exec_lo, exec_lo, s0
	s_delay_alu instid0(SALU_CYCLE_1)
	s_mov_b32 s0, exec_lo
	s_waitcnt lgkmcnt(0)
	buffer_gl0_inv
	v_cmpx_gt_u32_e32 21, v18
	s_cbranch_execz .LBB180_37
; %bb.36:
	ds_load_b128 v[0:3], v19 offset:336
	ds_load_b128 v[12:15], v19
	s_waitcnt lgkmcnt(0)
	v_add_f64 v[0:1], v[0:1], v[12:13]
	v_add_f64 v[2:3], v[2:3], v[14:15]
.LBB180_37:
	s_or_b32 exec_lo, exec_lo, s0
	s_delay_alu instid0(VALU_DEP_1) | instskip(NEXT) | instid1(VALU_DEP_3)
	v_dual_mov_b32 v15, v3 :: v_dual_mov_b32 v14, v2
	v_dual_mov_b32 v13, v1 :: v_dual_mov_b32 v12, v0
.LBB180_38:
	v_cmp_gt_u32_e32 vcc_lo, 21, v18
	s_and_b32 exec_lo, exec_lo, vcc_lo
	s_cbranch_execz .LBB180_43
; %bb.39:
	s_delay_alu instid0(VALU_DEP_2)
	v_mul_f64 v[0:1], v[14:15], -v[10:11]
	v_mul_f64 v[2:3], v[8:9], v[14:15]
	v_cmp_eq_f64_e32 vcc_lo, 0, v[4:5]
	v_cmp_eq_f64_e64 s0, 0, v[6:7]
	s_mul_hi_u32 s1, s12, 0x150
	s_mul_i32 s2, s12, 0x150
	s_delay_alu instid0(VALU_DEP_4) | instskip(NEXT) | instid1(VALU_DEP_4)
	v_fma_f64 v[0:1], v[8:9], v[12:13], v[0:1]
	v_fma_f64 v[2:3], v[10:11], v[12:13], v[2:3]
	s_delay_alu instid0(VALU_DEP_3) | instskip(SKIP_2) | instid1(SALU_CYCLE_1)
	s_and_b32 s3, vcc_lo, s0
	s_mul_i32 s0, s13, 0x150
	s_and_saveexec_b32 s4, s3
	s_xor_b32 s3, exec_lo, s4
	s_cbranch_execz .LBB180_41
; %bb.40:
	s_add_i32 s5, s1, s0
	s_add_u32 s4, s8, s2
	s_addc_u32 s5, s9, s5
                                        ; implicit-def: $vgpr4_vgpr5
                                        ; implicit-def: $vgpr6_vgpr7
	global_store_b128 v19, v[0:3], s[4:5]
                                        ; implicit-def: $vgpr19
                                        ; implicit-def: $vgpr0_vgpr1
.LBB180_41:
	s_and_not1_saveexec_b32 s3, s3
	s_cbranch_execz .LBB180_43
; %bb.42:
	s_add_i32 s1, s1, s0
	s_add_u32 s0, s8, s2
	s_addc_u32 s1, s9, s1
	global_load_b128 v[8:11], v19, s[0:1]
	s_waitcnt vmcnt(0)
	v_fma_f64 v[0:1], v[4:5], v[8:9], v[0:1]
	v_fma_f64 v[2:3], v[6:7], v[8:9], v[2:3]
	s_delay_alu instid0(VALU_DEP_2) | instskip(NEXT) | instid1(VALU_DEP_2)
	v_fma_f64 v[0:1], -v[6:7], v[10:11], v[0:1]
	v_fma_f64 v[2:3], v[4:5], v[10:11], v[2:3]
	global_store_b128 v19, v[0:3], s[0:1]
.LBB180_43:
	s_nop 0
	s_sendmsg sendmsg(MSG_DEALLOC_VGPRS)
	s_endpgm
	.section	.rodata,"a",@progbits
	.p2align	6, 0x0
	.amdhsa_kernel _ZN9rocsparseL20bsrxmvn_17_32_kernelILj21E21rocsparse_complex_numIdEllS2_S2_S2_EEvT2_20rocsparse_direction_NS_24const_host_device_scalarIT0_EES3_PKS3_PKT1_SC_S9_PKT3_PKT4_S7_PT5_21rocsparse_index_base_b
		.amdhsa_group_segment_fixed_size 14112
		.amdhsa_private_segment_fixed_size 0
		.amdhsa_kernarg_size 120
		.amdhsa_user_sgpr_count 15
		.amdhsa_user_sgpr_dispatch_ptr 1
		.amdhsa_user_sgpr_queue_ptr 0
		.amdhsa_user_sgpr_kernarg_segment_ptr 1
		.amdhsa_user_sgpr_dispatch_id 0
		.amdhsa_user_sgpr_private_segment_size 0
		.amdhsa_wavefront_size32 1
		.amdhsa_uses_dynamic_stack 0
		.amdhsa_enable_private_segment 0
		.amdhsa_system_sgpr_workgroup_id_x 1
		.amdhsa_system_sgpr_workgroup_id_y 0
		.amdhsa_system_sgpr_workgroup_id_z 0
		.amdhsa_system_sgpr_workgroup_info 0
		.amdhsa_system_vgpr_workitem_id 2
		.amdhsa_next_free_vgpr 30
		.amdhsa_next_free_sgpr 22
		.amdhsa_reserve_vcc 1
		.amdhsa_float_round_mode_32 0
		.amdhsa_float_round_mode_16_64 0
		.amdhsa_float_denorm_mode_32 3
		.amdhsa_float_denorm_mode_16_64 3
		.amdhsa_dx10_clamp 1
		.amdhsa_ieee_mode 1
		.amdhsa_fp16_overflow 0
		.amdhsa_workgroup_processor_mode 1
		.amdhsa_memory_ordered 1
		.amdhsa_forward_progress 0
		.amdhsa_shared_vgpr_count 0
		.amdhsa_exception_fp_ieee_invalid_op 0
		.amdhsa_exception_fp_denorm_src 0
		.amdhsa_exception_fp_ieee_div_zero 0
		.amdhsa_exception_fp_ieee_overflow 0
		.amdhsa_exception_fp_ieee_underflow 0
		.amdhsa_exception_fp_ieee_inexact 0
		.amdhsa_exception_int_div_zero 0
	.end_amdhsa_kernel
	.section	.text._ZN9rocsparseL20bsrxmvn_17_32_kernelILj21E21rocsparse_complex_numIdEllS2_S2_S2_EEvT2_20rocsparse_direction_NS_24const_host_device_scalarIT0_EES3_PKS3_PKT1_SC_S9_PKT3_PKT4_S7_PT5_21rocsparse_index_base_b,"axG",@progbits,_ZN9rocsparseL20bsrxmvn_17_32_kernelILj21E21rocsparse_complex_numIdEllS2_S2_S2_EEvT2_20rocsparse_direction_NS_24const_host_device_scalarIT0_EES3_PKS3_PKT1_SC_S9_PKT3_PKT4_S7_PT5_21rocsparse_index_base_b,comdat
.Lfunc_end180:
	.size	_ZN9rocsparseL20bsrxmvn_17_32_kernelILj21E21rocsparse_complex_numIdEllS2_S2_S2_EEvT2_20rocsparse_direction_NS_24const_host_device_scalarIT0_EES3_PKS3_PKT1_SC_S9_PKT3_PKT4_S7_PT5_21rocsparse_index_base_b, .Lfunc_end180-_ZN9rocsparseL20bsrxmvn_17_32_kernelILj21E21rocsparse_complex_numIdEllS2_S2_S2_EEvT2_20rocsparse_direction_NS_24const_host_device_scalarIT0_EES3_PKS3_PKT1_SC_S9_PKT3_PKT4_S7_PT5_21rocsparse_index_base_b
                                        ; -- End function
	.section	.AMDGPU.csdata,"",@progbits
; Kernel info:
; codeLenInByte = 2156
; NumSgprs: 24
; NumVgprs: 30
; ScratchSize: 0
; MemoryBound: 1
; FloatMode: 240
; IeeeMode: 1
; LDSByteSize: 14112 bytes/workgroup (compile time only)
; SGPRBlocks: 2
; VGPRBlocks: 3
; NumSGPRsForWavesPerEU: 24
; NumVGPRsForWavesPerEU: 30
; Occupancy: 14
; WaveLimiterHint : 1
; COMPUTE_PGM_RSRC2:SCRATCH_EN: 0
; COMPUTE_PGM_RSRC2:USER_SGPR: 15
; COMPUTE_PGM_RSRC2:TRAP_HANDLER: 0
; COMPUTE_PGM_RSRC2:TGID_X_EN: 1
; COMPUTE_PGM_RSRC2:TGID_Y_EN: 0
; COMPUTE_PGM_RSRC2:TGID_Z_EN: 0
; COMPUTE_PGM_RSRC2:TIDIG_COMP_CNT: 2
	.section	.text._ZN9rocsparseL20bsrxmvn_17_32_kernelILj22E21rocsparse_complex_numIdEllS2_S2_S2_EEvT2_20rocsparse_direction_NS_24const_host_device_scalarIT0_EES3_PKS3_PKT1_SC_S9_PKT3_PKT4_S7_PT5_21rocsparse_index_base_b,"axG",@progbits,_ZN9rocsparseL20bsrxmvn_17_32_kernelILj22E21rocsparse_complex_numIdEllS2_S2_S2_EEvT2_20rocsparse_direction_NS_24const_host_device_scalarIT0_EES3_PKS3_PKT1_SC_S9_PKT3_PKT4_S7_PT5_21rocsparse_index_base_b,comdat
	.globl	_ZN9rocsparseL20bsrxmvn_17_32_kernelILj22E21rocsparse_complex_numIdEllS2_S2_S2_EEvT2_20rocsparse_direction_NS_24const_host_device_scalarIT0_EES3_PKS3_PKT1_SC_S9_PKT3_PKT4_S7_PT5_21rocsparse_index_base_b ; -- Begin function _ZN9rocsparseL20bsrxmvn_17_32_kernelILj22E21rocsparse_complex_numIdEllS2_S2_S2_EEvT2_20rocsparse_direction_NS_24const_host_device_scalarIT0_EES3_PKS3_PKT1_SC_S9_PKT3_PKT4_S7_PT5_21rocsparse_index_base_b
	.p2align	8
	.type	_ZN9rocsparseL20bsrxmvn_17_32_kernelILj22E21rocsparse_complex_numIdEllS2_S2_S2_EEvT2_20rocsparse_direction_NS_24const_host_device_scalarIT0_EES3_PKS3_PKT1_SC_S9_PKT3_PKT4_S7_PT5_21rocsparse_index_base_b,@function
_ZN9rocsparseL20bsrxmvn_17_32_kernelILj22E21rocsparse_complex_numIdEllS2_S2_S2_EEvT2_20rocsparse_direction_NS_24const_host_device_scalarIT0_EES3_PKS3_PKT1_SC_S9_PKT3_PKT4_S7_PT5_21rocsparse_index_base_b: ; @_ZN9rocsparseL20bsrxmvn_17_32_kernelILj22E21rocsparse_complex_numIdEllS2_S2_S2_EEvT2_20rocsparse_direction_NS_24const_host_device_scalarIT0_EES3_PKS3_PKT1_SC_S9_PKT3_PKT4_S7_PT5_21rocsparse_index_base_b
; %bb.0:
	s_mov_b32 s12, s15
	s_clause 0x1
	s_load_b64 s[14:15], s[2:3], 0x70
	s_load_b128 s[4:7], s[2:3], 0x10
	s_load_b64 s[16:17], s[0:1], 0x4
	s_mov_b64 s[0:1], src_shared_base
	v_and_b32_e32 v18, 0x3ff, v0
	s_load_b128 s[8:11], s[2:3], 0x58
	v_bfe_u32 v2, v0, 10, 10
	v_bfe_u32 v0, v0, 20, 10
	s_waitcnt lgkmcnt(0)
	s_bitcmp1_b32 s15, 0
	v_mov_b32_e32 v11, s7
	s_cselect_b32 s0, -1, 0
	v_mov_b32_e32 v10, s6
	s_and_b32 vcc_lo, s0, exec_lo
	s_cselect_b32 s13, s1, s5
	s_lshr_b32 s15, s16, 16
	s_xor_b32 s6, s0, -1
	s_mul_i32 s15, s15, s17
	v_mov_b32_e32 v5, s13
	v_mul_lo_u32 v1, s15, v18
	s_delay_alu instid0(VALU_DEP_1) | instskip(SKIP_1) | instid1(VALU_DEP_2)
	v_mad_u32_u24 v1, v2, s17, v1
	v_dual_mov_b32 v2, s8 :: v_dual_mov_b32 v3, s9
	v_add_lshl_u32 v6, v1, v0, 3
	v_dual_mov_b32 v0, s4 :: v_dual_mov_b32 v1, s5
	ds_store_b64 v6, v[0:1] offset:11616
	ds_store_b64 v6, v[2:3] offset:7744
	v_add_nc_u32_e32 v4, 0x2d60, v6
	v_add_nc_u32_e32 v0, 0x1e40, v6
	s_delay_alu instid0(VALU_DEP_2)
	v_cndmask_b32_e64 v4, s4, v4, s0
	flat_load_b64 v[8:9], v[4:5]
	s_cbranch_vccnz .LBB181_2
; %bb.1:
	v_dual_mov_b32 v1, s4 :: v_dual_mov_b32 v2, s5
	flat_load_b64 v[10:11], v[1:2] offset:8
.LBB181_2:
	s_and_b32 s4, s0, exec_lo
	s_cselect_b32 s1, s1, s9
	v_cndmask_b32_e64 v0, s8, v0, s0
	v_dual_mov_b32 v1, s1 :: v_dual_mov_b32 v6, s10
	v_mov_b32_e32 v7, s11
	s_and_not1_b32 vcc_lo, exec_lo, s6
	flat_load_b64 v[4:5], v[0:1]
	s_cbranch_vccnz .LBB181_4
; %bb.3:
	v_dual_mov_b32 v0, s8 :: v_dual_mov_b32 v1, s9
	flat_load_b64 v[6:7], v[0:1] offset:8
.LBB181_4:
	s_waitcnt vmcnt(1) lgkmcnt(1)
	v_cmp_eq_f64_e32 vcc_lo, 0, v[8:9]
	v_cmp_eq_f64_e64 s0, 0, v[10:11]
	s_delay_alu instid0(VALU_DEP_1)
	s_and_b32 s4, vcc_lo, s0
	s_mov_b32 s0, -1
	s_and_saveexec_b32 s1, s4
	s_cbranch_execz .LBB181_6
; %bb.5:
	s_waitcnt vmcnt(0) lgkmcnt(0)
	v_cmp_neq_f64_e32 vcc_lo, 1.0, v[4:5]
	v_cmp_neq_f64_e64 s0, 0, v[6:7]
	s_delay_alu instid0(VALU_DEP_1) | instskip(NEXT) | instid1(SALU_CYCLE_1)
	s_or_b32 s0, vcc_lo, s0
	s_or_not1_b32 s0, s0, exec_lo
.LBB181_6:
	s_or_b32 exec_lo, exec_lo, s1
	s_and_saveexec_b32 s1, s0
	s_cbranch_execz .LBB181_43
; %bb.7:
	s_clause 0x1
	s_load_b128 s[4:7], s[2:3], 0x28
	s_load_b64 s[8:9], s[2:3], 0x38
	s_mov_b32 s13, 0
	s_waitcnt lgkmcnt(0)
	s_cmp_eq_u64 s[4:5], 0
	s_cbranch_scc1 .LBB181_9
; %bb.8:
	s_lshl_b64 s[0:1], s[12:13], 3
	s_delay_alu instid0(SALU_CYCLE_1)
	s_add_u32 s0, s4, s0
	s_addc_u32 s1, s5, s1
	s_load_b64 s[0:1], s[0:1], 0x0
	s_waitcnt lgkmcnt(0)
	s_sub_u32 s12, s0, s14
	s_subb_u32 s13, s1, 0
.LBB181_9:
	s_load_b32 s1, s[2:3], 0x8
	v_mul_u32_u24_e32 v0, 0xba3, v18
	v_dual_mov_b32 v2, 0 :: v_dual_lshlrev_b32 v19, 4, v18
	v_mov_b32_e32 v3, 0
	s_delay_alu instid0(VALU_DEP_3) | instskip(NEXT) | instid1(VALU_DEP_1)
	v_lshrrev_b32_e32 v12, 16, v0
	v_mul_lo_u16 v0, v12, 22
	s_delay_alu instid0(VALU_DEP_1) | instskip(NEXT) | instid1(VALU_DEP_4)
	v_sub_nc_u16 v20, v18, v0
	v_dual_mov_b32 v0, v2 :: v_dual_mov_b32 v1, v3
	s_waitcnt lgkmcnt(0)
	s_cmp_eq_u32 s1, 1
	s_cselect_b32 s0, -1, 0
	s_cmp_lg_u32 s1, 1
	s_cselect_b32 s1, -1, 0
	s_lshl_b64 s[4:5], s[12:13], 3
	s_delay_alu instid0(SALU_CYCLE_1)
	s_add_u32 s6, s6, s4
	s_addc_u32 s7, s7, s5
	s_add_u32 s10, s6, 8
	s_addc_u32 s11, s7, 0
	;; [unrolled: 2-line block ×3, first 2 shown]
	s_cmp_eq_u64 s[8:9], 0
	s_load_b64 s[8:9], s[2:3], 0x68
	s_cselect_b32 s5, s11, s5
	s_cselect_b32 s4, s10, s4
	s_load_b64 s[16:17], s[6:7], 0x0
	s_load_b64 s[10:11], s[4:5], 0x0
	s_waitcnt lgkmcnt(0)
	v_cmp_ge_i64_e64 s4, s[16:17], s[10:11]
	s_delay_alu instid0(VALU_DEP_1)
	s_and_b32 vcc_lo, exec_lo, s4
	s_cbranch_vccnz .LBB181_14
; %bb.10:
	v_mul_lo_u16 v0, v12, 12
	v_and_b32_e32 v1, 0xffff, v18
	s_clause 0x1
	s_load_b64 s[18:19], s[2:3], 0x50
	s_load_b128 s[4:7], s[2:3], 0x40
	s_sub_u32 s2, s10, s14
	v_and_b32_e32 v2, 0xffff, v20
	v_lshrrev_b16 v0, 8, v0
	v_mul_u32_u24_e32 v1, 0x10f, v1
	s_subb_u32 s3, s11, 0
	s_sub_u32 s10, s16, s14
	s_subb_u32 s11, s17, 0
	v_mul_lo_u16 v0, v0, 22
	v_lshrrev_b32_e32 v21, 17, v1
	s_mul_hi_u32 s15, s10, 0x1e40
	s_mul_i32 s21, s11, 0x1e40
	s_mul_i32 s20, s10, 0x1e40
	v_sub_nc_u16 v0, v12, v0
	v_add_co_u32 v1, s16, s16, v21
	s_delay_alu instid0(VALU_DEP_1) | instskip(NEXT) | instid1(VALU_DEP_3)
	v_add_co_ci_u32_e64 v3, null, s17, 0, s16
	v_and_b32_e32 v0, 0xff, v0
	s_add_i32 s15, s15, s21
	s_delay_alu instid0(VALU_DEP_1) | instskip(SKIP_2) | instid1(VALU_DEP_3)
	v_cndmask_b32_e64 v2, v2, v0, s0
	v_sub_co_u32 v0, vcc_lo, v1, s14
	v_subrev_co_ci_u32_e32 v1, vcc_lo, 0, v3, vcc_lo
	v_lshlrev_b32_e32 v2, 4, v2
	s_waitcnt lgkmcnt(0)
	s_add_u32 s0, s6, s20
	s_addc_u32 s6, s7, s15
	v_lshlrev_b64 v[0:1], 3, v[0:1]
	v_add_co_u32 v14, s0, s0, v19
	v_add_co_u32 v12, s7, s18, v2
	v_mov_b32_e32 v2, 0
	v_mov_b32_e32 v3, 0
	v_add_co_u32 v16, vcc_lo, s4, v0
	v_add_co_ci_u32_e64 v13, null, s19, 0, s7
	v_add_co_ci_u32_e64 v15, null, s6, 0, s0
	v_add_co_ci_u32_e32 v17, vcc_lo, s5, v1, vcc_lo
	v_dual_mov_b32 v0, v2 :: v_dual_mov_b32 v1, v3
	s_set_inst_prefetch_distance 0x1
	s_branch .LBB181_12
	.p2align	6
.LBB181_11:                             ;   in Loop: Header=BB181_12 Depth=1
	s_or_b32 exec_lo, exec_lo, s0
	s_add_u32 s10, s10, 1
	s_addc_u32 s11, s11, 0
	v_add_co_u32 v16, vcc_lo, v16, 8
	v_cmp_lt_i64_e64 s0, s[10:11], s[2:3]
	v_add_co_ci_u32_e32 v17, vcc_lo, 0, v17, vcc_lo
	s_delay_alu instid0(VALU_DEP_2)
	s_and_b32 vcc_lo, exec_lo, s0
	s_cbranch_vccz .LBB181_14
.LBB181_12:                             ; =>This Inner Loop Header: Depth=1
	v_add_co_u32 v22, s0, v21, s10
	s_delay_alu instid0(VALU_DEP_1) | instskip(SKIP_1) | instid1(VALU_DEP_1)
	v_add_co_ci_u32_e64 v23, null, 0, s11, s0
	s_mov_b32 s0, exec_lo
	v_cmpx_gt_i64_e64 s[2:3], v[22:23]
	s_cbranch_execz .LBB181_11
; %bb.13:                               ;   in Loop: Header=BB181_12 Depth=1
	global_load_b64 v[22:23], v[16:17], off
	s_waitcnt vmcnt(0)
	v_sub_co_u32 v22, vcc_lo, v22, s14
	v_subrev_co_ci_u32_e32 v25, vcc_lo, 0, v23, vcc_lo
	s_delay_alu instid0(VALU_DEP_2) | instskip(NEXT) | instid1(VALU_DEP_1)
	v_mad_u64_u32 v[26:27], null, 0x160, v22, v[12:13]
	v_mov_b32_e32 v22, v27
	s_delay_alu instid0(VALU_DEP_1) | instskip(NEXT) | instid1(VALU_DEP_1)
	v_mad_u64_u32 v[23:24], null, 0x160, v25, v[22:23]
	v_mov_b32_e32 v27, v23
	global_load_b128 v[22:25], v[14:15], off
	global_load_b128 v[26:29], v[26:27], off
	v_add_co_u32 v14, vcc_lo, 0x1e40, v14
	v_add_co_ci_u32_e32 v15, vcc_lo, 0, v15, vcc_lo
	s_waitcnt vmcnt(0)
	v_fma_f64 v[0:1], v[22:23], v[26:27], v[0:1]
	v_fma_f64 v[2:3], v[24:25], v[26:27], v[2:3]
	s_delay_alu instid0(VALU_DEP_2) | instskip(NEXT) | instid1(VALU_DEP_2)
	v_fma_f64 v[0:1], -v[24:25], v[28:29], v[0:1]
	v_fma_f64 v[2:3], v[22:23], v[28:29], v[2:3]
	s_branch .LBB181_11
.LBB181_14:
	s_set_inst_prefetch_distance 0x2
	s_and_b32 vcc_lo, exec_lo, s1
	ds_store_b128 v19, v[0:3]
	s_waitcnt vmcnt(0) lgkmcnt(0)
	s_barrier
	buffer_gl0_inv
	s_cbranch_vccz .LBB181_26
; %bb.15:
	s_mov_b32 s0, exec_lo
	v_cmpx_gt_u16_e32 6, v20
	s_cbranch_execz .LBB181_17
; %bb.16:
	ds_load_b128 v[12:15], v19 offset:256
	ds_load_b128 v[21:24], v19
	s_waitcnt lgkmcnt(0)
	v_add_f64 v[12:13], v[12:13], v[21:22]
	v_add_f64 v[14:15], v[14:15], v[23:24]
	ds_store_b128 v19, v[12:15]
.LBB181_17:
	s_or_b32 exec_lo, exec_lo, s0
	s_delay_alu instid0(SALU_CYCLE_1)
	s_mov_b32 s0, exec_lo
	s_waitcnt lgkmcnt(0)
	s_barrier
	buffer_gl0_inv
	v_cmpx_gt_u16_e32 8, v20
	s_cbranch_execz .LBB181_19
; %bb.18:
	ds_load_b128 v[12:15], v19 offset:128
	ds_load_b128 v[21:24], v19
	s_waitcnt lgkmcnt(0)
	v_add_f64 v[12:13], v[12:13], v[21:22]
	v_add_f64 v[14:15], v[14:15], v[23:24]
	ds_store_b128 v19, v[12:15]
.LBB181_19:
	s_or_b32 exec_lo, exec_lo, s0
	s_delay_alu instid0(SALU_CYCLE_1)
	s_mov_b32 s0, exec_lo
	s_waitcnt lgkmcnt(0)
	s_barrier
	buffer_gl0_inv
	;; [unrolled: 16-line block ×3, first 2 shown]
	v_cmpx_gt_u16_e32 2, v20
	s_cbranch_execz .LBB181_23
; %bb.22:
	ds_load_b128 v[12:15], v19
	ds_load_b128 v[20:23], v19 offset:32
	s_waitcnt lgkmcnt(0)
	v_add_f64 v[12:13], v[20:21], v[12:13]
	v_add_f64 v[14:15], v[22:23], v[14:15]
	ds_store_b128 v19, v[12:15]
.LBB181_23:
	s_or_b32 exec_lo, exec_lo, s0
	v_dual_mov_b32 v15, v3 :: v_dual_mov_b32 v14, v2
	v_dual_mov_b32 v13, v1 :: v_dual_mov_b32 v12, v0
	s_mov_b32 s0, exec_lo
	s_waitcnt lgkmcnt(0)
	s_barrier
	buffer_gl0_inv
	v_cmpx_gt_u32_e32 22, v18
	s_cbranch_execz .LBB181_25
; %bb.24:
	v_mul_u32_u24_e32 v12, 22, v18
	s_delay_alu instid0(VALU_DEP_1)
	v_lshlrev_b32_e32 v16, 4, v12
	ds_load_b128 v[12:15], v16
	ds_load_b128 v[20:23], v16 offset:16
	s_waitcnt lgkmcnt(0)
	v_add_f64 v[12:13], v[20:21], v[12:13]
	v_add_f64 v[14:15], v[22:23], v[14:15]
.LBB181_25:
	s_or_b32 exec_lo, exec_lo, s0
	s_branch .LBB181_38
.LBB181_26:
                                        ; implicit-def: $vgpr14_vgpr15
                                        ; implicit-def: $vgpr12_vgpr13
	s_cbranch_execz .LBB181_38
; %bb.27:
	s_mov_b32 s0, exec_lo
	v_cmpx_gt_u32_e32 0x84, v18
	s_cbranch_execz .LBB181_29
; %bb.28:
	ds_load_b128 v[12:15], v19 offset:5632
	ds_load_b128 v[20:23], v19
	s_waitcnt lgkmcnt(0)
	v_add_f64 v[12:13], v[12:13], v[20:21]
	v_add_f64 v[14:15], v[14:15], v[22:23]
	ds_store_b128 v19, v[12:15]
.LBB181_29:
	s_or_b32 exec_lo, exec_lo, s0
	s_delay_alu instid0(SALU_CYCLE_1)
	s_mov_b32 s0, exec_lo
	s_waitcnt lgkmcnt(0)
	s_barrier
	buffer_gl0_inv
	v_cmpx_gt_u32_e32 0xb0, v18
	s_cbranch_execz .LBB181_31
; %bb.30:
	ds_load_b128 v[12:15], v19 offset:2816
	ds_load_b128 v[20:23], v19
	s_waitcnt lgkmcnt(0)
	v_add_f64 v[12:13], v[12:13], v[20:21]
	v_add_f64 v[14:15], v[14:15], v[22:23]
	ds_store_b128 v19, v[12:15]
.LBB181_31:
	s_or_b32 exec_lo, exec_lo, s0
	s_delay_alu instid0(SALU_CYCLE_1)
	s_mov_b32 s0, exec_lo
	s_waitcnt lgkmcnt(0)
	s_barrier
	buffer_gl0_inv
	;; [unrolled: 16-line block ×3, first 2 shown]
	v_cmpx_gt_u32_e32 44, v18
	s_cbranch_execz .LBB181_35
; %bb.34:
	ds_load_b128 v[12:15], v19 offset:704
	ds_load_b128 v[20:23], v19
	s_waitcnt lgkmcnt(0)
	v_add_f64 v[12:13], v[12:13], v[20:21]
	v_add_f64 v[14:15], v[14:15], v[22:23]
	ds_store_b128 v19, v[12:15]
.LBB181_35:
	s_or_b32 exec_lo, exec_lo, s0
	s_delay_alu instid0(SALU_CYCLE_1)
	s_mov_b32 s0, exec_lo
	s_waitcnt lgkmcnt(0)
	buffer_gl0_inv
	v_cmpx_gt_u32_e32 22, v18
	s_cbranch_execz .LBB181_37
; %bb.36:
	ds_load_b128 v[0:3], v19 offset:352
	ds_load_b128 v[12:15], v19
	s_waitcnt lgkmcnt(0)
	v_add_f64 v[0:1], v[0:1], v[12:13]
	v_add_f64 v[2:3], v[2:3], v[14:15]
.LBB181_37:
	s_or_b32 exec_lo, exec_lo, s0
	s_delay_alu instid0(VALU_DEP_1) | instskip(NEXT) | instid1(VALU_DEP_3)
	v_dual_mov_b32 v15, v3 :: v_dual_mov_b32 v14, v2
	v_dual_mov_b32 v13, v1 :: v_dual_mov_b32 v12, v0
.LBB181_38:
	v_cmp_gt_u32_e32 vcc_lo, 22, v18
	s_and_b32 exec_lo, exec_lo, vcc_lo
	s_cbranch_execz .LBB181_43
; %bb.39:
	s_delay_alu instid0(VALU_DEP_2)
	v_mul_f64 v[0:1], v[14:15], -v[10:11]
	v_mul_f64 v[2:3], v[8:9], v[14:15]
	v_cmp_eq_f64_e32 vcc_lo, 0, v[4:5]
	v_cmp_eq_f64_e64 s0, 0, v[6:7]
	s_mul_hi_u32 s1, s12, 0x160
	s_mul_i32 s2, s12, 0x160
	s_delay_alu instid0(VALU_DEP_4) | instskip(NEXT) | instid1(VALU_DEP_4)
	v_fma_f64 v[0:1], v[8:9], v[12:13], v[0:1]
	v_fma_f64 v[2:3], v[10:11], v[12:13], v[2:3]
	s_delay_alu instid0(VALU_DEP_3) | instskip(SKIP_2) | instid1(SALU_CYCLE_1)
	s_and_b32 s3, vcc_lo, s0
	s_mul_i32 s0, s13, 0x160
	s_and_saveexec_b32 s4, s3
	s_xor_b32 s3, exec_lo, s4
	s_cbranch_execz .LBB181_41
; %bb.40:
	s_add_i32 s5, s1, s0
	s_add_u32 s4, s8, s2
	s_addc_u32 s5, s9, s5
                                        ; implicit-def: $vgpr4_vgpr5
                                        ; implicit-def: $vgpr6_vgpr7
	global_store_b128 v19, v[0:3], s[4:5]
                                        ; implicit-def: $vgpr19
                                        ; implicit-def: $vgpr0_vgpr1
.LBB181_41:
	s_and_not1_saveexec_b32 s3, s3
	s_cbranch_execz .LBB181_43
; %bb.42:
	s_add_i32 s1, s1, s0
	s_add_u32 s0, s8, s2
	s_addc_u32 s1, s9, s1
	global_load_b128 v[8:11], v19, s[0:1]
	s_waitcnt vmcnt(0)
	v_fma_f64 v[0:1], v[4:5], v[8:9], v[0:1]
	v_fma_f64 v[2:3], v[6:7], v[8:9], v[2:3]
	s_delay_alu instid0(VALU_DEP_2) | instskip(NEXT) | instid1(VALU_DEP_2)
	v_fma_f64 v[0:1], -v[6:7], v[10:11], v[0:1]
	v_fma_f64 v[2:3], v[4:5], v[10:11], v[2:3]
	global_store_b128 v19, v[0:3], s[0:1]
.LBB181_43:
	s_nop 0
	s_sendmsg sendmsg(MSG_DEALLOC_VGPRS)
	s_endpgm
	.section	.rodata,"a",@progbits
	.p2align	6, 0x0
	.amdhsa_kernel _ZN9rocsparseL20bsrxmvn_17_32_kernelILj22E21rocsparse_complex_numIdEllS2_S2_S2_EEvT2_20rocsparse_direction_NS_24const_host_device_scalarIT0_EES3_PKS3_PKT1_SC_S9_PKT3_PKT4_S7_PT5_21rocsparse_index_base_b
		.amdhsa_group_segment_fixed_size 15488
		.amdhsa_private_segment_fixed_size 0
		.amdhsa_kernarg_size 120
		.amdhsa_user_sgpr_count 15
		.amdhsa_user_sgpr_dispatch_ptr 1
		.amdhsa_user_sgpr_queue_ptr 0
		.amdhsa_user_sgpr_kernarg_segment_ptr 1
		.amdhsa_user_sgpr_dispatch_id 0
		.amdhsa_user_sgpr_private_segment_size 0
		.amdhsa_wavefront_size32 1
		.amdhsa_uses_dynamic_stack 0
		.amdhsa_enable_private_segment 0
		.amdhsa_system_sgpr_workgroup_id_x 1
		.amdhsa_system_sgpr_workgroup_id_y 0
		.amdhsa_system_sgpr_workgroup_id_z 0
		.amdhsa_system_sgpr_workgroup_info 0
		.amdhsa_system_vgpr_workitem_id 2
		.amdhsa_next_free_vgpr 30
		.amdhsa_next_free_sgpr 22
		.amdhsa_reserve_vcc 1
		.amdhsa_float_round_mode_32 0
		.amdhsa_float_round_mode_16_64 0
		.amdhsa_float_denorm_mode_32 3
		.amdhsa_float_denorm_mode_16_64 3
		.amdhsa_dx10_clamp 1
		.amdhsa_ieee_mode 1
		.amdhsa_fp16_overflow 0
		.amdhsa_workgroup_processor_mode 1
		.amdhsa_memory_ordered 1
		.amdhsa_forward_progress 0
		.amdhsa_shared_vgpr_count 0
		.amdhsa_exception_fp_ieee_invalid_op 0
		.amdhsa_exception_fp_denorm_src 0
		.amdhsa_exception_fp_ieee_div_zero 0
		.amdhsa_exception_fp_ieee_overflow 0
		.amdhsa_exception_fp_ieee_underflow 0
		.amdhsa_exception_fp_ieee_inexact 0
		.amdhsa_exception_int_div_zero 0
	.end_amdhsa_kernel
	.section	.text._ZN9rocsparseL20bsrxmvn_17_32_kernelILj22E21rocsparse_complex_numIdEllS2_S2_S2_EEvT2_20rocsparse_direction_NS_24const_host_device_scalarIT0_EES3_PKS3_PKT1_SC_S9_PKT3_PKT4_S7_PT5_21rocsparse_index_base_b,"axG",@progbits,_ZN9rocsparseL20bsrxmvn_17_32_kernelILj22E21rocsparse_complex_numIdEllS2_S2_S2_EEvT2_20rocsparse_direction_NS_24const_host_device_scalarIT0_EES3_PKS3_PKT1_SC_S9_PKT3_PKT4_S7_PT5_21rocsparse_index_base_b,comdat
.Lfunc_end181:
	.size	_ZN9rocsparseL20bsrxmvn_17_32_kernelILj22E21rocsparse_complex_numIdEllS2_S2_S2_EEvT2_20rocsparse_direction_NS_24const_host_device_scalarIT0_EES3_PKS3_PKT1_SC_S9_PKT3_PKT4_S7_PT5_21rocsparse_index_base_b, .Lfunc_end181-_ZN9rocsparseL20bsrxmvn_17_32_kernelILj22E21rocsparse_complex_numIdEllS2_S2_S2_EEvT2_20rocsparse_direction_NS_24const_host_device_scalarIT0_EES3_PKS3_PKT1_SC_S9_PKT3_PKT4_S7_PT5_21rocsparse_index_base_b
                                        ; -- End function
	.section	.AMDGPU.csdata,"",@progbits
; Kernel info:
; codeLenInByte = 2156
; NumSgprs: 24
; NumVgprs: 30
; ScratchSize: 0
; MemoryBound: 1
; FloatMode: 240
; IeeeMode: 1
; LDSByteSize: 15488 bytes/workgroup (compile time only)
; SGPRBlocks: 2
; VGPRBlocks: 3
; NumSGPRsForWavesPerEU: 24
; NumVGPRsForWavesPerEU: 30
; Occupancy: 16
; WaveLimiterHint : 1
; COMPUTE_PGM_RSRC2:SCRATCH_EN: 0
; COMPUTE_PGM_RSRC2:USER_SGPR: 15
; COMPUTE_PGM_RSRC2:TRAP_HANDLER: 0
; COMPUTE_PGM_RSRC2:TGID_X_EN: 1
; COMPUTE_PGM_RSRC2:TGID_Y_EN: 0
; COMPUTE_PGM_RSRC2:TGID_Z_EN: 0
; COMPUTE_PGM_RSRC2:TIDIG_COMP_CNT: 2
	.section	.text._ZN9rocsparseL20bsrxmvn_17_32_kernelILj23E21rocsparse_complex_numIdEllS2_S2_S2_EEvT2_20rocsparse_direction_NS_24const_host_device_scalarIT0_EES3_PKS3_PKT1_SC_S9_PKT3_PKT4_S7_PT5_21rocsparse_index_base_b,"axG",@progbits,_ZN9rocsparseL20bsrxmvn_17_32_kernelILj23E21rocsparse_complex_numIdEllS2_S2_S2_EEvT2_20rocsparse_direction_NS_24const_host_device_scalarIT0_EES3_PKS3_PKT1_SC_S9_PKT3_PKT4_S7_PT5_21rocsparse_index_base_b,comdat
	.globl	_ZN9rocsparseL20bsrxmvn_17_32_kernelILj23E21rocsparse_complex_numIdEllS2_S2_S2_EEvT2_20rocsparse_direction_NS_24const_host_device_scalarIT0_EES3_PKS3_PKT1_SC_S9_PKT3_PKT4_S7_PT5_21rocsparse_index_base_b ; -- Begin function _ZN9rocsparseL20bsrxmvn_17_32_kernelILj23E21rocsparse_complex_numIdEllS2_S2_S2_EEvT2_20rocsparse_direction_NS_24const_host_device_scalarIT0_EES3_PKS3_PKT1_SC_S9_PKT3_PKT4_S7_PT5_21rocsparse_index_base_b
	.p2align	8
	.type	_ZN9rocsparseL20bsrxmvn_17_32_kernelILj23E21rocsparse_complex_numIdEllS2_S2_S2_EEvT2_20rocsparse_direction_NS_24const_host_device_scalarIT0_EES3_PKS3_PKT1_SC_S9_PKT3_PKT4_S7_PT5_21rocsparse_index_base_b,@function
_ZN9rocsparseL20bsrxmvn_17_32_kernelILj23E21rocsparse_complex_numIdEllS2_S2_S2_EEvT2_20rocsparse_direction_NS_24const_host_device_scalarIT0_EES3_PKS3_PKT1_SC_S9_PKT3_PKT4_S7_PT5_21rocsparse_index_base_b: ; @_ZN9rocsparseL20bsrxmvn_17_32_kernelILj23E21rocsparse_complex_numIdEllS2_S2_S2_EEvT2_20rocsparse_direction_NS_24const_host_device_scalarIT0_EES3_PKS3_PKT1_SC_S9_PKT3_PKT4_S7_PT5_21rocsparse_index_base_b
; %bb.0:
	s_mov_b32 s12, s15
	s_clause 0x1
	s_load_b64 s[14:15], s[2:3], 0x70
	s_load_b128 s[4:7], s[2:3], 0x10
	s_load_b64 s[16:17], s[0:1], 0x4
	s_mov_b64 s[0:1], src_shared_base
	v_and_b32_e32 v16, 0x3ff, v0
	s_load_b128 s[8:11], s[2:3], 0x58
	v_bfe_u32 v2, v0, 10, 10
	v_bfe_u32 v0, v0, 20, 10
	s_waitcnt lgkmcnt(0)
	s_bitcmp1_b32 s15, 0
	v_mov_b32_e32 v11, s7
	s_cselect_b32 s0, -1, 0
	v_mov_b32_e32 v10, s6
	s_and_b32 vcc_lo, s0, exec_lo
	s_cselect_b32 s13, s1, s5
	s_lshr_b32 s15, s16, 16
	s_xor_b32 s6, s0, -1
	s_mul_i32 s15, s15, s17
	v_mov_b32_e32 v5, s13
	v_mul_lo_u32 v1, s15, v16
	s_delay_alu instid0(VALU_DEP_1) | instskip(SKIP_1) | instid1(VALU_DEP_2)
	v_mad_u32_u24 v1, v2, s17, v1
	v_dual_mov_b32 v2, s8 :: v_dual_mov_b32 v3, s9
	v_add_lshl_u32 v6, v1, v0, 3
	v_dual_mov_b32 v0, s4 :: v_dual_mov_b32 v1, s5
	ds_store_b64 v6, v[0:1] offset:12696
	ds_store_b64 v6, v[2:3] offset:8464
	v_add_nc_u32_e32 v4, 0x3198, v6
	v_add_nc_u32_e32 v0, 0x2110, v6
	s_delay_alu instid0(VALU_DEP_2)
	v_cndmask_b32_e64 v4, s4, v4, s0
	flat_load_b64 v[8:9], v[4:5]
	s_cbranch_vccnz .LBB182_2
; %bb.1:
	v_dual_mov_b32 v1, s4 :: v_dual_mov_b32 v2, s5
	flat_load_b64 v[10:11], v[1:2] offset:8
.LBB182_2:
	s_and_b32 s4, s0, exec_lo
	s_cselect_b32 s1, s1, s9
	v_cndmask_b32_e64 v0, s8, v0, s0
	v_dual_mov_b32 v1, s1 :: v_dual_mov_b32 v6, s10
	v_mov_b32_e32 v7, s11
	s_and_not1_b32 vcc_lo, exec_lo, s6
	flat_load_b64 v[4:5], v[0:1]
	s_cbranch_vccnz .LBB182_4
; %bb.3:
	v_dual_mov_b32 v0, s8 :: v_dual_mov_b32 v1, s9
	flat_load_b64 v[6:7], v[0:1] offset:8
.LBB182_4:
	s_waitcnt vmcnt(1) lgkmcnt(1)
	v_cmp_eq_f64_e32 vcc_lo, 0, v[8:9]
	v_cmp_eq_f64_e64 s0, 0, v[10:11]
	s_delay_alu instid0(VALU_DEP_1)
	s_and_b32 s4, vcc_lo, s0
	s_mov_b32 s0, -1
	s_and_saveexec_b32 s1, s4
	s_cbranch_execz .LBB182_6
; %bb.5:
	s_waitcnt vmcnt(0) lgkmcnt(0)
	v_cmp_neq_f64_e32 vcc_lo, 1.0, v[4:5]
	v_cmp_neq_f64_e64 s0, 0, v[6:7]
	s_delay_alu instid0(VALU_DEP_1) | instskip(NEXT) | instid1(SALU_CYCLE_1)
	s_or_b32 s0, vcc_lo, s0
	s_or_not1_b32 s0, s0, exec_lo
.LBB182_6:
	s_or_b32 exec_lo, exec_lo, s1
	s_and_saveexec_b32 s1, s0
	s_cbranch_execz .LBB182_43
; %bb.7:
	s_clause 0x1
	s_load_b128 s[4:7], s[2:3], 0x28
	s_load_b64 s[8:9], s[2:3], 0x38
	s_mov_b32 s13, 0
	s_delay_alu instid0(SALU_CYCLE_1)
	s_mov_b32 s15, s13
	s_waitcnt lgkmcnt(0)
	s_cmp_eq_u64 s[4:5], 0
	s_cbranch_scc1 .LBB182_9
; %bb.8:
	s_lshl_b64 s[0:1], s[12:13], 3
	s_delay_alu instid0(SALU_CYCLE_1)
	s_add_u32 s0, s4, s0
	s_addc_u32 s1, s5, s1
	s_load_b64 s[0:1], s[0:1], 0x0
	s_waitcnt lgkmcnt(0)
	s_sub_u32 s12, s0, s14
	s_subb_u32 s13, s1, 0
.LBB182_9:
	s_load_b32 s1, s[2:3], 0x8
	v_mul_u32_u24_e32 v0, 0xb22, v16
	v_dual_mov_b32 v2, 0 :: v_dual_lshlrev_b32 v17, 4, v16
	v_mov_b32_e32 v3, 0
	s_delay_alu instid0(VALU_DEP_3) | instskip(NEXT) | instid1(VALU_DEP_1)
	v_lshrrev_b32_e32 v12, 16, v0
	v_mul_lo_u16 v0, v12, 23
	s_delay_alu instid0(VALU_DEP_1) | instskip(NEXT) | instid1(VALU_DEP_4)
	v_sub_nc_u16 v18, v16, v0
	v_dual_mov_b32 v0, v2 :: v_dual_mov_b32 v1, v3
	s_waitcnt lgkmcnt(0)
	s_cmp_eq_u32 s1, 1
	s_cselect_b32 s0, -1, 0
	s_cmp_lg_u32 s1, 1
	s_cselect_b32 s18, -1, 0
	s_lshl_b64 s[4:5], s[12:13], 3
	s_delay_alu instid0(SALU_CYCLE_1)
	s_add_u32 s6, s6, s4
	s_addc_u32 s7, s7, s5
	s_add_u32 s1, s6, 8
	s_addc_u32 s10, s7, 0
	;; [unrolled: 2-line block ×3, first 2 shown]
	s_cmp_eq_u64 s[8:9], 0
	s_load_b64 s[8:9], s[2:3], 0x68
	s_cselect_b32 s5, s10, s5
	s_cselect_b32 s4, s1, s4
	s_load_b64 s[10:11], s[6:7], 0x0
	s_load_b64 s[16:17], s[4:5], 0x0
	s_waitcnt lgkmcnt(0)
	v_cmp_ge_i64_e64 s1, s[10:11], s[16:17]
	s_delay_alu instid0(VALU_DEP_1)
	s_and_b32 vcc_lo, exec_lo, s1
	s_cbranch_vccnz .LBB182_14
; %bb.10:
	s_clause 0x1
	s_load_b64 s[20:21], s[2:3], 0x50
	s_load_b128 s[4:7], s[2:3], 0x40
	v_and_b32_e32 v0, 0xffff, v18
	v_dual_mov_b32 v2, 0 :: v_dual_and_b32 v1, 0xffff, v12
	v_mov_b32_e32 v3, 0
	s_sub_u32 s2, s16, s14
	s_subb_u32 s3, s17, 0
	s_delay_alu instid0(VALU_DEP_2)
	v_cndmask_b32_e64 v0, v0, v1, s0
	s_sub_u32 s0, s10, s14
	s_subb_u32 s1, s11, 0
	s_mul_hi_u32 s16, s0, 0x2110
	s_mul_i32 s17, s1, 0x2110
	v_lshlrev_b32_e32 v0, 4, v0
	s_mul_i32 s19, s0, 0x2110
	s_add_i32 s16, s16, s17
	s_waitcnt lgkmcnt(0)
	s_delay_alu instid0(VALU_DEP_1) | instskip(NEXT) | instid1(VALU_DEP_1)
	v_add_co_u32 v12, s17, s20, v0
	v_add_co_ci_u32_e64 v13, null, s21, 0, s17
	s_add_u32 s17, s6, s19
	s_addc_u32 s16, s7, s16
	s_lshl_b64 s[6:7], s[10:11], 3
	s_lshl_b64 s[10:11], s[14:15], 3
	v_add_co_u32 v14, s15, s17, v17
	v_dual_mov_b32 v0, v2 :: v_dual_mov_b32 v1, v3
	v_add_co_ci_u32_e64 v15, null, s16, 0, s15
	s_sub_u32 s6, s6, s10
	s_subb_u32 s7, s7, s11
	s_add_u32 s4, s4, s6
	s_addc_u32 s5, s5, s7
	s_set_inst_prefetch_distance 0x1
	s_branch .LBB182_12
	.p2align	6
.LBB182_11:                             ;   in Loop: Header=BB182_12 Depth=1
	s_add_u32 s0, s0, 1
	s_addc_u32 s1, s1, 0
	s_add_u32 s4, s4, 8
	v_cmp_lt_i64_e64 s6, s[0:1], s[2:3]
	s_addc_u32 s5, s5, 0
	s_delay_alu instid0(VALU_DEP_1)
	s_and_b32 vcc_lo, exec_lo, s6
	s_cbranch_vccz .LBB182_14
.LBB182_12:                             ; =>This Inner Loop Header: Depth=1
	v_cmp_ge_i64_e64 s6, s[0:1], s[2:3]
	s_delay_alu instid0(VALU_DEP_1)
	s_and_b32 vcc_lo, exec_lo, s6
	s_cbranch_vccnz .LBB182_11
; %bb.13:                               ;   in Loop: Header=BB182_12 Depth=1
	s_load_b64 s[6:7], s[4:5], 0x0
	s_waitcnt lgkmcnt(0)
	s_sub_u32 s6, s6, s14
	s_delay_alu instid0(SALU_CYCLE_1) | instskip(SKIP_1) | instid1(VALU_DEP_1)
	v_mad_u64_u32 v[23:24], null, 0x170, s6, v[12:13]
	s_subb_u32 s6, s7, 0
	v_mov_b32_e32 v19, v24
	s_delay_alu instid0(VALU_DEP_1) | instskip(NEXT) | instid1(VALU_DEP_1)
	v_mad_u64_u32 v[20:21], null, 0x170, s6, v[19:20]
	v_mov_b32_e32 v24, v20
	global_load_b128 v[19:22], v[14:15], off
	global_load_b128 v[23:26], v[23:24], off
	v_add_co_u32 v14, vcc_lo, 0x2110, v14
	v_add_co_ci_u32_e32 v15, vcc_lo, 0, v15, vcc_lo
	s_waitcnt vmcnt(0)
	v_fma_f64 v[0:1], v[19:20], v[23:24], v[0:1]
	v_fma_f64 v[2:3], v[21:22], v[23:24], v[2:3]
	s_delay_alu instid0(VALU_DEP_2) | instskip(NEXT) | instid1(VALU_DEP_2)
	v_fma_f64 v[0:1], -v[21:22], v[25:26], v[0:1]
	v_fma_f64 v[2:3], v[19:20], v[25:26], v[2:3]
	s_branch .LBB182_11
.LBB182_14:
	s_set_inst_prefetch_distance 0x2
	s_and_b32 vcc_lo, exec_lo, s18
	ds_store_b128 v17, v[0:3]
	s_waitcnt vmcnt(0) lgkmcnt(0)
	s_barrier
	buffer_gl0_inv
	s_cbranch_vccz .LBB182_26
; %bb.15:
	s_mov_b32 s0, exec_lo
	v_cmpx_gt_u16_e32 7, v18
	s_cbranch_execz .LBB182_17
; %bb.16:
	ds_load_b128 v[12:15], v17 offset:256
	ds_load_b128 v[19:22], v17
	s_waitcnt lgkmcnt(0)
	v_add_f64 v[12:13], v[12:13], v[19:20]
	v_add_f64 v[14:15], v[14:15], v[21:22]
	ds_store_b128 v17, v[12:15]
.LBB182_17:
	s_or_b32 exec_lo, exec_lo, s0
	s_delay_alu instid0(SALU_CYCLE_1)
	s_mov_b32 s0, exec_lo
	s_waitcnt lgkmcnt(0)
	s_barrier
	buffer_gl0_inv
	v_cmpx_gt_u16_e32 8, v18
	s_cbranch_execz .LBB182_19
; %bb.18:
	ds_load_b128 v[12:15], v17 offset:128
	ds_load_b128 v[19:22], v17
	s_waitcnt lgkmcnt(0)
	v_add_f64 v[12:13], v[12:13], v[19:20]
	v_add_f64 v[14:15], v[14:15], v[21:22]
	ds_store_b128 v17, v[12:15]
.LBB182_19:
	s_or_b32 exec_lo, exec_lo, s0
	s_delay_alu instid0(SALU_CYCLE_1)
	s_mov_b32 s0, exec_lo
	s_waitcnt lgkmcnt(0)
	s_barrier
	buffer_gl0_inv
	;; [unrolled: 16-line block ×3, first 2 shown]
	v_cmpx_gt_u16_e32 2, v18
	s_cbranch_execz .LBB182_23
; %bb.22:
	ds_load_b128 v[12:15], v17
	ds_load_b128 v[18:21], v17 offset:32
	s_waitcnt lgkmcnt(0)
	v_add_f64 v[12:13], v[18:19], v[12:13]
	v_add_f64 v[14:15], v[20:21], v[14:15]
	ds_store_b128 v17, v[12:15]
.LBB182_23:
	s_or_b32 exec_lo, exec_lo, s0
	v_dual_mov_b32 v15, v3 :: v_dual_mov_b32 v14, v2
	v_dual_mov_b32 v13, v1 :: v_dual_mov_b32 v12, v0
	s_mov_b32 s0, exec_lo
	s_waitcnt lgkmcnt(0)
	s_barrier
	buffer_gl0_inv
	v_cmpx_gt_u32_e32 23, v16
	s_cbranch_execz .LBB182_25
; %bb.24:
	v_mul_u32_u24_e32 v12, 23, v16
	s_delay_alu instid0(VALU_DEP_1)
	v_lshlrev_b32_e32 v18, 4, v12
	ds_load_b128 v[12:15], v18
	ds_load_b128 v[18:21], v18 offset:16
	s_waitcnt lgkmcnt(0)
	v_add_f64 v[12:13], v[18:19], v[12:13]
	v_add_f64 v[14:15], v[20:21], v[14:15]
.LBB182_25:
	s_or_b32 exec_lo, exec_lo, s0
	s_branch .LBB182_38
.LBB182_26:
                                        ; implicit-def: $vgpr14_vgpr15
                                        ; implicit-def: $vgpr12_vgpr13
	s_cbranch_execz .LBB182_38
; %bb.27:
	s_mov_b32 s0, exec_lo
	v_cmpx_gt_u32_e32 0xa1, v16
	s_cbranch_execz .LBB182_29
; %bb.28:
	ds_load_b128 v[12:15], v17 offset:5888
	ds_load_b128 v[18:21], v17
	s_waitcnt lgkmcnt(0)
	v_add_f64 v[12:13], v[12:13], v[18:19]
	v_add_f64 v[14:15], v[14:15], v[20:21]
	ds_store_b128 v17, v[12:15]
.LBB182_29:
	s_or_b32 exec_lo, exec_lo, s0
	s_delay_alu instid0(SALU_CYCLE_1)
	s_mov_b32 s0, exec_lo
	s_waitcnt lgkmcnt(0)
	s_barrier
	buffer_gl0_inv
	v_cmpx_gt_u32_e32 0xb8, v16
	s_cbranch_execz .LBB182_31
; %bb.30:
	ds_load_b128 v[12:15], v17 offset:2944
	ds_load_b128 v[18:21], v17
	s_waitcnt lgkmcnt(0)
	v_add_f64 v[12:13], v[12:13], v[18:19]
	v_add_f64 v[14:15], v[14:15], v[20:21]
	ds_store_b128 v17, v[12:15]
.LBB182_31:
	s_or_b32 exec_lo, exec_lo, s0
	s_delay_alu instid0(SALU_CYCLE_1)
	s_mov_b32 s0, exec_lo
	s_waitcnt lgkmcnt(0)
	s_barrier
	buffer_gl0_inv
	;; [unrolled: 16-line block ×3, first 2 shown]
	v_cmpx_gt_u32_e32 46, v16
	s_cbranch_execz .LBB182_35
; %bb.34:
	ds_load_b128 v[12:15], v17 offset:736
	ds_load_b128 v[18:21], v17
	s_waitcnt lgkmcnt(0)
	v_add_f64 v[12:13], v[12:13], v[18:19]
	v_add_f64 v[14:15], v[14:15], v[20:21]
	ds_store_b128 v17, v[12:15]
.LBB182_35:
	s_or_b32 exec_lo, exec_lo, s0
	s_delay_alu instid0(SALU_CYCLE_1)
	s_mov_b32 s0, exec_lo
	s_waitcnt lgkmcnt(0)
	buffer_gl0_inv
	v_cmpx_gt_u32_e32 23, v16
	s_cbranch_execz .LBB182_37
; %bb.36:
	ds_load_b128 v[0:3], v17 offset:368
	ds_load_b128 v[12:15], v17
	s_waitcnt lgkmcnt(0)
	v_add_f64 v[0:1], v[0:1], v[12:13]
	v_add_f64 v[2:3], v[2:3], v[14:15]
.LBB182_37:
	s_or_b32 exec_lo, exec_lo, s0
	s_delay_alu instid0(VALU_DEP_1) | instskip(NEXT) | instid1(VALU_DEP_3)
	v_dual_mov_b32 v15, v3 :: v_dual_mov_b32 v14, v2
	v_dual_mov_b32 v13, v1 :: v_dual_mov_b32 v12, v0
.LBB182_38:
	v_cmp_gt_u32_e32 vcc_lo, 23, v16
	s_and_b32 exec_lo, exec_lo, vcc_lo
	s_cbranch_execz .LBB182_43
; %bb.39:
	s_delay_alu instid0(VALU_DEP_2)
	v_mul_f64 v[0:1], v[14:15], -v[10:11]
	v_mul_f64 v[2:3], v[8:9], v[14:15]
	v_cmp_eq_f64_e32 vcc_lo, 0, v[4:5]
	v_cmp_eq_f64_e64 s0, 0, v[6:7]
	s_mul_hi_u32 s1, s12, 0x170
	s_mul_i32 s2, s12, 0x170
	s_delay_alu instid0(VALU_DEP_4) | instskip(NEXT) | instid1(VALU_DEP_4)
	v_fma_f64 v[0:1], v[8:9], v[12:13], v[0:1]
	v_fma_f64 v[2:3], v[10:11], v[12:13], v[2:3]
	s_delay_alu instid0(VALU_DEP_3) | instskip(SKIP_2) | instid1(SALU_CYCLE_1)
	s_and_b32 s3, vcc_lo, s0
	s_mul_i32 s0, s13, 0x170
	s_and_saveexec_b32 s4, s3
	s_xor_b32 s3, exec_lo, s4
	s_cbranch_execz .LBB182_41
; %bb.40:
	s_add_i32 s5, s1, s0
	s_add_u32 s4, s8, s2
	s_addc_u32 s5, s9, s5
                                        ; implicit-def: $vgpr4_vgpr5
                                        ; implicit-def: $vgpr6_vgpr7
	global_store_b128 v17, v[0:3], s[4:5]
                                        ; implicit-def: $vgpr17
                                        ; implicit-def: $vgpr0_vgpr1
.LBB182_41:
	s_and_not1_saveexec_b32 s3, s3
	s_cbranch_execz .LBB182_43
; %bb.42:
	s_add_i32 s1, s1, s0
	s_add_u32 s0, s8, s2
	s_addc_u32 s1, s9, s1
	global_load_b128 v[8:11], v17, s[0:1]
	s_waitcnt vmcnt(0)
	v_fma_f64 v[0:1], v[4:5], v[8:9], v[0:1]
	v_fma_f64 v[2:3], v[6:7], v[8:9], v[2:3]
	s_delay_alu instid0(VALU_DEP_2) | instskip(NEXT) | instid1(VALU_DEP_2)
	v_fma_f64 v[0:1], -v[6:7], v[10:11], v[0:1]
	v_fma_f64 v[2:3], v[4:5], v[10:11], v[2:3]
	global_store_b128 v17, v[0:3], s[0:1]
.LBB182_43:
	s_nop 0
	s_sendmsg sendmsg(MSG_DEALLOC_VGPRS)
	s_endpgm
	.section	.rodata,"a",@progbits
	.p2align	6, 0x0
	.amdhsa_kernel _ZN9rocsparseL20bsrxmvn_17_32_kernelILj23E21rocsparse_complex_numIdEllS2_S2_S2_EEvT2_20rocsparse_direction_NS_24const_host_device_scalarIT0_EES3_PKS3_PKT1_SC_S9_PKT3_PKT4_S7_PT5_21rocsparse_index_base_b
		.amdhsa_group_segment_fixed_size 16928
		.amdhsa_private_segment_fixed_size 0
		.amdhsa_kernarg_size 120
		.amdhsa_user_sgpr_count 15
		.amdhsa_user_sgpr_dispatch_ptr 1
		.amdhsa_user_sgpr_queue_ptr 0
		.amdhsa_user_sgpr_kernarg_segment_ptr 1
		.amdhsa_user_sgpr_dispatch_id 0
		.amdhsa_user_sgpr_private_segment_size 0
		.amdhsa_wavefront_size32 1
		.amdhsa_uses_dynamic_stack 0
		.amdhsa_enable_private_segment 0
		.amdhsa_system_sgpr_workgroup_id_x 1
		.amdhsa_system_sgpr_workgroup_id_y 0
		.amdhsa_system_sgpr_workgroup_id_z 0
		.amdhsa_system_sgpr_workgroup_info 0
		.amdhsa_system_vgpr_workitem_id 2
		.amdhsa_next_free_vgpr 27
		.amdhsa_next_free_sgpr 22
		.amdhsa_reserve_vcc 1
		.amdhsa_float_round_mode_32 0
		.amdhsa_float_round_mode_16_64 0
		.amdhsa_float_denorm_mode_32 3
		.amdhsa_float_denorm_mode_16_64 3
		.amdhsa_dx10_clamp 1
		.amdhsa_ieee_mode 1
		.amdhsa_fp16_overflow 0
		.amdhsa_workgroup_processor_mode 1
		.amdhsa_memory_ordered 1
		.amdhsa_forward_progress 0
		.amdhsa_shared_vgpr_count 0
		.amdhsa_exception_fp_ieee_invalid_op 0
		.amdhsa_exception_fp_denorm_src 0
		.amdhsa_exception_fp_ieee_div_zero 0
		.amdhsa_exception_fp_ieee_overflow 0
		.amdhsa_exception_fp_ieee_underflow 0
		.amdhsa_exception_fp_ieee_inexact 0
		.amdhsa_exception_int_div_zero 0
	.end_amdhsa_kernel
	.section	.text._ZN9rocsparseL20bsrxmvn_17_32_kernelILj23E21rocsparse_complex_numIdEllS2_S2_S2_EEvT2_20rocsparse_direction_NS_24const_host_device_scalarIT0_EES3_PKS3_PKT1_SC_S9_PKT3_PKT4_S7_PT5_21rocsparse_index_base_b,"axG",@progbits,_ZN9rocsparseL20bsrxmvn_17_32_kernelILj23E21rocsparse_complex_numIdEllS2_S2_S2_EEvT2_20rocsparse_direction_NS_24const_host_device_scalarIT0_EES3_PKS3_PKT1_SC_S9_PKT3_PKT4_S7_PT5_21rocsparse_index_base_b,comdat
.Lfunc_end182:
	.size	_ZN9rocsparseL20bsrxmvn_17_32_kernelILj23E21rocsparse_complex_numIdEllS2_S2_S2_EEvT2_20rocsparse_direction_NS_24const_host_device_scalarIT0_EES3_PKS3_PKT1_SC_S9_PKT3_PKT4_S7_PT5_21rocsparse_index_base_b, .Lfunc_end182-_ZN9rocsparseL20bsrxmvn_17_32_kernelILj23E21rocsparse_complex_numIdEllS2_S2_S2_EEvT2_20rocsparse_direction_NS_24const_host_device_scalarIT0_EES3_PKS3_PKT1_SC_S9_PKT3_PKT4_S7_PT5_21rocsparse_index_base_b
                                        ; -- End function
	.section	.AMDGPU.csdata,"",@progbits
; Kernel info:
; codeLenInByte = 2060
; NumSgprs: 24
; NumVgprs: 27
; ScratchSize: 0
; MemoryBound: 1
; FloatMode: 240
; IeeeMode: 1
; LDSByteSize: 16928 bytes/workgroup (compile time only)
; SGPRBlocks: 2
; VGPRBlocks: 3
; NumSGPRsForWavesPerEU: 24
; NumVGPRsForWavesPerEU: 27
; Occupancy: 13
; WaveLimiterHint : 1
; COMPUTE_PGM_RSRC2:SCRATCH_EN: 0
; COMPUTE_PGM_RSRC2:USER_SGPR: 15
; COMPUTE_PGM_RSRC2:TRAP_HANDLER: 0
; COMPUTE_PGM_RSRC2:TGID_X_EN: 1
; COMPUTE_PGM_RSRC2:TGID_Y_EN: 0
; COMPUTE_PGM_RSRC2:TGID_Z_EN: 0
; COMPUTE_PGM_RSRC2:TIDIG_COMP_CNT: 2
	.section	.text._ZN9rocsparseL20bsrxmvn_17_32_kernelILj24E21rocsparse_complex_numIdEllS2_S2_S2_EEvT2_20rocsparse_direction_NS_24const_host_device_scalarIT0_EES3_PKS3_PKT1_SC_S9_PKT3_PKT4_S7_PT5_21rocsparse_index_base_b,"axG",@progbits,_ZN9rocsparseL20bsrxmvn_17_32_kernelILj24E21rocsparse_complex_numIdEllS2_S2_S2_EEvT2_20rocsparse_direction_NS_24const_host_device_scalarIT0_EES3_PKS3_PKT1_SC_S9_PKT3_PKT4_S7_PT5_21rocsparse_index_base_b,comdat
	.globl	_ZN9rocsparseL20bsrxmvn_17_32_kernelILj24E21rocsparse_complex_numIdEllS2_S2_S2_EEvT2_20rocsparse_direction_NS_24const_host_device_scalarIT0_EES3_PKS3_PKT1_SC_S9_PKT3_PKT4_S7_PT5_21rocsparse_index_base_b ; -- Begin function _ZN9rocsparseL20bsrxmvn_17_32_kernelILj24E21rocsparse_complex_numIdEllS2_S2_S2_EEvT2_20rocsparse_direction_NS_24const_host_device_scalarIT0_EES3_PKS3_PKT1_SC_S9_PKT3_PKT4_S7_PT5_21rocsparse_index_base_b
	.p2align	8
	.type	_ZN9rocsparseL20bsrxmvn_17_32_kernelILj24E21rocsparse_complex_numIdEllS2_S2_S2_EEvT2_20rocsparse_direction_NS_24const_host_device_scalarIT0_EES3_PKS3_PKT1_SC_S9_PKT3_PKT4_S7_PT5_21rocsparse_index_base_b,@function
_ZN9rocsparseL20bsrxmvn_17_32_kernelILj24E21rocsparse_complex_numIdEllS2_S2_S2_EEvT2_20rocsparse_direction_NS_24const_host_device_scalarIT0_EES3_PKS3_PKT1_SC_S9_PKT3_PKT4_S7_PT5_21rocsparse_index_base_b: ; @_ZN9rocsparseL20bsrxmvn_17_32_kernelILj24E21rocsparse_complex_numIdEllS2_S2_S2_EEvT2_20rocsparse_direction_NS_24const_host_device_scalarIT0_EES3_PKS3_PKT1_SC_S9_PKT3_PKT4_S7_PT5_21rocsparse_index_base_b
; %bb.0:
	s_mov_b32 s12, s15
	s_clause 0x1
	s_load_b64 s[14:15], s[2:3], 0x70
	s_load_b128 s[4:7], s[2:3], 0x10
	s_load_b64 s[16:17], s[0:1], 0x4
	s_mov_b64 s[0:1], src_shared_base
	v_and_b32_e32 v16, 0x3ff, v0
	s_load_b128 s[8:11], s[2:3], 0x58
	v_bfe_u32 v2, v0, 10, 10
	v_bfe_u32 v0, v0, 20, 10
	s_waitcnt lgkmcnt(0)
	s_bitcmp1_b32 s15, 0
	v_mov_b32_e32 v11, s7
	s_cselect_b32 s0, -1, 0
	v_mov_b32_e32 v10, s6
	s_and_b32 vcc_lo, s0, exec_lo
	s_cselect_b32 s13, s1, s5
	s_lshr_b32 s15, s16, 16
	s_xor_b32 s6, s0, -1
	s_mul_i32 s15, s15, s17
	v_mov_b32_e32 v5, s13
	v_mul_lo_u32 v1, s15, v16
	s_delay_alu instid0(VALU_DEP_1) | instskip(SKIP_1) | instid1(VALU_DEP_2)
	v_mad_u32_u24 v1, v2, s17, v1
	v_dual_mov_b32 v2, s8 :: v_dual_mov_b32 v3, s9
	v_add_lshl_u32 v6, v1, v0, 3
	v_dual_mov_b32 v0, s4 :: v_dual_mov_b32 v1, s5
	s_delay_alu instid0(VALU_DEP_2)
	v_add_nc_u32_e32 v4, 0x3600, v6
	ds_store_2addr_stride64_b64 v6, v[2:3], v[0:1] offset0:18 offset1:27
	v_add_nc_u32_e32 v0, 0x2400, v6
	v_cndmask_b32_e64 v4, s4, v4, s0
	flat_load_b64 v[8:9], v[4:5]
	s_cbranch_vccnz .LBB183_2
; %bb.1:
	v_dual_mov_b32 v1, s4 :: v_dual_mov_b32 v2, s5
	flat_load_b64 v[10:11], v[1:2] offset:8
.LBB183_2:
	s_and_b32 s4, s0, exec_lo
	s_cselect_b32 s1, s1, s9
	v_cndmask_b32_e64 v0, s8, v0, s0
	v_dual_mov_b32 v1, s1 :: v_dual_mov_b32 v6, s10
	v_mov_b32_e32 v7, s11
	s_and_not1_b32 vcc_lo, exec_lo, s6
	flat_load_b64 v[4:5], v[0:1]
	s_cbranch_vccnz .LBB183_4
; %bb.3:
	v_dual_mov_b32 v0, s8 :: v_dual_mov_b32 v1, s9
	flat_load_b64 v[6:7], v[0:1] offset:8
.LBB183_4:
	s_waitcnt vmcnt(1) lgkmcnt(1)
	v_cmp_eq_f64_e32 vcc_lo, 0, v[8:9]
	v_cmp_eq_f64_e64 s0, 0, v[10:11]
	s_delay_alu instid0(VALU_DEP_1)
	s_and_b32 s4, vcc_lo, s0
	s_mov_b32 s0, -1
	s_and_saveexec_b32 s1, s4
	s_cbranch_execz .LBB183_6
; %bb.5:
	s_waitcnt vmcnt(0) lgkmcnt(0)
	v_cmp_neq_f64_e32 vcc_lo, 1.0, v[4:5]
	v_cmp_neq_f64_e64 s0, 0, v[6:7]
	s_delay_alu instid0(VALU_DEP_1) | instskip(NEXT) | instid1(SALU_CYCLE_1)
	s_or_b32 s0, vcc_lo, s0
	s_or_not1_b32 s0, s0, exec_lo
.LBB183_6:
	s_or_b32 exec_lo, exec_lo, s1
	s_and_saveexec_b32 s1, s0
	s_cbranch_execz .LBB183_43
; %bb.7:
	s_clause 0x1
	s_load_b128 s[4:7], s[2:3], 0x28
	s_load_b64 s[8:9], s[2:3], 0x38
	s_mov_b32 s13, 0
	s_delay_alu instid0(SALU_CYCLE_1)
	s_mov_b32 s15, s13
	s_waitcnt lgkmcnt(0)
	s_cmp_eq_u64 s[4:5], 0
	s_cbranch_scc1 .LBB183_9
; %bb.8:
	s_lshl_b64 s[0:1], s[12:13], 3
	s_delay_alu instid0(SALU_CYCLE_1)
	s_add_u32 s0, s4, s0
	s_addc_u32 s1, s5, s1
	s_load_b64 s[0:1], s[0:1], 0x0
	s_waitcnt lgkmcnt(0)
	s_sub_u32 s12, s0, s14
	s_subb_u32 s13, s1, 0
.LBB183_9:
	s_load_b32 s1, s[2:3], 0x8
	v_mul_u32_u24_e32 v0, 0xaab, v16
	v_dual_mov_b32 v2, 0 :: v_dual_lshlrev_b32 v17, 4, v16
	v_mov_b32_e32 v3, 0
	s_delay_alu instid0(VALU_DEP_3) | instskip(NEXT) | instid1(VALU_DEP_1)
	v_lshrrev_b32_e32 v12, 16, v0
	v_mul_lo_u16 v0, v12, 24
	s_delay_alu instid0(VALU_DEP_1) | instskip(NEXT) | instid1(VALU_DEP_4)
	v_sub_nc_u16 v18, v16, v0
	v_dual_mov_b32 v0, v2 :: v_dual_mov_b32 v1, v3
	s_waitcnt lgkmcnt(0)
	s_cmp_eq_u32 s1, 1
	s_cselect_b32 s0, -1, 0
	s_cmp_lg_u32 s1, 1
	s_cselect_b32 s18, -1, 0
	s_lshl_b64 s[4:5], s[12:13], 3
	s_delay_alu instid0(SALU_CYCLE_1)
	s_add_u32 s6, s6, s4
	s_addc_u32 s7, s7, s5
	s_add_u32 s1, s6, 8
	s_addc_u32 s10, s7, 0
	;; [unrolled: 2-line block ×3, first 2 shown]
	s_cmp_eq_u64 s[8:9], 0
	s_load_b64 s[8:9], s[2:3], 0x68
	s_cselect_b32 s5, s10, s5
	s_cselect_b32 s4, s1, s4
	s_load_b64 s[10:11], s[6:7], 0x0
	s_load_b64 s[16:17], s[4:5], 0x0
	s_waitcnt lgkmcnt(0)
	v_cmp_ge_i64_e64 s1, s[10:11], s[16:17]
	s_delay_alu instid0(VALU_DEP_1)
	s_and_b32 vcc_lo, exec_lo, s1
	s_cbranch_vccnz .LBB183_14
; %bb.10:
	s_clause 0x1
	s_load_b64 s[20:21], s[2:3], 0x50
	s_load_b128 s[4:7], s[2:3], 0x40
	v_and_b32_e32 v0, 0xffff, v18
	v_dual_mov_b32 v2, 0 :: v_dual_and_b32 v1, 0xffff, v12
	v_mov_b32_e32 v3, 0
	s_sub_u32 s2, s16, s14
	s_subb_u32 s3, s17, 0
	s_delay_alu instid0(VALU_DEP_2)
	v_cndmask_b32_e64 v0, v0, v1, s0
	s_sub_u32 s0, s10, s14
	s_subb_u32 s1, s11, 0
	s_mul_hi_u32 s16, s0, 0x2400
	s_mul_i32 s17, s1, 0x2400
	v_lshlrev_b32_e32 v0, 4, v0
	s_mul_i32 s19, s0, 0x2400
	s_add_i32 s16, s16, s17
	s_waitcnt lgkmcnt(0)
	s_delay_alu instid0(VALU_DEP_1) | instskip(NEXT) | instid1(VALU_DEP_1)
	v_add_co_u32 v12, s17, s20, v0
	v_add_co_ci_u32_e64 v13, null, s21, 0, s17
	s_add_u32 s17, s6, s19
	s_addc_u32 s16, s7, s16
	s_lshl_b64 s[6:7], s[10:11], 3
	s_lshl_b64 s[10:11], s[14:15], 3
	v_add_co_u32 v14, s15, s17, v17
	v_dual_mov_b32 v0, v2 :: v_dual_mov_b32 v1, v3
	v_add_co_ci_u32_e64 v15, null, s16, 0, s15
	s_sub_u32 s6, s6, s10
	s_subb_u32 s7, s7, s11
	s_add_u32 s4, s4, s6
	s_addc_u32 s5, s5, s7
	s_set_inst_prefetch_distance 0x1
	s_branch .LBB183_12
	.p2align	6
.LBB183_11:                             ;   in Loop: Header=BB183_12 Depth=1
	s_add_u32 s0, s0, 1
	s_addc_u32 s1, s1, 0
	s_add_u32 s4, s4, 8
	v_cmp_lt_i64_e64 s6, s[0:1], s[2:3]
	s_addc_u32 s5, s5, 0
	s_delay_alu instid0(VALU_DEP_1)
	s_and_b32 vcc_lo, exec_lo, s6
	s_cbranch_vccz .LBB183_14
.LBB183_12:                             ; =>This Inner Loop Header: Depth=1
	v_cmp_ge_i64_e64 s6, s[0:1], s[2:3]
	s_delay_alu instid0(VALU_DEP_1)
	s_and_b32 vcc_lo, exec_lo, s6
	s_cbranch_vccnz .LBB183_11
; %bb.13:                               ;   in Loop: Header=BB183_12 Depth=1
	s_load_b64 s[6:7], s[4:5], 0x0
	s_waitcnt lgkmcnt(0)
	s_sub_u32 s6, s6, s14
	s_delay_alu instid0(SALU_CYCLE_1) | instskip(SKIP_1) | instid1(VALU_DEP_1)
	v_mad_u64_u32 v[23:24], null, 0x180, s6, v[12:13]
	s_subb_u32 s6, s7, 0
	v_mov_b32_e32 v19, v24
	s_delay_alu instid0(VALU_DEP_1) | instskip(NEXT) | instid1(VALU_DEP_1)
	v_mad_u64_u32 v[20:21], null, 0x180, s6, v[19:20]
	v_mov_b32_e32 v24, v20
	global_load_b128 v[19:22], v[14:15], off
	global_load_b128 v[23:26], v[23:24], off
	v_add_co_u32 v14, vcc_lo, 0x2400, v14
	v_add_co_ci_u32_e32 v15, vcc_lo, 0, v15, vcc_lo
	s_waitcnt vmcnt(0)
	v_fma_f64 v[0:1], v[19:20], v[23:24], v[0:1]
	v_fma_f64 v[2:3], v[21:22], v[23:24], v[2:3]
	s_delay_alu instid0(VALU_DEP_2) | instskip(NEXT) | instid1(VALU_DEP_2)
	v_fma_f64 v[0:1], -v[21:22], v[25:26], v[0:1]
	v_fma_f64 v[2:3], v[19:20], v[25:26], v[2:3]
	s_branch .LBB183_11
.LBB183_14:
	s_set_inst_prefetch_distance 0x2
	s_and_b32 vcc_lo, exec_lo, s18
	ds_store_b128 v17, v[0:3]
	s_waitcnt vmcnt(0) lgkmcnt(0)
	s_barrier
	buffer_gl0_inv
	s_cbranch_vccz .LBB183_26
; %bb.15:
	v_cmp_gt_u16_e32 vcc_lo, 8, v18
	s_and_saveexec_b32 s0, vcc_lo
	s_cbranch_execz .LBB183_17
; %bb.16:
	ds_load_b128 v[12:15], v17 offset:256
	ds_load_b128 v[19:22], v17
	s_waitcnt lgkmcnt(0)
	v_add_f64 v[12:13], v[12:13], v[19:20]
	v_add_f64 v[14:15], v[14:15], v[21:22]
	ds_store_b128 v17, v[12:15]
.LBB183_17:
	s_or_b32 exec_lo, exec_lo, s0
	s_waitcnt lgkmcnt(0)
	s_barrier
	buffer_gl0_inv
	s_and_saveexec_b32 s0, vcc_lo
	s_cbranch_execz .LBB183_19
; %bb.18:
	ds_load_b128 v[12:15], v17 offset:128
	ds_load_b128 v[19:22], v17
	s_waitcnt lgkmcnt(0)
	v_add_f64 v[12:13], v[12:13], v[19:20]
	v_add_f64 v[14:15], v[14:15], v[21:22]
	ds_store_b128 v17, v[12:15]
.LBB183_19:
	s_or_b32 exec_lo, exec_lo, s0
	s_delay_alu instid0(SALU_CYCLE_1)
	s_mov_b32 s0, exec_lo
	s_waitcnt lgkmcnt(0)
	s_barrier
	buffer_gl0_inv
	v_cmpx_gt_u16_e32 4, v18
	s_cbranch_execz .LBB183_21
; %bb.20:
	ds_load_b128 v[12:15], v17 offset:64
	ds_load_b128 v[19:22], v17
	s_waitcnt lgkmcnt(0)
	v_add_f64 v[12:13], v[12:13], v[19:20]
	v_add_f64 v[14:15], v[14:15], v[21:22]
	ds_store_b128 v17, v[12:15]
.LBB183_21:
	s_or_b32 exec_lo, exec_lo, s0
	s_delay_alu instid0(SALU_CYCLE_1)
	s_mov_b32 s0, exec_lo
	s_waitcnt lgkmcnt(0)
	s_barrier
	buffer_gl0_inv
	v_cmpx_gt_u16_e32 2, v18
	s_cbranch_execz .LBB183_23
; %bb.22:
	ds_load_b128 v[12:15], v17
	ds_load_b128 v[18:21], v17 offset:32
	s_waitcnt lgkmcnt(0)
	v_add_f64 v[12:13], v[18:19], v[12:13]
	v_add_f64 v[14:15], v[20:21], v[14:15]
	ds_store_b128 v17, v[12:15]
.LBB183_23:
	s_or_b32 exec_lo, exec_lo, s0
	v_dual_mov_b32 v15, v3 :: v_dual_mov_b32 v14, v2
	v_dual_mov_b32 v13, v1 :: v_dual_mov_b32 v12, v0
	s_mov_b32 s0, exec_lo
	s_waitcnt lgkmcnt(0)
	s_barrier
	buffer_gl0_inv
	v_cmpx_gt_u32_e32 24, v16
	s_cbranch_execz .LBB183_25
; %bb.24:
	v_mul_u32_u24_e32 v12, 24, v16
	s_delay_alu instid0(VALU_DEP_1)
	v_lshlrev_b32_e32 v18, 4, v12
	ds_load_b128 v[12:15], v18
	ds_load_b128 v[18:21], v18 offset:16
	s_waitcnt lgkmcnt(0)
	v_add_f64 v[12:13], v[18:19], v[12:13]
	v_add_f64 v[14:15], v[20:21], v[14:15]
.LBB183_25:
	s_or_b32 exec_lo, exec_lo, s0
	s_branch .LBB183_38
.LBB183_26:
                                        ; implicit-def: $vgpr14_vgpr15
                                        ; implicit-def: $vgpr12_vgpr13
	s_cbranch_execz .LBB183_38
; %bb.27:
	v_cmp_gt_u32_e32 vcc_lo, 0xc0, v16
	s_and_saveexec_b32 s0, vcc_lo
	s_cbranch_execz .LBB183_29
; %bb.28:
	ds_load_b128 v[12:15], v17 offset:6144
	ds_load_b128 v[18:21], v17
	s_waitcnt lgkmcnt(0)
	v_add_f64 v[12:13], v[12:13], v[18:19]
	v_add_f64 v[14:15], v[14:15], v[20:21]
	ds_store_b128 v17, v[12:15]
.LBB183_29:
	s_or_b32 exec_lo, exec_lo, s0
	s_waitcnt lgkmcnt(0)
	s_barrier
	buffer_gl0_inv
	s_and_saveexec_b32 s0, vcc_lo
	s_cbranch_execz .LBB183_31
; %bb.30:
	ds_load_b128 v[12:15], v17 offset:3072
	ds_load_b128 v[18:21], v17
	s_waitcnt lgkmcnt(0)
	v_add_f64 v[12:13], v[12:13], v[18:19]
	v_add_f64 v[14:15], v[14:15], v[20:21]
	ds_store_b128 v17, v[12:15]
.LBB183_31:
	s_or_b32 exec_lo, exec_lo, s0
	s_delay_alu instid0(SALU_CYCLE_1)
	s_mov_b32 s0, exec_lo
	s_waitcnt lgkmcnt(0)
	s_barrier
	buffer_gl0_inv
	v_cmpx_gt_u32_e32 0x60, v16
	s_cbranch_execz .LBB183_33
; %bb.32:
	ds_load_b128 v[12:15], v17 offset:1536
	ds_load_b128 v[18:21], v17
	s_waitcnt lgkmcnt(0)
	v_add_f64 v[12:13], v[12:13], v[18:19]
	v_add_f64 v[14:15], v[14:15], v[20:21]
	ds_store_b128 v17, v[12:15]
.LBB183_33:
	s_or_b32 exec_lo, exec_lo, s0
	s_delay_alu instid0(SALU_CYCLE_1)
	s_mov_b32 s0, exec_lo
	s_waitcnt lgkmcnt(0)
	s_barrier
	buffer_gl0_inv
	v_cmpx_gt_u32_e32 48, v16
	s_cbranch_execz .LBB183_35
; %bb.34:
	ds_load_b128 v[12:15], v17 offset:768
	ds_load_b128 v[18:21], v17
	s_waitcnt lgkmcnt(0)
	v_add_f64 v[12:13], v[12:13], v[18:19]
	v_add_f64 v[14:15], v[14:15], v[20:21]
	ds_store_b128 v17, v[12:15]
.LBB183_35:
	s_or_b32 exec_lo, exec_lo, s0
	s_delay_alu instid0(SALU_CYCLE_1)
	s_mov_b32 s0, exec_lo
	s_waitcnt lgkmcnt(0)
	buffer_gl0_inv
	v_cmpx_gt_u32_e32 24, v16
	s_cbranch_execz .LBB183_37
; %bb.36:
	ds_load_b128 v[0:3], v17 offset:384
	ds_load_b128 v[12:15], v17
	s_waitcnt lgkmcnt(0)
	v_add_f64 v[0:1], v[0:1], v[12:13]
	v_add_f64 v[2:3], v[2:3], v[14:15]
.LBB183_37:
	s_or_b32 exec_lo, exec_lo, s0
	s_delay_alu instid0(VALU_DEP_1) | instskip(NEXT) | instid1(VALU_DEP_3)
	v_dual_mov_b32 v15, v3 :: v_dual_mov_b32 v14, v2
	v_dual_mov_b32 v13, v1 :: v_dual_mov_b32 v12, v0
.LBB183_38:
	v_cmp_gt_u32_e32 vcc_lo, 24, v16
	s_and_b32 exec_lo, exec_lo, vcc_lo
	s_cbranch_execz .LBB183_43
; %bb.39:
	s_delay_alu instid0(VALU_DEP_2)
	v_mul_f64 v[0:1], v[14:15], -v[10:11]
	v_mul_f64 v[2:3], v[8:9], v[14:15]
	v_cmp_eq_f64_e32 vcc_lo, 0, v[4:5]
	v_cmp_eq_f64_e64 s0, 0, v[6:7]
	s_mul_hi_u32 s1, s12, 0x180
	s_mul_i32 s2, s12, 0x180
	s_delay_alu instid0(VALU_DEP_4) | instskip(NEXT) | instid1(VALU_DEP_4)
	v_fma_f64 v[0:1], v[8:9], v[12:13], v[0:1]
	v_fma_f64 v[2:3], v[10:11], v[12:13], v[2:3]
	s_delay_alu instid0(VALU_DEP_3) | instskip(SKIP_2) | instid1(SALU_CYCLE_1)
	s_and_b32 s3, vcc_lo, s0
	s_mul_i32 s0, s13, 0x180
	s_and_saveexec_b32 s4, s3
	s_xor_b32 s3, exec_lo, s4
	s_cbranch_execz .LBB183_41
; %bb.40:
	s_add_i32 s5, s1, s0
	s_add_u32 s4, s8, s2
	s_addc_u32 s5, s9, s5
                                        ; implicit-def: $vgpr4_vgpr5
                                        ; implicit-def: $vgpr6_vgpr7
	global_store_b128 v17, v[0:3], s[4:5]
                                        ; implicit-def: $vgpr17
                                        ; implicit-def: $vgpr0_vgpr1
.LBB183_41:
	s_and_not1_saveexec_b32 s3, s3
	s_cbranch_execz .LBB183_43
; %bb.42:
	s_add_i32 s1, s1, s0
	s_add_u32 s0, s8, s2
	s_addc_u32 s1, s9, s1
	global_load_b128 v[8:11], v17, s[0:1]
	s_waitcnt vmcnt(0)
	v_fma_f64 v[0:1], v[4:5], v[8:9], v[0:1]
	v_fma_f64 v[2:3], v[6:7], v[8:9], v[2:3]
	s_delay_alu instid0(VALU_DEP_2) | instskip(NEXT) | instid1(VALU_DEP_2)
	v_fma_f64 v[0:1], -v[6:7], v[10:11], v[0:1]
	v_fma_f64 v[2:3], v[4:5], v[10:11], v[2:3]
	global_store_b128 v17, v[0:3], s[0:1]
.LBB183_43:
	s_nop 0
	s_sendmsg sendmsg(MSG_DEALLOC_VGPRS)
	s_endpgm
	.section	.rodata,"a",@progbits
	.p2align	6, 0x0
	.amdhsa_kernel _ZN9rocsparseL20bsrxmvn_17_32_kernelILj24E21rocsparse_complex_numIdEllS2_S2_S2_EEvT2_20rocsparse_direction_NS_24const_host_device_scalarIT0_EES3_PKS3_PKT1_SC_S9_PKT3_PKT4_S7_PT5_21rocsparse_index_base_b
		.amdhsa_group_segment_fixed_size 18432
		.amdhsa_private_segment_fixed_size 0
		.amdhsa_kernarg_size 120
		.amdhsa_user_sgpr_count 15
		.amdhsa_user_sgpr_dispatch_ptr 1
		.amdhsa_user_sgpr_queue_ptr 0
		.amdhsa_user_sgpr_kernarg_segment_ptr 1
		.amdhsa_user_sgpr_dispatch_id 0
		.amdhsa_user_sgpr_private_segment_size 0
		.amdhsa_wavefront_size32 1
		.amdhsa_uses_dynamic_stack 0
		.amdhsa_enable_private_segment 0
		.amdhsa_system_sgpr_workgroup_id_x 1
		.amdhsa_system_sgpr_workgroup_id_y 0
		.amdhsa_system_sgpr_workgroup_id_z 0
		.amdhsa_system_sgpr_workgroup_info 0
		.amdhsa_system_vgpr_workitem_id 2
		.amdhsa_next_free_vgpr 27
		.amdhsa_next_free_sgpr 22
		.amdhsa_reserve_vcc 1
		.amdhsa_float_round_mode_32 0
		.amdhsa_float_round_mode_16_64 0
		.amdhsa_float_denorm_mode_32 3
		.amdhsa_float_denorm_mode_16_64 3
		.amdhsa_dx10_clamp 1
		.amdhsa_ieee_mode 1
		.amdhsa_fp16_overflow 0
		.amdhsa_workgroup_processor_mode 1
		.amdhsa_memory_ordered 1
		.amdhsa_forward_progress 0
		.amdhsa_shared_vgpr_count 0
		.amdhsa_exception_fp_ieee_invalid_op 0
		.amdhsa_exception_fp_denorm_src 0
		.amdhsa_exception_fp_ieee_div_zero 0
		.amdhsa_exception_fp_ieee_overflow 0
		.amdhsa_exception_fp_ieee_underflow 0
		.amdhsa_exception_fp_ieee_inexact 0
		.amdhsa_exception_int_div_zero 0
	.end_amdhsa_kernel
	.section	.text._ZN9rocsparseL20bsrxmvn_17_32_kernelILj24E21rocsparse_complex_numIdEllS2_S2_S2_EEvT2_20rocsparse_direction_NS_24const_host_device_scalarIT0_EES3_PKS3_PKT1_SC_S9_PKT3_PKT4_S7_PT5_21rocsparse_index_base_b,"axG",@progbits,_ZN9rocsparseL20bsrxmvn_17_32_kernelILj24E21rocsparse_complex_numIdEllS2_S2_S2_EEvT2_20rocsparse_direction_NS_24const_host_device_scalarIT0_EES3_PKS3_PKT1_SC_S9_PKT3_PKT4_S7_PT5_21rocsparse_index_base_b,comdat
.Lfunc_end183:
	.size	_ZN9rocsparseL20bsrxmvn_17_32_kernelILj24E21rocsparse_complex_numIdEllS2_S2_S2_EEvT2_20rocsparse_direction_NS_24const_host_device_scalarIT0_EES3_PKS3_PKT1_SC_S9_PKT3_PKT4_S7_PT5_21rocsparse_index_base_b, .Lfunc_end183-_ZN9rocsparseL20bsrxmvn_17_32_kernelILj24E21rocsparse_complex_numIdEllS2_S2_S2_EEvT2_20rocsparse_direction_NS_24const_host_device_scalarIT0_EES3_PKS3_PKT1_SC_S9_PKT3_PKT4_S7_PT5_21rocsparse_index_base_b
                                        ; -- End function
	.section	.AMDGPU.csdata,"",@progbits
; Kernel info:
; codeLenInByte = 2032
; NumSgprs: 24
; NumVgprs: 27
; ScratchSize: 0
; MemoryBound: 1
; FloatMode: 240
; IeeeMode: 1
; LDSByteSize: 18432 bytes/workgroup (compile time only)
; SGPRBlocks: 2
; VGPRBlocks: 3
; NumSGPRsForWavesPerEU: 24
; NumVGPRsForWavesPerEU: 27
; Occupancy: 14
; WaveLimiterHint : 1
; COMPUTE_PGM_RSRC2:SCRATCH_EN: 0
; COMPUTE_PGM_RSRC2:USER_SGPR: 15
; COMPUTE_PGM_RSRC2:TRAP_HANDLER: 0
; COMPUTE_PGM_RSRC2:TGID_X_EN: 1
; COMPUTE_PGM_RSRC2:TGID_Y_EN: 0
; COMPUTE_PGM_RSRC2:TGID_Z_EN: 0
; COMPUTE_PGM_RSRC2:TIDIG_COMP_CNT: 2
	.section	.text._ZN9rocsparseL20bsrxmvn_17_32_kernelILj25E21rocsparse_complex_numIdEllS2_S2_S2_EEvT2_20rocsparse_direction_NS_24const_host_device_scalarIT0_EES3_PKS3_PKT1_SC_S9_PKT3_PKT4_S7_PT5_21rocsparse_index_base_b,"axG",@progbits,_ZN9rocsparseL20bsrxmvn_17_32_kernelILj25E21rocsparse_complex_numIdEllS2_S2_S2_EEvT2_20rocsparse_direction_NS_24const_host_device_scalarIT0_EES3_PKS3_PKT1_SC_S9_PKT3_PKT4_S7_PT5_21rocsparse_index_base_b,comdat
	.globl	_ZN9rocsparseL20bsrxmvn_17_32_kernelILj25E21rocsparse_complex_numIdEllS2_S2_S2_EEvT2_20rocsparse_direction_NS_24const_host_device_scalarIT0_EES3_PKS3_PKT1_SC_S9_PKT3_PKT4_S7_PT5_21rocsparse_index_base_b ; -- Begin function _ZN9rocsparseL20bsrxmvn_17_32_kernelILj25E21rocsparse_complex_numIdEllS2_S2_S2_EEvT2_20rocsparse_direction_NS_24const_host_device_scalarIT0_EES3_PKS3_PKT1_SC_S9_PKT3_PKT4_S7_PT5_21rocsparse_index_base_b
	.p2align	8
	.type	_ZN9rocsparseL20bsrxmvn_17_32_kernelILj25E21rocsparse_complex_numIdEllS2_S2_S2_EEvT2_20rocsparse_direction_NS_24const_host_device_scalarIT0_EES3_PKS3_PKT1_SC_S9_PKT3_PKT4_S7_PT5_21rocsparse_index_base_b,@function
_ZN9rocsparseL20bsrxmvn_17_32_kernelILj25E21rocsparse_complex_numIdEllS2_S2_S2_EEvT2_20rocsparse_direction_NS_24const_host_device_scalarIT0_EES3_PKS3_PKT1_SC_S9_PKT3_PKT4_S7_PT5_21rocsparse_index_base_b: ; @_ZN9rocsparseL20bsrxmvn_17_32_kernelILj25E21rocsparse_complex_numIdEllS2_S2_S2_EEvT2_20rocsparse_direction_NS_24const_host_device_scalarIT0_EES3_PKS3_PKT1_SC_S9_PKT3_PKT4_S7_PT5_21rocsparse_index_base_b
; %bb.0:
	s_mov_b32 s12, s15
	s_clause 0x1
	s_load_b64 s[14:15], s[2:3], 0x70
	s_load_b128 s[4:7], s[2:3], 0x10
	s_load_b64 s[16:17], s[0:1], 0x4
	s_mov_b64 s[0:1], src_shared_base
	v_and_b32_e32 v16, 0x3ff, v0
	s_load_b128 s[8:11], s[2:3], 0x58
	v_bfe_u32 v2, v0, 10, 10
	v_bfe_u32 v0, v0, 20, 10
	s_waitcnt lgkmcnt(0)
	s_bitcmp1_b32 s15, 0
	v_mov_b32_e32 v11, s7
	s_cselect_b32 s0, -1, 0
	v_mov_b32_e32 v10, s6
	s_and_b32 vcc_lo, s0, exec_lo
	s_cselect_b32 s13, s1, s5
	s_lshr_b32 s15, s16, 16
	s_xor_b32 s6, s0, -1
	s_mul_i32 s15, s15, s17
	v_mov_b32_e32 v5, s13
	v_mul_lo_u32 v1, s15, v16
	s_delay_alu instid0(VALU_DEP_1) | instskip(SKIP_1) | instid1(VALU_DEP_2)
	v_mad_u32_u24 v1, v2, s17, v1
	v_dual_mov_b32 v2, s8 :: v_dual_mov_b32 v3, s9
	v_add_lshl_u32 v6, v1, v0, 3
	v_dual_mov_b32 v0, s4 :: v_dual_mov_b32 v1, s5
	ds_store_b64 v6, v[0:1] offset:15000
	ds_store_b64 v6, v[2:3] offset:10000
	v_add_nc_u32_e32 v4, 0x3a98, v6
	v_add_nc_u32_e32 v0, 0x2710, v6
	s_delay_alu instid0(VALU_DEP_2)
	v_cndmask_b32_e64 v4, s4, v4, s0
	flat_load_b64 v[8:9], v[4:5]
	s_cbranch_vccnz .LBB184_2
; %bb.1:
	v_dual_mov_b32 v1, s4 :: v_dual_mov_b32 v2, s5
	flat_load_b64 v[10:11], v[1:2] offset:8
.LBB184_2:
	s_and_b32 s4, s0, exec_lo
	s_cselect_b32 s1, s1, s9
	v_cndmask_b32_e64 v0, s8, v0, s0
	v_dual_mov_b32 v1, s1 :: v_dual_mov_b32 v6, s10
	v_mov_b32_e32 v7, s11
	s_and_not1_b32 vcc_lo, exec_lo, s6
	flat_load_b64 v[4:5], v[0:1]
	s_cbranch_vccnz .LBB184_4
; %bb.3:
	v_dual_mov_b32 v0, s8 :: v_dual_mov_b32 v1, s9
	flat_load_b64 v[6:7], v[0:1] offset:8
.LBB184_4:
	s_waitcnt vmcnt(1) lgkmcnt(1)
	v_cmp_eq_f64_e32 vcc_lo, 0, v[8:9]
	v_cmp_eq_f64_e64 s0, 0, v[10:11]
	s_delay_alu instid0(VALU_DEP_1)
	s_and_b32 s4, vcc_lo, s0
	s_mov_b32 s0, -1
	s_and_saveexec_b32 s1, s4
	s_cbranch_execz .LBB184_6
; %bb.5:
	s_waitcnt vmcnt(0) lgkmcnt(0)
	v_cmp_neq_f64_e32 vcc_lo, 1.0, v[4:5]
	v_cmp_neq_f64_e64 s0, 0, v[6:7]
	s_delay_alu instid0(VALU_DEP_1) | instskip(NEXT) | instid1(SALU_CYCLE_1)
	s_or_b32 s0, vcc_lo, s0
	s_or_not1_b32 s0, s0, exec_lo
.LBB184_6:
	s_or_b32 exec_lo, exec_lo, s1
	s_and_saveexec_b32 s1, s0
	s_cbranch_execz .LBB184_43
; %bb.7:
	s_clause 0x1
	s_load_b128 s[4:7], s[2:3], 0x28
	s_load_b64 s[8:9], s[2:3], 0x38
	s_mov_b32 s13, 0
	s_delay_alu instid0(SALU_CYCLE_1)
	s_mov_b32 s15, s13
	s_waitcnt lgkmcnt(0)
	s_cmp_eq_u64 s[4:5], 0
	s_cbranch_scc1 .LBB184_9
; %bb.8:
	s_lshl_b64 s[0:1], s[12:13], 3
	s_delay_alu instid0(SALU_CYCLE_1)
	s_add_u32 s0, s4, s0
	s_addc_u32 s1, s5, s1
	s_load_b64 s[0:1], s[0:1], 0x0
	s_waitcnt lgkmcnt(0)
	s_sub_u32 s12, s0, s14
	s_subb_u32 s13, s1, 0
.LBB184_9:
	s_load_b32 s1, s[2:3], 0x8
	v_mul_u32_u24_e32 v0, 0xa3e, v16
	v_dual_mov_b32 v2, 0 :: v_dual_lshlrev_b32 v17, 4, v16
	v_mov_b32_e32 v3, 0
	s_delay_alu instid0(VALU_DEP_3) | instskip(NEXT) | instid1(VALU_DEP_1)
	v_lshrrev_b32_e32 v12, 16, v0
	v_mul_lo_u16 v0, v12, 25
	s_delay_alu instid0(VALU_DEP_1) | instskip(NEXT) | instid1(VALU_DEP_4)
	v_sub_nc_u16 v18, v16, v0
	v_dual_mov_b32 v0, v2 :: v_dual_mov_b32 v1, v3
	s_waitcnt lgkmcnt(0)
	s_cmp_eq_u32 s1, 1
	s_cselect_b32 s0, -1, 0
	s_cmp_lg_u32 s1, 1
	s_cselect_b32 s18, -1, 0
	s_lshl_b64 s[4:5], s[12:13], 3
	s_delay_alu instid0(SALU_CYCLE_1)
	s_add_u32 s6, s6, s4
	s_addc_u32 s7, s7, s5
	s_add_u32 s1, s6, 8
	s_addc_u32 s10, s7, 0
	;; [unrolled: 2-line block ×3, first 2 shown]
	s_cmp_eq_u64 s[8:9], 0
	s_load_b64 s[8:9], s[2:3], 0x68
	s_cselect_b32 s5, s10, s5
	s_cselect_b32 s4, s1, s4
	s_load_b64 s[10:11], s[6:7], 0x0
	s_load_b64 s[16:17], s[4:5], 0x0
	s_waitcnt lgkmcnt(0)
	v_cmp_ge_i64_e64 s1, s[10:11], s[16:17]
	s_delay_alu instid0(VALU_DEP_1)
	s_and_b32 vcc_lo, exec_lo, s1
	s_cbranch_vccnz .LBB184_14
; %bb.10:
	s_clause 0x1
	s_load_b64 s[20:21], s[2:3], 0x50
	s_load_b128 s[4:7], s[2:3], 0x40
	v_and_b32_e32 v0, 0xffff, v18
	v_dual_mov_b32 v2, 0 :: v_dual_and_b32 v1, 0xffff, v12
	v_mov_b32_e32 v3, 0
	s_sub_u32 s2, s16, s14
	s_subb_u32 s3, s17, 0
	s_delay_alu instid0(VALU_DEP_2)
	v_cndmask_b32_e64 v0, v0, v1, s0
	s_sub_u32 s0, s10, s14
	s_subb_u32 s1, s11, 0
	s_mul_hi_u32 s16, s0, 0x2710
	s_mul_i32 s17, s1, 0x2710
	v_lshlrev_b32_e32 v0, 4, v0
	s_mul_i32 s19, s0, 0x2710
	s_add_i32 s16, s16, s17
	s_waitcnt lgkmcnt(0)
	s_delay_alu instid0(VALU_DEP_1) | instskip(NEXT) | instid1(VALU_DEP_1)
	v_add_co_u32 v12, s17, s20, v0
	v_add_co_ci_u32_e64 v13, null, s21, 0, s17
	s_add_u32 s17, s6, s19
	s_addc_u32 s16, s7, s16
	s_lshl_b64 s[6:7], s[10:11], 3
	s_lshl_b64 s[10:11], s[14:15], 3
	v_add_co_u32 v14, s15, s17, v17
	v_dual_mov_b32 v0, v2 :: v_dual_mov_b32 v1, v3
	v_add_co_ci_u32_e64 v15, null, s16, 0, s15
	s_sub_u32 s6, s6, s10
	s_subb_u32 s7, s7, s11
	s_add_u32 s4, s4, s6
	s_addc_u32 s5, s5, s7
	s_set_inst_prefetch_distance 0x1
	s_branch .LBB184_12
	.p2align	6
.LBB184_11:                             ;   in Loop: Header=BB184_12 Depth=1
	s_add_u32 s0, s0, 1
	s_addc_u32 s1, s1, 0
	s_add_u32 s4, s4, 8
	v_cmp_lt_i64_e64 s6, s[0:1], s[2:3]
	s_addc_u32 s5, s5, 0
	s_delay_alu instid0(VALU_DEP_1)
	s_and_b32 vcc_lo, exec_lo, s6
	s_cbranch_vccz .LBB184_14
.LBB184_12:                             ; =>This Inner Loop Header: Depth=1
	v_cmp_ge_i64_e64 s6, s[0:1], s[2:3]
	s_delay_alu instid0(VALU_DEP_1)
	s_and_b32 vcc_lo, exec_lo, s6
	s_cbranch_vccnz .LBB184_11
; %bb.13:                               ;   in Loop: Header=BB184_12 Depth=1
	s_load_b64 s[6:7], s[4:5], 0x0
	s_waitcnt lgkmcnt(0)
	s_sub_u32 s6, s6, s14
	s_delay_alu instid0(SALU_CYCLE_1) | instskip(SKIP_1) | instid1(VALU_DEP_1)
	v_mad_u64_u32 v[23:24], null, 0x190, s6, v[12:13]
	s_subb_u32 s6, s7, 0
	v_mov_b32_e32 v19, v24
	s_delay_alu instid0(VALU_DEP_1) | instskip(NEXT) | instid1(VALU_DEP_1)
	v_mad_u64_u32 v[20:21], null, 0x190, s6, v[19:20]
	v_mov_b32_e32 v24, v20
	global_load_b128 v[19:22], v[14:15], off
	global_load_b128 v[23:26], v[23:24], off
	v_add_co_u32 v14, vcc_lo, 0x2710, v14
	v_add_co_ci_u32_e32 v15, vcc_lo, 0, v15, vcc_lo
	s_waitcnt vmcnt(0)
	v_fma_f64 v[0:1], v[19:20], v[23:24], v[0:1]
	v_fma_f64 v[2:3], v[21:22], v[23:24], v[2:3]
	s_delay_alu instid0(VALU_DEP_2) | instskip(NEXT) | instid1(VALU_DEP_2)
	v_fma_f64 v[0:1], -v[21:22], v[25:26], v[0:1]
	v_fma_f64 v[2:3], v[19:20], v[25:26], v[2:3]
	s_branch .LBB184_11
.LBB184_14:
	s_set_inst_prefetch_distance 0x2
	s_and_b32 vcc_lo, exec_lo, s18
	ds_store_b128 v17, v[0:3]
	s_waitcnt vmcnt(0) lgkmcnt(0)
	s_barrier
	buffer_gl0_inv
	s_cbranch_vccz .LBB184_26
; %bb.15:
	s_mov_b32 s0, exec_lo
	v_cmpx_gt_u16_e32 9, v18
	s_cbranch_execz .LBB184_17
; %bb.16:
	ds_load_b128 v[12:15], v17 offset:256
	ds_load_b128 v[19:22], v17
	s_waitcnt lgkmcnt(0)
	v_add_f64 v[12:13], v[12:13], v[19:20]
	v_add_f64 v[14:15], v[14:15], v[21:22]
	ds_store_b128 v17, v[12:15]
.LBB184_17:
	s_or_b32 exec_lo, exec_lo, s0
	s_delay_alu instid0(SALU_CYCLE_1)
	s_mov_b32 s0, exec_lo
	s_waitcnt lgkmcnt(0)
	s_barrier
	buffer_gl0_inv
	v_cmpx_gt_u16_e32 8, v18
	s_cbranch_execz .LBB184_19
; %bb.18:
	ds_load_b128 v[12:15], v17 offset:128
	ds_load_b128 v[19:22], v17
	s_waitcnt lgkmcnt(0)
	v_add_f64 v[12:13], v[12:13], v[19:20]
	v_add_f64 v[14:15], v[14:15], v[21:22]
	ds_store_b128 v17, v[12:15]
.LBB184_19:
	s_or_b32 exec_lo, exec_lo, s0
	s_delay_alu instid0(SALU_CYCLE_1)
	s_mov_b32 s0, exec_lo
	s_waitcnt lgkmcnt(0)
	s_barrier
	buffer_gl0_inv
	;; [unrolled: 16-line block ×3, first 2 shown]
	v_cmpx_gt_u16_e32 2, v18
	s_cbranch_execz .LBB184_23
; %bb.22:
	ds_load_b128 v[12:15], v17
	ds_load_b128 v[18:21], v17 offset:32
	s_waitcnt lgkmcnt(0)
	v_add_f64 v[12:13], v[18:19], v[12:13]
	v_add_f64 v[14:15], v[20:21], v[14:15]
	ds_store_b128 v17, v[12:15]
.LBB184_23:
	s_or_b32 exec_lo, exec_lo, s0
	v_dual_mov_b32 v15, v3 :: v_dual_mov_b32 v14, v2
	v_dual_mov_b32 v13, v1 :: v_dual_mov_b32 v12, v0
	s_mov_b32 s0, exec_lo
	s_waitcnt lgkmcnt(0)
	s_barrier
	buffer_gl0_inv
	v_cmpx_gt_u32_e32 25, v16
	s_cbranch_execz .LBB184_25
; %bb.24:
	v_mul_u32_u24_e32 v12, 25, v16
	s_delay_alu instid0(VALU_DEP_1)
	v_lshlrev_b32_e32 v18, 4, v12
	ds_load_b128 v[12:15], v18
	ds_load_b128 v[18:21], v18 offset:16
	s_waitcnt lgkmcnt(0)
	v_add_f64 v[12:13], v[18:19], v[12:13]
	v_add_f64 v[14:15], v[20:21], v[14:15]
.LBB184_25:
	s_or_b32 exec_lo, exec_lo, s0
	s_branch .LBB184_38
.LBB184_26:
                                        ; implicit-def: $vgpr14_vgpr15
                                        ; implicit-def: $vgpr12_vgpr13
	s_cbranch_execz .LBB184_38
; %bb.27:
	s_mov_b32 s0, exec_lo
	v_cmpx_gt_u32_e32 0xe1, v16
	s_cbranch_execz .LBB184_29
; %bb.28:
	ds_load_b128 v[12:15], v17 offset:6400
	ds_load_b128 v[18:21], v17
	s_waitcnt lgkmcnt(0)
	v_add_f64 v[12:13], v[12:13], v[18:19]
	v_add_f64 v[14:15], v[14:15], v[20:21]
	ds_store_b128 v17, v[12:15]
.LBB184_29:
	s_or_b32 exec_lo, exec_lo, s0
	s_delay_alu instid0(SALU_CYCLE_1)
	s_mov_b32 s0, exec_lo
	s_waitcnt lgkmcnt(0)
	s_barrier
	buffer_gl0_inv
	v_cmpx_gt_u32_e32 0xc8, v16
	s_cbranch_execz .LBB184_31
; %bb.30:
	ds_load_b128 v[12:15], v17 offset:3200
	ds_load_b128 v[18:21], v17
	s_waitcnt lgkmcnt(0)
	v_add_f64 v[12:13], v[12:13], v[18:19]
	v_add_f64 v[14:15], v[14:15], v[20:21]
	ds_store_b128 v17, v[12:15]
.LBB184_31:
	s_or_b32 exec_lo, exec_lo, s0
	s_delay_alu instid0(SALU_CYCLE_1)
	s_mov_b32 s0, exec_lo
	s_waitcnt lgkmcnt(0)
	s_barrier
	buffer_gl0_inv
	;; [unrolled: 16-line block ×3, first 2 shown]
	v_cmpx_gt_u32_e32 50, v16
	s_cbranch_execz .LBB184_35
; %bb.34:
	ds_load_b128 v[12:15], v17 offset:800
	ds_load_b128 v[18:21], v17
	s_waitcnt lgkmcnt(0)
	v_add_f64 v[12:13], v[12:13], v[18:19]
	v_add_f64 v[14:15], v[14:15], v[20:21]
	ds_store_b128 v17, v[12:15]
.LBB184_35:
	s_or_b32 exec_lo, exec_lo, s0
	s_delay_alu instid0(SALU_CYCLE_1)
	s_mov_b32 s0, exec_lo
	s_waitcnt lgkmcnt(0)
	buffer_gl0_inv
	v_cmpx_gt_u32_e32 25, v16
	s_cbranch_execz .LBB184_37
; %bb.36:
	ds_load_b128 v[0:3], v17 offset:400
	ds_load_b128 v[12:15], v17
	s_waitcnt lgkmcnt(0)
	v_add_f64 v[0:1], v[0:1], v[12:13]
	v_add_f64 v[2:3], v[2:3], v[14:15]
.LBB184_37:
	s_or_b32 exec_lo, exec_lo, s0
	s_delay_alu instid0(VALU_DEP_1) | instskip(NEXT) | instid1(VALU_DEP_3)
	v_dual_mov_b32 v15, v3 :: v_dual_mov_b32 v14, v2
	v_dual_mov_b32 v13, v1 :: v_dual_mov_b32 v12, v0
.LBB184_38:
	v_cmp_gt_u32_e32 vcc_lo, 25, v16
	s_and_b32 exec_lo, exec_lo, vcc_lo
	s_cbranch_execz .LBB184_43
; %bb.39:
	s_delay_alu instid0(VALU_DEP_2)
	v_mul_f64 v[0:1], v[14:15], -v[10:11]
	v_mul_f64 v[2:3], v[8:9], v[14:15]
	v_cmp_eq_f64_e32 vcc_lo, 0, v[4:5]
	v_cmp_eq_f64_e64 s0, 0, v[6:7]
	s_mul_hi_u32 s1, s12, 0x190
	s_mul_i32 s2, s12, 0x190
	s_delay_alu instid0(VALU_DEP_4) | instskip(NEXT) | instid1(VALU_DEP_4)
	v_fma_f64 v[0:1], v[8:9], v[12:13], v[0:1]
	v_fma_f64 v[2:3], v[10:11], v[12:13], v[2:3]
	s_delay_alu instid0(VALU_DEP_3) | instskip(SKIP_2) | instid1(SALU_CYCLE_1)
	s_and_b32 s3, vcc_lo, s0
	s_mul_i32 s0, s13, 0x190
	s_and_saveexec_b32 s4, s3
	s_xor_b32 s3, exec_lo, s4
	s_cbranch_execz .LBB184_41
; %bb.40:
	s_add_i32 s5, s1, s0
	s_add_u32 s4, s8, s2
	s_addc_u32 s5, s9, s5
                                        ; implicit-def: $vgpr4_vgpr5
                                        ; implicit-def: $vgpr6_vgpr7
	global_store_b128 v17, v[0:3], s[4:5]
                                        ; implicit-def: $vgpr17
                                        ; implicit-def: $vgpr0_vgpr1
.LBB184_41:
	s_and_not1_saveexec_b32 s3, s3
	s_cbranch_execz .LBB184_43
; %bb.42:
	s_add_i32 s1, s1, s0
	s_add_u32 s0, s8, s2
	s_addc_u32 s1, s9, s1
	global_load_b128 v[8:11], v17, s[0:1]
	s_waitcnt vmcnt(0)
	v_fma_f64 v[0:1], v[4:5], v[8:9], v[0:1]
	v_fma_f64 v[2:3], v[6:7], v[8:9], v[2:3]
	s_delay_alu instid0(VALU_DEP_2) | instskip(NEXT) | instid1(VALU_DEP_2)
	v_fma_f64 v[0:1], -v[6:7], v[10:11], v[0:1]
	v_fma_f64 v[2:3], v[4:5], v[10:11], v[2:3]
	global_store_b128 v17, v[0:3], s[0:1]
.LBB184_43:
	s_nop 0
	s_sendmsg sendmsg(MSG_DEALLOC_VGPRS)
	s_endpgm
	.section	.rodata,"a",@progbits
	.p2align	6, 0x0
	.amdhsa_kernel _ZN9rocsparseL20bsrxmvn_17_32_kernelILj25E21rocsparse_complex_numIdEllS2_S2_S2_EEvT2_20rocsparse_direction_NS_24const_host_device_scalarIT0_EES3_PKS3_PKT1_SC_S9_PKT3_PKT4_S7_PT5_21rocsparse_index_base_b
		.amdhsa_group_segment_fixed_size 20000
		.amdhsa_private_segment_fixed_size 0
		.amdhsa_kernarg_size 120
		.amdhsa_user_sgpr_count 15
		.amdhsa_user_sgpr_dispatch_ptr 1
		.amdhsa_user_sgpr_queue_ptr 0
		.amdhsa_user_sgpr_kernarg_segment_ptr 1
		.amdhsa_user_sgpr_dispatch_id 0
		.amdhsa_user_sgpr_private_segment_size 0
		.amdhsa_wavefront_size32 1
		.amdhsa_uses_dynamic_stack 0
		.amdhsa_enable_private_segment 0
		.amdhsa_system_sgpr_workgroup_id_x 1
		.amdhsa_system_sgpr_workgroup_id_y 0
		.amdhsa_system_sgpr_workgroup_id_z 0
		.amdhsa_system_sgpr_workgroup_info 0
		.amdhsa_system_vgpr_workitem_id 2
		.amdhsa_next_free_vgpr 27
		.amdhsa_next_free_sgpr 22
		.amdhsa_reserve_vcc 1
		.amdhsa_float_round_mode_32 0
		.amdhsa_float_round_mode_16_64 0
		.amdhsa_float_denorm_mode_32 3
		.amdhsa_float_denorm_mode_16_64 3
		.amdhsa_dx10_clamp 1
		.amdhsa_ieee_mode 1
		.amdhsa_fp16_overflow 0
		.amdhsa_workgroup_processor_mode 1
		.amdhsa_memory_ordered 1
		.amdhsa_forward_progress 0
		.amdhsa_shared_vgpr_count 0
		.amdhsa_exception_fp_ieee_invalid_op 0
		.amdhsa_exception_fp_denorm_src 0
		.amdhsa_exception_fp_ieee_div_zero 0
		.amdhsa_exception_fp_ieee_overflow 0
		.amdhsa_exception_fp_ieee_underflow 0
		.amdhsa_exception_fp_ieee_inexact 0
		.amdhsa_exception_int_div_zero 0
	.end_amdhsa_kernel
	.section	.text._ZN9rocsparseL20bsrxmvn_17_32_kernelILj25E21rocsparse_complex_numIdEllS2_S2_S2_EEvT2_20rocsparse_direction_NS_24const_host_device_scalarIT0_EES3_PKS3_PKT1_SC_S9_PKT3_PKT4_S7_PT5_21rocsparse_index_base_b,"axG",@progbits,_ZN9rocsparseL20bsrxmvn_17_32_kernelILj25E21rocsparse_complex_numIdEllS2_S2_S2_EEvT2_20rocsparse_direction_NS_24const_host_device_scalarIT0_EES3_PKS3_PKT1_SC_S9_PKT3_PKT4_S7_PT5_21rocsparse_index_base_b,comdat
.Lfunc_end184:
	.size	_ZN9rocsparseL20bsrxmvn_17_32_kernelILj25E21rocsparse_complex_numIdEllS2_S2_S2_EEvT2_20rocsparse_direction_NS_24const_host_device_scalarIT0_EES3_PKS3_PKT1_SC_S9_PKT3_PKT4_S7_PT5_21rocsparse_index_base_b, .Lfunc_end184-_ZN9rocsparseL20bsrxmvn_17_32_kernelILj25E21rocsparse_complex_numIdEllS2_S2_S2_EEvT2_20rocsparse_direction_NS_24const_host_device_scalarIT0_EES3_PKS3_PKT1_SC_S9_PKT3_PKT4_S7_PT5_21rocsparse_index_base_b
                                        ; -- End function
	.section	.AMDGPU.csdata,"",@progbits
; Kernel info:
; codeLenInByte = 2060
; NumSgprs: 24
; NumVgprs: 27
; ScratchSize: 0
; MemoryBound: 1
; FloatMode: 240
; IeeeMode: 1
; LDSByteSize: 20000 bytes/workgroup (compile time only)
; SGPRBlocks: 2
; VGPRBlocks: 3
; NumSGPRsForWavesPerEU: 24
; NumVGPRsForWavesPerEU: 27
; Occupancy: 15
; WaveLimiterHint : 1
; COMPUTE_PGM_RSRC2:SCRATCH_EN: 0
; COMPUTE_PGM_RSRC2:USER_SGPR: 15
; COMPUTE_PGM_RSRC2:TRAP_HANDLER: 0
; COMPUTE_PGM_RSRC2:TGID_X_EN: 1
; COMPUTE_PGM_RSRC2:TGID_Y_EN: 0
; COMPUTE_PGM_RSRC2:TGID_Z_EN: 0
; COMPUTE_PGM_RSRC2:TIDIG_COMP_CNT: 2
	.section	.text._ZN9rocsparseL20bsrxmvn_17_32_kernelILj26E21rocsparse_complex_numIdEllS2_S2_S2_EEvT2_20rocsparse_direction_NS_24const_host_device_scalarIT0_EES3_PKS3_PKT1_SC_S9_PKT3_PKT4_S7_PT5_21rocsparse_index_base_b,"axG",@progbits,_ZN9rocsparseL20bsrxmvn_17_32_kernelILj26E21rocsparse_complex_numIdEllS2_S2_S2_EEvT2_20rocsparse_direction_NS_24const_host_device_scalarIT0_EES3_PKS3_PKT1_SC_S9_PKT3_PKT4_S7_PT5_21rocsparse_index_base_b,comdat
	.globl	_ZN9rocsparseL20bsrxmvn_17_32_kernelILj26E21rocsparse_complex_numIdEllS2_S2_S2_EEvT2_20rocsparse_direction_NS_24const_host_device_scalarIT0_EES3_PKS3_PKT1_SC_S9_PKT3_PKT4_S7_PT5_21rocsparse_index_base_b ; -- Begin function _ZN9rocsparseL20bsrxmvn_17_32_kernelILj26E21rocsparse_complex_numIdEllS2_S2_S2_EEvT2_20rocsparse_direction_NS_24const_host_device_scalarIT0_EES3_PKS3_PKT1_SC_S9_PKT3_PKT4_S7_PT5_21rocsparse_index_base_b
	.p2align	8
	.type	_ZN9rocsparseL20bsrxmvn_17_32_kernelILj26E21rocsparse_complex_numIdEllS2_S2_S2_EEvT2_20rocsparse_direction_NS_24const_host_device_scalarIT0_EES3_PKS3_PKT1_SC_S9_PKT3_PKT4_S7_PT5_21rocsparse_index_base_b,@function
_ZN9rocsparseL20bsrxmvn_17_32_kernelILj26E21rocsparse_complex_numIdEllS2_S2_S2_EEvT2_20rocsparse_direction_NS_24const_host_device_scalarIT0_EES3_PKS3_PKT1_SC_S9_PKT3_PKT4_S7_PT5_21rocsparse_index_base_b: ; @_ZN9rocsparseL20bsrxmvn_17_32_kernelILj26E21rocsparse_complex_numIdEllS2_S2_S2_EEvT2_20rocsparse_direction_NS_24const_host_device_scalarIT0_EES3_PKS3_PKT1_SC_S9_PKT3_PKT4_S7_PT5_21rocsparse_index_base_b
; %bb.0:
	s_mov_b32 s12, s15
	s_clause 0x1
	s_load_b64 s[14:15], s[2:3], 0x70
	s_load_b128 s[4:7], s[2:3], 0x10
	s_load_b64 s[16:17], s[0:1], 0x4
	s_mov_b64 s[0:1], src_shared_base
	v_and_b32_e32 v16, 0x3ff, v0
	s_load_b128 s[8:11], s[2:3], 0x58
	v_bfe_u32 v2, v0, 10, 10
	v_bfe_u32 v0, v0, 20, 10
	s_waitcnt lgkmcnt(0)
	s_bitcmp1_b32 s15, 0
	v_mov_b32_e32 v11, s7
	s_cselect_b32 s0, -1, 0
	v_mov_b32_e32 v10, s6
	s_and_b32 vcc_lo, s0, exec_lo
	s_cselect_b32 s13, s1, s5
	s_lshr_b32 s15, s16, 16
	s_xor_b32 s6, s0, -1
	s_mul_i32 s15, s15, s17
	v_mov_b32_e32 v5, s13
	v_mul_lo_u32 v1, s15, v16
	s_delay_alu instid0(VALU_DEP_1) | instskip(SKIP_1) | instid1(VALU_DEP_2)
	v_mad_u32_u24 v1, v2, s17, v1
	v_dual_mov_b32 v2, s8 :: v_dual_mov_b32 v3, s9
	v_add_lshl_u32 v6, v1, v0, 3
	v_dual_mov_b32 v0, s4 :: v_dual_mov_b32 v1, s5
	ds_store_b64 v6, v[0:1] offset:16224
	ds_store_b64 v6, v[2:3] offset:10816
	v_add_nc_u32_e32 v4, 0x3f60, v6
	v_add_nc_u32_e32 v0, 0x2a40, v6
	s_delay_alu instid0(VALU_DEP_2)
	v_cndmask_b32_e64 v4, s4, v4, s0
	flat_load_b64 v[8:9], v[4:5]
	s_cbranch_vccnz .LBB185_2
; %bb.1:
	v_dual_mov_b32 v1, s4 :: v_dual_mov_b32 v2, s5
	flat_load_b64 v[10:11], v[1:2] offset:8
.LBB185_2:
	s_and_b32 s4, s0, exec_lo
	s_cselect_b32 s1, s1, s9
	v_cndmask_b32_e64 v0, s8, v0, s0
	v_dual_mov_b32 v1, s1 :: v_dual_mov_b32 v6, s10
	v_mov_b32_e32 v7, s11
	s_and_not1_b32 vcc_lo, exec_lo, s6
	flat_load_b64 v[4:5], v[0:1]
	s_cbranch_vccnz .LBB185_4
; %bb.3:
	v_dual_mov_b32 v0, s8 :: v_dual_mov_b32 v1, s9
	flat_load_b64 v[6:7], v[0:1] offset:8
.LBB185_4:
	s_waitcnt vmcnt(1) lgkmcnt(1)
	v_cmp_eq_f64_e32 vcc_lo, 0, v[8:9]
	v_cmp_eq_f64_e64 s0, 0, v[10:11]
	s_delay_alu instid0(VALU_DEP_1)
	s_and_b32 s4, vcc_lo, s0
	s_mov_b32 s0, -1
	s_and_saveexec_b32 s1, s4
	s_cbranch_execz .LBB185_6
; %bb.5:
	s_waitcnt vmcnt(0) lgkmcnt(0)
	v_cmp_neq_f64_e32 vcc_lo, 1.0, v[4:5]
	v_cmp_neq_f64_e64 s0, 0, v[6:7]
	s_delay_alu instid0(VALU_DEP_1) | instskip(NEXT) | instid1(SALU_CYCLE_1)
	s_or_b32 s0, vcc_lo, s0
	s_or_not1_b32 s0, s0, exec_lo
.LBB185_6:
	s_or_b32 exec_lo, exec_lo, s1
	s_and_saveexec_b32 s1, s0
	s_cbranch_execz .LBB185_43
; %bb.7:
	s_clause 0x1
	s_load_b128 s[4:7], s[2:3], 0x28
	s_load_b64 s[8:9], s[2:3], 0x38
	s_mov_b32 s13, 0
	s_delay_alu instid0(SALU_CYCLE_1)
	s_mov_b32 s15, s13
	s_waitcnt lgkmcnt(0)
	s_cmp_eq_u64 s[4:5], 0
	s_cbranch_scc1 .LBB185_9
; %bb.8:
	s_lshl_b64 s[0:1], s[12:13], 3
	s_delay_alu instid0(SALU_CYCLE_1)
	s_add_u32 s0, s4, s0
	s_addc_u32 s1, s5, s1
	s_load_b64 s[0:1], s[0:1], 0x0
	s_waitcnt lgkmcnt(0)
	s_sub_u32 s12, s0, s14
	s_subb_u32 s13, s1, 0
.LBB185_9:
	s_load_b32 s1, s[2:3], 0x8
	v_mul_u32_u24_e32 v0, 0x9d9, v16
	v_dual_mov_b32 v2, 0 :: v_dual_lshlrev_b32 v17, 4, v16
	v_mov_b32_e32 v3, 0
	s_delay_alu instid0(VALU_DEP_3) | instskip(NEXT) | instid1(VALU_DEP_1)
	v_lshrrev_b32_e32 v12, 16, v0
	v_mul_lo_u16 v0, v12, 26
	s_delay_alu instid0(VALU_DEP_1) | instskip(NEXT) | instid1(VALU_DEP_4)
	v_sub_nc_u16 v18, v16, v0
	v_dual_mov_b32 v0, v2 :: v_dual_mov_b32 v1, v3
	s_waitcnt lgkmcnt(0)
	s_cmp_eq_u32 s1, 1
	s_cselect_b32 s0, -1, 0
	s_cmp_lg_u32 s1, 1
	s_cselect_b32 s18, -1, 0
	s_lshl_b64 s[4:5], s[12:13], 3
	s_delay_alu instid0(SALU_CYCLE_1)
	s_add_u32 s6, s6, s4
	s_addc_u32 s7, s7, s5
	s_add_u32 s1, s6, 8
	s_addc_u32 s10, s7, 0
	;; [unrolled: 2-line block ×3, first 2 shown]
	s_cmp_eq_u64 s[8:9], 0
	s_load_b64 s[8:9], s[2:3], 0x68
	s_cselect_b32 s5, s10, s5
	s_cselect_b32 s4, s1, s4
	s_load_b64 s[10:11], s[6:7], 0x0
	s_load_b64 s[16:17], s[4:5], 0x0
	s_waitcnt lgkmcnt(0)
	v_cmp_ge_i64_e64 s1, s[10:11], s[16:17]
	s_delay_alu instid0(VALU_DEP_1)
	s_and_b32 vcc_lo, exec_lo, s1
	s_cbranch_vccnz .LBB185_14
; %bb.10:
	s_clause 0x1
	s_load_b64 s[20:21], s[2:3], 0x50
	s_load_b128 s[4:7], s[2:3], 0x40
	v_and_b32_e32 v0, 0xffff, v18
	v_dual_mov_b32 v2, 0 :: v_dual_and_b32 v1, 0xffff, v12
	v_mov_b32_e32 v3, 0
	s_sub_u32 s2, s16, s14
	s_subb_u32 s3, s17, 0
	s_delay_alu instid0(VALU_DEP_2)
	v_cndmask_b32_e64 v0, v0, v1, s0
	s_sub_u32 s0, s10, s14
	s_subb_u32 s1, s11, 0
	s_mul_hi_u32 s16, s0, 0x2a40
	s_mul_i32 s17, s1, 0x2a40
	v_lshlrev_b32_e32 v0, 4, v0
	s_mul_i32 s19, s0, 0x2a40
	s_add_i32 s16, s16, s17
	s_waitcnt lgkmcnt(0)
	s_delay_alu instid0(VALU_DEP_1) | instskip(NEXT) | instid1(VALU_DEP_1)
	v_add_co_u32 v12, s17, s20, v0
	v_add_co_ci_u32_e64 v13, null, s21, 0, s17
	s_add_u32 s17, s6, s19
	s_addc_u32 s16, s7, s16
	s_lshl_b64 s[6:7], s[10:11], 3
	s_lshl_b64 s[10:11], s[14:15], 3
	v_add_co_u32 v14, s15, s17, v17
	v_dual_mov_b32 v0, v2 :: v_dual_mov_b32 v1, v3
	v_add_co_ci_u32_e64 v15, null, s16, 0, s15
	s_sub_u32 s6, s6, s10
	s_subb_u32 s7, s7, s11
	s_add_u32 s4, s4, s6
	s_addc_u32 s5, s5, s7
	s_set_inst_prefetch_distance 0x1
	s_branch .LBB185_12
	.p2align	6
.LBB185_11:                             ;   in Loop: Header=BB185_12 Depth=1
	s_add_u32 s0, s0, 1
	s_addc_u32 s1, s1, 0
	s_add_u32 s4, s4, 8
	v_cmp_lt_i64_e64 s6, s[0:1], s[2:3]
	s_addc_u32 s5, s5, 0
	s_delay_alu instid0(VALU_DEP_1)
	s_and_b32 vcc_lo, exec_lo, s6
	s_cbranch_vccz .LBB185_14
.LBB185_12:                             ; =>This Inner Loop Header: Depth=1
	v_cmp_ge_i64_e64 s6, s[0:1], s[2:3]
	s_delay_alu instid0(VALU_DEP_1)
	s_and_b32 vcc_lo, exec_lo, s6
	s_cbranch_vccnz .LBB185_11
; %bb.13:                               ;   in Loop: Header=BB185_12 Depth=1
	s_load_b64 s[6:7], s[4:5], 0x0
	s_waitcnt lgkmcnt(0)
	s_sub_u32 s6, s6, s14
	s_delay_alu instid0(SALU_CYCLE_1) | instskip(SKIP_1) | instid1(VALU_DEP_1)
	v_mad_u64_u32 v[23:24], null, 0x1a0, s6, v[12:13]
	s_subb_u32 s6, s7, 0
	v_mov_b32_e32 v19, v24
	s_delay_alu instid0(VALU_DEP_1) | instskip(NEXT) | instid1(VALU_DEP_1)
	v_mad_u64_u32 v[20:21], null, 0x1a0, s6, v[19:20]
	v_mov_b32_e32 v24, v20
	global_load_b128 v[19:22], v[14:15], off
	global_load_b128 v[23:26], v[23:24], off
	v_add_co_u32 v14, vcc_lo, 0x2a40, v14
	v_add_co_ci_u32_e32 v15, vcc_lo, 0, v15, vcc_lo
	s_waitcnt vmcnt(0)
	v_fma_f64 v[0:1], v[19:20], v[23:24], v[0:1]
	v_fma_f64 v[2:3], v[21:22], v[23:24], v[2:3]
	s_delay_alu instid0(VALU_DEP_2) | instskip(NEXT) | instid1(VALU_DEP_2)
	v_fma_f64 v[0:1], -v[21:22], v[25:26], v[0:1]
	v_fma_f64 v[2:3], v[19:20], v[25:26], v[2:3]
	s_branch .LBB185_11
.LBB185_14:
	s_set_inst_prefetch_distance 0x2
	s_and_b32 vcc_lo, exec_lo, s18
	ds_store_b128 v17, v[0:3]
	s_waitcnt vmcnt(0) lgkmcnt(0)
	s_barrier
	buffer_gl0_inv
	s_cbranch_vccz .LBB185_26
; %bb.15:
	s_mov_b32 s0, exec_lo
	v_cmpx_gt_u16_e32 10, v18
	s_cbranch_execz .LBB185_17
; %bb.16:
	ds_load_b128 v[12:15], v17 offset:256
	ds_load_b128 v[19:22], v17
	s_waitcnt lgkmcnt(0)
	v_add_f64 v[12:13], v[12:13], v[19:20]
	v_add_f64 v[14:15], v[14:15], v[21:22]
	ds_store_b128 v17, v[12:15]
.LBB185_17:
	s_or_b32 exec_lo, exec_lo, s0
	s_delay_alu instid0(SALU_CYCLE_1)
	s_mov_b32 s0, exec_lo
	s_waitcnt lgkmcnt(0)
	s_barrier
	buffer_gl0_inv
	v_cmpx_gt_u16_e32 8, v18
	s_cbranch_execz .LBB185_19
; %bb.18:
	ds_load_b128 v[12:15], v17 offset:128
	ds_load_b128 v[19:22], v17
	s_waitcnt lgkmcnt(0)
	v_add_f64 v[12:13], v[12:13], v[19:20]
	v_add_f64 v[14:15], v[14:15], v[21:22]
	ds_store_b128 v17, v[12:15]
.LBB185_19:
	s_or_b32 exec_lo, exec_lo, s0
	s_delay_alu instid0(SALU_CYCLE_1)
	s_mov_b32 s0, exec_lo
	s_waitcnt lgkmcnt(0)
	s_barrier
	buffer_gl0_inv
	;; [unrolled: 16-line block ×3, first 2 shown]
	v_cmpx_gt_u16_e32 2, v18
	s_cbranch_execz .LBB185_23
; %bb.22:
	ds_load_b128 v[12:15], v17
	ds_load_b128 v[18:21], v17 offset:32
	s_waitcnt lgkmcnt(0)
	v_add_f64 v[12:13], v[18:19], v[12:13]
	v_add_f64 v[14:15], v[20:21], v[14:15]
	ds_store_b128 v17, v[12:15]
.LBB185_23:
	s_or_b32 exec_lo, exec_lo, s0
	v_dual_mov_b32 v15, v3 :: v_dual_mov_b32 v14, v2
	v_dual_mov_b32 v13, v1 :: v_dual_mov_b32 v12, v0
	s_mov_b32 s0, exec_lo
	s_waitcnt lgkmcnt(0)
	s_barrier
	buffer_gl0_inv
	v_cmpx_gt_u32_e32 26, v16
	s_cbranch_execz .LBB185_25
; %bb.24:
	v_mul_u32_u24_e32 v12, 26, v16
	s_delay_alu instid0(VALU_DEP_1)
	v_lshlrev_b32_e32 v18, 4, v12
	ds_load_b128 v[12:15], v18
	ds_load_b128 v[18:21], v18 offset:16
	s_waitcnt lgkmcnt(0)
	v_add_f64 v[12:13], v[18:19], v[12:13]
	v_add_f64 v[14:15], v[20:21], v[14:15]
.LBB185_25:
	s_or_b32 exec_lo, exec_lo, s0
	s_branch .LBB185_38
.LBB185_26:
                                        ; implicit-def: $vgpr14_vgpr15
                                        ; implicit-def: $vgpr12_vgpr13
	s_cbranch_execz .LBB185_38
; %bb.27:
	s_mov_b32 s0, exec_lo
	v_cmpx_gt_u32_e32 0x104, v16
	s_cbranch_execz .LBB185_29
; %bb.28:
	ds_load_b128 v[12:15], v17 offset:6656
	ds_load_b128 v[18:21], v17
	s_waitcnt lgkmcnt(0)
	v_add_f64 v[12:13], v[12:13], v[18:19]
	v_add_f64 v[14:15], v[14:15], v[20:21]
	ds_store_b128 v17, v[12:15]
.LBB185_29:
	s_or_b32 exec_lo, exec_lo, s0
	s_delay_alu instid0(SALU_CYCLE_1)
	s_mov_b32 s0, exec_lo
	s_waitcnt lgkmcnt(0)
	s_barrier
	buffer_gl0_inv
	v_cmpx_gt_u32_e32 0xd0, v16
	s_cbranch_execz .LBB185_31
; %bb.30:
	ds_load_b128 v[12:15], v17 offset:3328
	ds_load_b128 v[18:21], v17
	s_waitcnt lgkmcnt(0)
	v_add_f64 v[12:13], v[12:13], v[18:19]
	v_add_f64 v[14:15], v[14:15], v[20:21]
	ds_store_b128 v17, v[12:15]
.LBB185_31:
	s_or_b32 exec_lo, exec_lo, s0
	s_delay_alu instid0(SALU_CYCLE_1)
	s_mov_b32 s0, exec_lo
	s_waitcnt lgkmcnt(0)
	s_barrier
	buffer_gl0_inv
	;; [unrolled: 16-line block ×3, first 2 shown]
	v_cmpx_gt_u32_e32 52, v16
	s_cbranch_execz .LBB185_35
; %bb.34:
	ds_load_b128 v[12:15], v17 offset:832
	ds_load_b128 v[18:21], v17
	s_waitcnt lgkmcnt(0)
	v_add_f64 v[12:13], v[12:13], v[18:19]
	v_add_f64 v[14:15], v[14:15], v[20:21]
	ds_store_b128 v17, v[12:15]
.LBB185_35:
	s_or_b32 exec_lo, exec_lo, s0
	s_delay_alu instid0(SALU_CYCLE_1)
	s_mov_b32 s0, exec_lo
	s_waitcnt lgkmcnt(0)
	buffer_gl0_inv
	v_cmpx_gt_u32_e32 26, v16
	s_cbranch_execz .LBB185_37
; %bb.36:
	ds_load_b128 v[0:3], v17 offset:416
	ds_load_b128 v[12:15], v17
	s_waitcnt lgkmcnt(0)
	v_add_f64 v[0:1], v[0:1], v[12:13]
	v_add_f64 v[2:3], v[2:3], v[14:15]
.LBB185_37:
	s_or_b32 exec_lo, exec_lo, s0
	s_delay_alu instid0(VALU_DEP_1) | instskip(NEXT) | instid1(VALU_DEP_3)
	v_dual_mov_b32 v15, v3 :: v_dual_mov_b32 v14, v2
	v_dual_mov_b32 v13, v1 :: v_dual_mov_b32 v12, v0
.LBB185_38:
	v_cmp_gt_u32_e32 vcc_lo, 26, v16
	s_and_b32 exec_lo, exec_lo, vcc_lo
	s_cbranch_execz .LBB185_43
; %bb.39:
	s_delay_alu instid0(VALU_DEP_2)
	v_mul_f64 v[0:1], v[14:15], -v[10:11]
	v_mul_f64 v[2:3], v[8:9], v[14:15]
	v_cmp_eq_f64_e32 vcc_lo, 0, v[4:5]
	v_cmp_eq_f64_e64 s0, 0, v[6:7]
	s_mul_hi_u32 s1, s12, 0x1a0
	s_mul_i32 s2, s12, 0x1a0
	s_delay_alu instid0(VALU_DEP_4) | instskip(NEXT) | instid1(VALU_DEP_4)
	v_fma_f64 v[0:1], v[8:9], v[12:13], v[0:1]
	v_fma_f64 v[2:3], v[10:11], v[12:13], v[2:3]
	s_delay_alu instid0(VALU_DEP_3) | instskip(SKIP_2) | instid1(SALU_CYCLE_1)
	s_and_b32 s3, vcc_lo, s0
	s_mul_i32 s0, s13, 0x1a0
	s_and_saveexec_b32 s4, s3
	s_xor_b32 s3, exec_lo, s4
	s_cbranch_execz .LBB185_41
; %bb.40:
	s_add_i32 s5, s1, s0
	s_add_u32 s4, s8, s2
	s_addc_u32 s5, s9, s5
                                        ; implicit-def: $vgpr4_vgpr5
                                        ; implicit-def: $vgpr6_vgpr7
	global_store_b128 v17, v[0:3], s[4:5]
                                        ; implicit-def: $vgpr17
                                        ; implicit-def: $vgpr0_vgpr1
.LBB185_41:
	s_and_not1_saveexec_b32 s3, s3
	s_cbranch_execz .LBB185_43
; %bb.42:
	s_add_i32 s1, s1, s0
	s_add_u32 s0, s8, s2
	s_addc_u32 s1, s9, s1
	global_load_b128 v[8:11], v17, s[0:1]
	s_waitcnt vmcnt(0)
	v_fma_f64 v[0:1], v[4:5], v[8:9], v[0:1]
	v_fma_f64 v[2:3], v[6:7], v[8:9], v[2:3]
	s_delay_alu instid0(VALU_DEP_2) | instskip(NEXT) | instid1(VALU_DEP_2)
	v_fma_f64 v[0:1], -v[6:7], v[10:11], v[0:1]
	v_fma_f64 v[2:3], v[4:5], v[10:11], v[2:3]
	global_store_b128 v17, v[0:3], s[0:1]
.LBB185_43:
	s_nop 0
	s_sendmsg sendmsg(MSG_DEALLOC_VGPRS)
	s_endpgm
	.section	.rodata,"a",@progbits
	.p2align	6, 0x0
	.amdhsa_kernel _ZN9rocsparseL20bsrxmvn_17_32_kernelILj26E21rocsparse_complex_numIdEllS2_S2_S2_EEvT2_20rocsparse_direction_NS_24const_host_device_scalarIT0_EES3_PKS3_PKT1_SC_S9_PKT3_PKT4_S7_PT5_21rocsparse_index_base_b
		.amdhsa_group_segment_fixed_size 21632
		.amdhsa_private_segment_fixed_size 0
		.amdhsa_kernarg_size 120
		.amdhsa_user_sgpr_count 15
		.amdhsa_user_sgpr_dispatch_ptr 1
		.amdhsa_user_sgpr_queue_ptr 0
		.amdhsa_user_sgpr_kernarg_segment_ptr 1
		.amdhsa_user_sgpr_dispatch_id 0
		.amdhsa_user_sgpr_private_segment_size 0
		.amdhsa_wavefront_size32 1
		.amdhsa_uses_dynamic_stack 0
		.amdhsa_enable_private_segment 0
		.amdhsa_system_sgpr_workgroup_id_x 1
		.amdhsa_system_sgpr_workgroup_id_y 0
		.amdhsa_system_sgpr_workgroup_id_z 0
		.amdhsa_system_sgpr_workgroup_info 0
		.amdhsa_system_vgpr_workitem_id 2
		.amdhsa_next_free_vgpr 27
		.amdhsa_next_free_sgpr 22
		.amdhsa_reserve_vcc 1
		.amdhsa_float_round_mode_32 0
		.amdhsa_float_round_mode_16_64 0
		.amdhsa_float_denorm_mode_32 3
		.amdhsa_float_denorm_mode_16_64 3
		.amdhsa_dx10_clamp 1
		.amdhsa_ieee_mode 1
		.amdhsa_fp16_overflow 0
		.amdhsa_workgroup_processor_mode 1
		.amdhsa_memory_ordered 1
		.amdhsa_forward_progress 0
		.amdhsa_shared_vgpr_count 0
		.amdhsa_exception_fp_ieee_invalid_op 0
		.amdhsa_exception_fp_denorm_src 0
		.amdhsa_exception_fp_ieee_div_zero 0
		.amdhsa_exception_fp_ieee_overflow 0
		.amdhsa_exception_fp_ieee_underflow 0
		.amdhsa_exception_fp_ieee_inexact 0
		.amdhsa_exception_int_div_zero 0
	.end_amdhsa_kernel
	.section	.text._ZN9rocsparseL20bsrxmvn_17_32_kernelILj26E21rocsparse_complex_numIdEllS2_S2_S2_EEvT2_20rocsparse_direction_NS_24const_host_device_scalarIT0_EES3_PKS3_PKT1_SC_S9_PKT3_PKT4_S7_PT5_21rocsparse_index_base_b,"axG",@progbits,_ZN9rocsparseL20bsrxmvn_17_32_kernelILj26E21rocsparse_complex_numIdEllS2_S2_S2_EEvT2_20rocsparse_direction_NS_24const_host_device_scalarIT0_EES3_PKS3_PKT1_SC_S9_PKT3_PKT4_S7_PT5_21rocsparse_index_base_b,comdat
.Lfunc_end185:
	.size	_ZN9rocsparseL20bsrxmvn_17_32_kernelILj26E21rocsparse_complex_numIdEllS2_S2_S2_EEvT2_20rocsparse_direction_NS_24const_host_device_scalarIT0_EES3_PKS3_PKT1_SC_S9_PKT3_PKT4_S7_PT5_21rocsparse_index_base_b, .Lfunc_end185-_ZN9rocsparseL20bsrxmvn_17_32_kernelILj26E21rocsparse_complex_numIdEllS2_S2_S2_EEvT2_20rocsparse_direction_NS_24const_host_device_scalarIT0_EES3_PKS3_PKT1_SC_S9_PKT3_PKT4_S7_PT5_21rocsparse_index_base_b
                                        ; -- End function
	.section	.AMDGPU.csdata,"",@progbits
; Kernel info:
; codeLenInByte = 2060
; NumSgprs: 24
; NumVgprs: 27
; ScratchSize: 0
; MemoryBound: 1
; FloatMode: 240
; IeeeMode: 1
; LDSByteSize: 21632 bytes/workgroup (compile time only)
; SGPRBlocks: 2
; VGPRBlocks: 3
; NumSGPRsForWavesPerEU: 24
; NumVGPRsForWavesPerEU: 27
; Occupancy: 11
; WaveLimiterHint : 1
; COMPUTE_PGM_RSRC2:SCRATCH_EN: 0
; COMPUTE_PGM_RSRC2:USER_SGPR: 15
; COMPUTE_PGM_RSRC2:TRAP_HANDLER: 0
; COMPUTE_PGM_RSRC2:TGID_X_EN: 1
; COMPUTE_PGM_RSRC2:TGID_Y_EN: 0
; COMPUTE_PGM_RSRC2:TGID_Z_EN: 0
; COMPUTE_PGM_RSRC2:TIDIG_COMP_CNT: 2
	.section	.text._ZN9rocsparseL20bsrxmvn_17_32_kernelILj27E21rocsparse_complex_numIdEllS2_S2_S2_EEvT2_20rocsparse_direction_NS_24const_host_device_scalarIT0_EES3_PKS3_PKT1_SC_S9_PKT3_PKT4_S7_PT5_21rocsparse_index_base_b,"axG",@progbits,_ZN9rocsparseL20bsrxmvn_17_32_kernelILj27E21rocsparse_complex_numIdEllS2_S2_S2_EEvT2_20rocsparse_direction_NS_24const_host_device_scalarIT0_EES3_PKS3_PKT1_SC_S9_PKT3_PKT4_S7_PT5_21rocsparse_index_base_b,comdat
	.globl	_ZN9rocsparseL20bsrxmvn_17_32_kernelILj27E21rocsparse_complex_numIdEllS2_S2_S2_EEvT2_20rocsparse_direction_NS_24const_host_device_scalarIT0_EES3_PKS3_PKT1_SC_S9_PKT3_PKT4_S7_PT5_21rocsparse_index_base_b ; -- Begin function _ZN9rocsparseL20bsrxmvn_17_32_kernelILj27E21rocsparse_complex_numIdEllS2_S2_S2_EEvT2_20rocsparse_direction_NS_24const_host_device_scalarIT0_EES3_PKS3_PKT1_SC_S9_PKT3_PKT4_S7_PT5_21rocsparse_index_base_b
	.p2align	8
	.type	_ZN9rocsparseL20bsrxmvn_17_32_kernelILj27E21rocsparse_complex_numIdEllS2_S2_S2_EEvT2_20rocsparse_direction_NS_24const_host_device_scalarIT0_EES3_PKS3_PKT1_SC_S9_PKT3_PKT4_S7_PT5_21rocsparse_index_base_b,@function
_ZN9rocsparseL20bsrxmvn_17_32_kernelILj27E21rocsparse_complex_numIdEllS2_S2_S2_EEvT2_20rocsparse_direction_NS_24const_host_device_scalarIT0_EES3_PKS3_PKT1_SC_S9_PKT3_PKT4_S7_PT5_21rocsparse_index_base_b: ; @_ZN9rocsparseL20bsrxmvn_17_32_kernelILj27E21rocsparse_complex_numIdEllS2_S2_S2_EEvT2_20rocsparse_direction_NS_24const_host_device_scalarIT0_EES3_PKS3_PKT1_SC_S9_PKT3_PKT4_S7_PT5_21rocsparse_index_base_b
; %bb.0:
	s_mov_b32 s12, s15
	s_clause 0x1
	s_load_b64 s[14:15], s[2:3], 0x70
	s_load_b128 s[4:7], s[2:3], 0x10
	s_load_b64 s[16:17], s[0:1], 0x4
	s_mov_b64 s[0:1], src_shared_base
	v_and_b32_e32 v16, 0x3ff, v0
	s_load_b128 s[8:11], s[2:3], 0x58
	v_bfe_u32 v2, v0, 10, 10
	v_bfe_u32 v0, v0, 20, 10
	s_waitcnt lgkmcnt(0)
	s_bitcmp1_b32 s15, 0
	v_mov_b32_e32 v11, s7
	s_cselect_b32 s0, -1, 0
	v_mov_b32_e32 v10, s6
	s_and_b32 vcc_lo, s0, exec_lo
	s_cselect_b32 s13, s1, s5
	s_lshr_b32 s15, s16, 16
	s_xor_b32 s6, s0, -1
	s_mul_i32 s15, s15, s17
	v_mov_b32_e32 v5, s13
	v_mul_lo_u32 v1, s15, v16
	s_delay_alu instid0(VALU_DEP_1) | instskip(SKIP_1) | instid1(VALU_DEP_2)
	v_mad_u32_u24 v1, v2, s17, v1
	v_dual_mov_b32 v2, s8 :: v_dual_mov_b32 v3, s9
	v_add_lshl_u32 v6, v1, v0, 3
	v_dual_mov_b32 v0, s4 :: v_dual_mov_b32 v1, s5
	ds_store_b64 v6, v[0:1] offset:17496
	ds_store_b64 v6, v[2:3] offset:11664
	v_add_nc_u32_e32 v4, 0x4458, v6
	v_add_nc_u32_e32 v0, 0x2d90, v6
	s_delay_alu instid0(VALU_DEP_2)
	v_cndmask_b32_e64 v4, s4, v4, s0
	flat_load_b64 v[8:9], v[4:5]
	s_cbranch_vccnz .LBB186_2
; %bb.1:
	v_dual_mov_b32 v1, s4 :: v_dual_mov_b32 v2, s5
	flat_load_b64 v[10:11], v[1:2] offset:8
.LBB186_2:
	s_and_b32 s4, s0, exec_lo
	s_cselect_b32 s1, s1, s9
	v_cndmask_b32_e64 v0, s8, v0, s0
	v_dual_mov_b32 v1, s1 :: v_dual_mov_b32 v6, s10
	v_mov_b32_e32 v7, s11
	s_and_not1_b32 vcc_lo, exec_lo, s6
	flat_load_b64 v[4:5], v[0:1]
	s_cbranch_vccnz .LBB186_4
; %bb.3:
	v_dual_mov_b32 v0, s8 :: v_dual_mov_b32 v1, s9
	flat_load_b64 v[6:7], v[0:1] offset:8
.LBB186_4:
	s_waitcnt vmcnt(1) lgkmcnt(1)
	v_cmp_eq_f64_e32 vcc_lo, 0, v[8:9]
	v_cmp_eq_f64_e64 s0, 0, v[10:11]
	s_delay_alu instid0(VALU_DEP_1)
	s_and_b32 s4, vcc_lo, s0
	s_mov_b32 s0, -1
	s_and_saveexec_b32 s1, s4
	s_cbranch_execz .LBB186_6
; %bb.5:
	s_waitcnt vmcnt(0) lgkmcnt(0)
	v_cmp_neq_f64_e32 vcc_lo, 1.0, v[4:5]
	v_cmp_neq_f64_e64 s0, 0, v[6:7]
	s_delay_alu instid0(VALU_DEP_1) | instskip(NEXT) | instid1(SALU_CYCLE_1)
	s_or_b32 s0, vcc_lo, s0
	s_or_not1_b32 s0, s0, exec_lo
.LBB186_6:
	s_or_b32 exec_lo, exec_lo, s1
	s_and_saveexec_b32 s1, s0
	s_cbranch_execz .LBB186_43
; %bb.7:
	s_clause 0x1
	s_load_b128 s[4:7], s[2:3], 0x28
	s_load_b64 s[8:9], s[2:3], 0x38
	s_mov_b32 s13, 0
	s_delay_alu instid0(SALU_CYCLE_1)
	s_mov_b32 s15, s13
	s_waitcnt lgkmcnt(0)
	s_cmp_eq_u64 s[4:5], 0
	s_cbranch_scc1 .LBB186_9
; %bb.8:
	s_lshl_b64 s[0:1], s[12:13], 3
	s_delay_alu instid0(SALU_CYCLE_1)
	s_add_u32 s0, s4, s0
	s_addc_u32 s1, s5, s1
	s_load_b64 s[0:1], s[0:1], 0x0
	s_waitcnt lgkmcnt(0)
	s_sub_u32 s12, s0, s14
	s_subb_u32 s13, s1, 0
.LBB186_9:
	s_load_b32 s1, s[2:3], 0x8
	v_mul_u32_u24_e32 v0, 0x97c, v16
	v_dual_mov_b32 v2, 0 :: v_dual_lshlrev_b32 v17, 4, v16
	v_mov_b32_e32 v3, 0
	s_delay_alu instid0(VALU_DEP_3) | instskip(NEXT) | instid1(VALU_DEP_1)
	v_lshrrev_b32_e32 v12, 16, v0
	v_mul_lo_u16 v0, v12, 27
	s_delay_alu instid0(VALU_DEP_1) | instskip(NEXT) | instid1(VALU_DEP_4)
	v_sub_nc_u16 v18, v16, v0
	v_dual_mov_b32 v0, v2 :: v_dual_mov_b32 v1, v3
	s_waitcnt lgkmcnt(0)
	s_cmp_eq_u32 s1, 1
	s_cselect_b32 s0, -1, 0
	s_cmp_lg_u32 s1, 1
	s_cselect_b32 s18, -1, 0
	s_lshl_b64 s[4:5], s[12:13], 3
	s_delay_alu instid0(SALU_CYCLE_1)
	s_add_u32 s6, s6, s4
	s_addc_u32 s7, s7, s5
	s_add_u32 s1, s6, 8
	s_addc_u32 s10, s7, 0
	;; [unrolled: 2-line block ×3, first 2 shown]
	s_cmp_eq_u64 s[8:9], 0
	s_load_b64 s[8:9], s[2:3], 0x68
	s_cselect_b32 s5, s10, s5
	s_cselect_b32 s4, s1, s4
	s_load_b64 s[10:11], s[6:7], 0x0
	s_load_b64 s[16:17], s[4:5], 0x0
	s_waitcnt lgkmcnt(0)
	v_cmp_ge_i64_e64 s1, s[10:11], s[16:17]
	s_delay_alu instid0(VALU_DEP_1)
	s_and_b32 vcc_lo, exec_lo, s1
	s_cbranch_vccnz .LBB186_14
; %bb.10:
	s_clause 0x1
	s_load_b64 s[20:21], s[2:3], 0x50
	s_load_b128 s[4:7], s[2:3], 0x40
	v_and_b32_e32 v0, 0xffff, v18
	v_dual_mov_b32 v2, 0 :: v_dual_and_b32 v1, 0xffff, v12
	v_mov_b32_e32 v3, 0
	s_sub_u32 s2, s16, s14
	s_subb_u32 s3, s17, 0
	s_delay_alu instid0(VALU_DEP_2)
	v_cndmask_b32_e64 v0, v0, v1, s0
	s_sub_u32 s0, s10, s14
	s_subb_u32 s1, s11, 0
	s_mul_hi_u32 s16, s0, 0x2d90
	s_mul_i32 s17, s1, 0x2d90
	v_lshlrev_b32_e32 v0, 4, v0
	s_mul_i32 s19, s0, 0x2d90
	s_add_i32 s16, s16, s17
	s_waitcnt lgkmcnt(0)
	s_delay_alu instid0(VALU_DEP_1) | instskip(NEXT) | instid1(VALU_DEP_1)
	v_add_co_u32 v12, s17, s20, v0
	v_add_co_ci_u32_e64 v13, null, s21, 0, s17
	s_add_u32 s17, s6, s19
	s_addc_u32 s16, s7, s16
	s_lshl_b64 s[6:7], s[10:11], 3
	s_lshl_b64 s[10:11], s[14:15], 3
	v_add_co_u32 v14, s15, s17, v17
	v_dual_mov_b32 v0, v2 :: v_dual_mov_b32 v1, v3
	v_add_co_ci_u32_e64 v15, null, s16, 0, s15
	s_sub_u32 s6, s6, s10
	s_subb_u32 s7, s7, s11
	s_add_u32 s4, s4, s6
	s_addc_u32 s5, s5, s7
	s_set_inst_prefetch_distance 0x1
	s_branch .LBB186_12
	.p2align	6
.LBB186_11:                             ;   in Loop: Header=BB186_12 Depth=1
	s_add_u32 s0, s0, 1
	s_addc_u32 s1, s1, 0
	s_add_u32 s4, s4, 8
	v_cmp_lt_i64_e64 s6, s[0:1], s[2:3]
	s_addc_u32 s5, s5, 0
	s_delay_alu instid0(VALU_DEP_1)
	s_and_b32 vcc_lo, exec_lo, s6
	s_cbranch_vccz .LBB186_14
.LBB186_12:                             ; =>This Inner Loop Header: Depth=1
	v_cmp_ge_i64_e64 s6, s[0:1], s[2:3]
	s_delay_alu instid0(VALU_DEP_1)
	s_and_b32 vcc_lo, exec_lo, s6
	s_cbranch_vccnz .LBB186_11
; %bb.13:                               ;   in Loop: Header=BB186_12 Depth=1
	s_load_b64 s[6:7], s[4:5], 0x0
	s_waitcnt lgkmcnt(0)
	s_sub_u32 s6, s6, s14
	s_delay_alu instid0(SALU_CYCLE_1) | instskip(SKIP_1) | instid1(VALU_DEP_1)
	v_mad_u64_u32 v[23:24], null, 0x1b0, s6, v[12:13]
	s_subb_u32 s6, s7, 0
	v_mov_b32_e32 v19, v24
	s_delay_alu instid0(VALU_DEP_1) | instskip(NEXT) | instid1(VALU_DEP_1)
	v_mad_u64_u32 v[20:21], null, 0x1b0, s6, v[19:20]
	v_mov_b32_e32 v24, v20
	global_load_b128 v[19:22], v[14:15], off
	global_load_b128 v[23:26], v[23:24], off
	v_add_co_u32 v14, vcc_lo, 0x2d90, v14
	v_add_co_ci_u32_e32 v15, vcc_lo, 0, v15, vcc_lo
	s_waitcnt vmcnt(0)
	v_fma_f64 v[0:1], v[19:20], v[23:24], v[0:1]
	v_fma_f64 v[2:3], v[21:22], v[23:24], v[2:3]
	s_delay_alu instid0(VALU_DEP_2) | instskip(NEXT) | instid1(VALU_DEP_2)
	v_fma_f64 v[0:1], -v[21:22], v[25:26], v[0:1]
	v_fma_f64 v[2:3], v[19:20], v[25:26], v[2:3]
	s_branch .LBB186_11
.LBB186_14:
	s_set_inst_prefetch_distance 0x2
	s_and_b32 vcc_lo, exec_lo, s18
	ds_store_b128 v17, v[0:3]
	s_waitcnt vmcnt(0) lgkmcnt(0)
	s_barrier
	buffer_gl0_inv
	s_cbranch_vccz .LBB186_26
; %bb.15:
	s_mov_b32 s0, exec_lo
	v_cmpx_gt_u16_e32 11, v18
	s_cbranch_execz .LBB186_17
; %bb.16:
	ds_load_b128 v[12:15], v17 offset:256
	ds_load_b128 v[19:22], v17
	s_waitcnt lgkmcnt(0)
	v_add_f64 v[12:13], v[12:13], v[19:20]
	v_add_f64 v[14:15], v[14:15], v[21:22]
	ds_store_b128 v17, v[12:15]
.LBB186_17:
	s_or_b32 exec_lo, exec_lo, s0
	s_delay_alu instid0(SALU_CYCLE_1)
	s_mov_b32 s0, exec_lo
	s_waitcnt lgkmcnt(0)
	s_barrier
	buffer_gl0_inv
	v_cmpx_gt_u16_e32 8, v18
	s_cbranch_execz .LBB186_19
; %bb.18:
	ds_load_b128 v[12:15], v17 offset:128
	ds_load_b128 v[19:22], v17
	s_waitcnt lgkmcnt(0)
	v_add_f64 v[12:13], v[12:13], v[19:20]
	v_add_f64 v[14:15], v[14:15], v[21:22]
	ds_store_b128 v17, v[12:15]
.LBB186_19:
	s_or_b32 exec_lo, exec_lo, s0
	s_delay_alu instid0(SALU_CYCLE_1)
	s_mov_b32 s0, exec_lo
	s_waitcnt lgkmcnt(0)
	s_barrier
	buffer_gl0_inv
	;; [unrolled: 16-line block ×3, first 2 shown]
	v_cmpx_gt_u16_e32 2, v18
	s_cbranch_execz .LBB186_23
; %bb.22:
	ds_load_b128 v[12:15], v17
	ds_load_b128 v[18:21], v17 offset:32
	s_waitcnt lgkmcnt(0)
	v_add_f64 v[12:13], v[18:19], v[12:13]
	v_add_f64 v[14:15], v[20:21], v[14:15]
	ds_store_b128 v17, v[12:15]
.LBB186_23:
	s_or_b32 exec_lo, exec_lo, s0
	v_dual_mov_b32 v15, v3 :: v_dual_mov_b32 v14, v2
	v_dual_mov_b32 v13, v1 :: v_dual_mov_b32 v12, v0
	s_mov_b32 s0, exec_lo
	s_waitcnt lgkmcnt(0)
	s_barrier
	buffer_gl0_inv
	v_cmpx_gt_u32_e32 27, v16
	s_cbranch_execz .LBB186_25
; %bb.24:
	v_mul_u32_u24_e32 v12, 27, v16
	s_delay_alu instid0(VALU_DEP_1)
	v_lshlrev_b32_e32 v18, 4, v12
	ds_load_b128 v[12:15], v18
	ds_load_b128 v[18:21], v18 offset:16
	s_waitcnt lgkmcnt(0)
	v_add_f64 v[12:13], v[18:19], v[12:13]
	v_add_f64 v[14:15], v[20:21], v[14:15]
.LBB186_25:
	s_or_b32 exec_lo, exec_lo, s0
	s_branch .LBB186_38
.LBB186_26:
                                        ; implicit-def: $vgpr14_vgpr15
                                        ; implicit-def: $vgpr12_vgpr13
	s_cbranch_execz .LBB186_38
; %bb.27:
	s_mov_b32 s0, exec_lo
	v_cmpx_gt_u32_e32 0x129, v16
	s_cbranch_execz .LBB186_29
; %bb.28:
	ds_load_b128 v[12:15], v17 offset:6912
	ds_load_b128 v[18:21], v17
	s_waitcnt lgkmcnt(0)
	v_add_f64 v[12:13], v[12:13], v[18:19]
	v_add_f64 v[14:15], v[14:15], v[20:21]
	ds_store_b128 v17, v[12:15]
.LBB186_29:
	s_or_b32 exec_lo, exec_lo, s0
	s_delay_alu instid0(SALU_CYCLE_1)
	s_mov_b32 s0, exec_lo
	s_waitcnt lgkmcnt(0)
	s_barrier
	buffer_gl0_inv
	v_cmpx_gt_u32_e32 0xd8, v16
	s_cbranch_execz .LBB186_31
; %bb.30:
	ds_load_b128 v[12:15], v17 offset:3456
	ds_load_b128 v[18:21], v17
	s_waitcnt lgkmcnt(0)
	v_add_f64 v[12:13], v[12:13], v[18:19]
	v_add_f64 v[14:15], v[14:15], v[20:21]
	ds_store_b128 v17, v[12:15]
.LBB186_31:
	s_or_b32 exec_lo, exec_lo, s0
	s_delay_alu instid0(SALU_CYCLE_1)
	s_mov_b32 s0, exec_lo
	s_waitcnt lgkmcnt(0)
	s_barrier
	buffer_gl0_inv
	;; [unrolled: 16-line block ×3, first 2 shown]
	v_cmpx_gt_u32_e32 54, v16
	s_cbranch_execz .LBB186_35
; %bb.34:
	ds_load_b128 v[12:15], v17 offset:864
	ds_load_b128 v[18:21], v17
	s_waitcnt lgkmcnt(0)
	v_add_f64 v[12:13], v[12:13], v[18:19]
	v_add_f64 v[14:15], v[14:15], v[20:21]
	ds_store_b128 v17, v[12:15]
.LBB186_35:
	s_or_b32 exec_lo, exec_lo, s0
	s_delay_alu instid0(SALU_CYCLE_1)
	s_mov_b32 s0, exec_lo
	s_waitcnt lgkmcnt(0)
	buffer_gl0_inv
	v_cmpx_gt_u32_e32 27, v16
	s_cbranch_execz .LBB186_37
; %bb.36:
	ds_load_b128 v[0:3], v17 offset:432
	ds_load_b128 v[12:15], v17
	s_waitcnt lgkmcnt(0)
	v_add_f64 v[0:1], v[0:1], v[12:13]
	v_add_f64 v[2:3], v[2:3], v[14:15]
.LBB186_37:
	s_or_b32 exec_lo, exec_lo, s0
	s_delay_alu instid0(VALU_DEP_1) | instskip(NEXT) | instid1(VALU_DEP_3)
	v_dual_mov_b32 v15, v3 :: v_dual_mov_b32 v14, v2
	v_dual_mov_b32 v13, v1 :: v_dual_mov_b32 v12, v0
.LBB186_38:
	v_cmp_gt_u32_e32 vcc_lo, 27, v16
	s_and_b32 exec_lo, exec_lo, vcc_lo
	s_cbranch_execz .LBB186_43
; %bb.39:
	s_delay_alu instid0(VALU_DEP_2)
	v_mul_f64 v[0:1], v[14:15], -v[10:11]
	v_mul_f64 v[2:3], v[8:9], v[14:15]
	v_cmp_eq_f64_e32 vcc_lo, 0, v[4:5]
	v_cmp_eq_f64_e64 s0, 0, v[6:7]
	s_mul_hi_u32 s1, s12, 0x1b0
	s_mul_i32 s2, s12, 0x1b0
	s_delay_alu instid0(VALU_DEP_4) | instskip(NEXT) | instid1(VALU_DEP_4)
	v_fma_f64 v[0:1], v[8:9], v[12:13], v[0:1]
	v_fma_f64 v[2:3], v[10:11], v[12:13], v[2:3]
	s_delay_alu instid0(VALU_DEP_3) | instskip(SKIP_2) | instid1(SALU_CYCLE_1)
	s_and_b32 s3, vcc_lo, s0
	s_mul_i32 s0, s13, 0x1b0
	s_and_saveexec_b32 s4, s3
	s_xor_b32 s3, exec_lo, s4
	s_cbranch_execz .LBB186_41
; %bb.40:
	s_add_i32 s5, s1, s0
	s_add_u32 s4, s8, s2
	s_addc_u32 s5, s9, s5
                                        ; implicit-def: $vgpr4_vgpr5
                                        ; implicit-def: $vgpr6_vgpr7
	global_store_b128 v17, v[0:3], s[4:5]
                                        ; implicit-def: $vgpr17
                                        ; implicit-def: $vgpr0_vgpr1
.LBB186_41:
	s_and_not1_saveexec_b32 s3, s3
	s_cbranch_execz .LBB186_43
; %bb.42:
	s_add_i32 s1, s1, s0
	s_add_u32 s0, s8, s2
	s_addc_u32 s1, s9, s1
	global_load_b128 v[8:11], v17, s[0:1]
	s_waitcnt vmcnt(0)
	v_fma_f64 v[0:1], v[4:5], v[8:9], v[0:1]
	v_fma_f64 v[2:3], v[6:7], v[8:9], v[2:3]
	s_delay_alu instid0(VALU_DEP_2) | instskip(NEXT) | instid1(VALU_DEP_2)
	v_fma_f64 v[0:1], -v[6:7], v[10:11], v[0:1]
	v_fma_f64 v[2:3], v[4:5], v[10:11], v[2:3]
	global_store_b128 v17, v[0:3], s[0:1]
.LBB186_43:
	s_nop 0
	s_sendmsg sendmsg(MSG_DEALLOC_VGPRS)
	s_endpgm
	.section	.rodata,"a",@progbits
	.p2align	6, 0x0
	.amdhsa_kernel _ZN9rocsparseL20bsrxmvn_17_32_kernelILj27E21rocsparse_complex_numIdEllS2_S2_S2_EEvT2_20rocsparse_direction_NS_24const_host_device_scalarIT0_EES3_PKS3_PKT1_SC_S9_PKT3_PKT4_S7_PT5_21rocsparse_index_base_b
		.amdhsa_group_segment_fixed_size 23328
		.amdhsa_private_segment_fixed_size 0
		.amdhsa_kernarg_size 120
		.amdhsa_user_sgpr_count 15
		.amdhsa_user_sgpr_dispatch_ptr 1
		.amdhsa_user_sgpr_queue_ptr 0
		.amdhsa_user_sgpr_kernarg_segment_ptr 1
		.amdhsa_user_sgpr_dispatch_id 0
		.amdhsa_user_sgpr_private_segment_size 0
		.amdhsa_wavefront_size32 1
		.amdhsa_uses_dynamic_stack 0
		.amdhsa_enable_private_segment 0
		.amdhsa_system_sgpr_workgroup_id_x 1
		.amdhsa_system_sgpr_workgroup_id_y 0
		.amdhsa_system_sgpr_workgroup_id_z 0
		.amdhsa_system_sgpr_workgroup_info 0
		.amdhsa_system_vgpr_workitem_id 2
		.amdhsa_next_free_vgpr 27
		.amdhsa_next_free_sgpr 22
		.amdhsa_reserve_vcc 1
		.amdhsa_float_round_mode_32 0
		.amdhsa_float_round_mode_16_64 0
		.amdhsa_float_denorm_mode_32 3
		.amdhsa_float_denorm_mode_16_64 3
		.amdhsa_dx10_clamp 1
		.amdhsa_ieee_mode 1
		.amdhsa_fp16_overflow 0
		.amdhsa_workgroup_processor_mode 1
		.amdhsa_memory_ordered 1
		.amdhsa_forward_progress 0
		.amdhsa_shared_vgpr_count 0
		.amdhsa_exception_fp_ieee_invalid_op 0
		.amdhsa_exception_fp_denorm_src 0
		.amdhsa_exception_fp_ieee_div_zero 0
		.amdhsa_exception_fp_ieee_overflow 0
		.amdhsa_exception_fp_ieee_underflow 0
		.amdhsa_exception_fp_ieee_inexact 0
		.amdhsa_exception_int_div_zero 0
	.end_amdhsa_kernel
	.section	.text._ZN9rocsparseL20bsrxmvn_17_32_kernelILj27E21rocsparse_complex_numIdEllS2_S2_S2_EEvT2_20rocsparse_direction_NS_24const_host_device_scalarIT0_EES3_PKS3_PKT1_SC_S9_PKT3_PKT4_S7_PT5_21rocsparse_index_base_b,"axG",@progbits,_ZN9rocsparseL20bsrxmvn_17_32_kernelILj27E21rocsparse_complex_numIdEllS2_S2_S2_EEvT2_20rocsparse_direction_NS_24const_host_device_scalarIT0_EES3_PKS3_PKT1_SC_S9_PKT3_PKT4_S7_PT5_21rocsparse_index_base_b,comdat
.Lfunc_end186:
	.size	_ZN9rocsparseL20bsrxmvn_17_32_kernelILj27E21rocsparse_complex_numIdEllS2_S2_S2_EEvT2_20rocsparse_direction_NS_24const_host_device_scalarIT0_EES3_PKS3_PKT1_SC_S9_PKT3_PKT4_S7_PT5_21rocsparse_index_base_b, .Lfunc_end186-_ZN9rocsparseL20bsrxmvn_17_32_kernelILj27E21rocsparse_complex_numIdEllS2_S2_S2_EEvT2_20rocsparse_direction_NS_24const_host_device_scalarIT0_EES3_PKS3_PKT1_SC_S9_PKT3_PKT4_S7_PT5_21rocsparse_index_base_b
                                        ; -- End function
	.section	.AMDGPU.csdata,"",@progbits
; Kernel info:
; codeLenInByte = 2060
; NumSgprs: 24
; NumVgprs: 27
; ScratchSize: 0
; MemoryBound: 1
; FloatMode: 240
; IeeeMode: 1
; LDSByteSize: 23328 bytes/workgroup (compile time only)
; SGPRBlocks: 2
; VGPRBlocks: 3
; NumSGPRsForWavesPerEU: 24
; NumVGPRsForWavesPerEU: 27
; Occupancy: 12
; WaveLimiterHint : 1
; COMPUTE_PGM_RSRC2:SCRATCH_EN: 0
; COMPUTE_PGM_RSRC2:USER_SGPR: 15
; COMPUTE_PGM_RSRC2:TRAP_HANDLER: 0
; COMPUTE_PGM_RSRC2:TGID_X_EN: 1
; COMPUTE_PGM_RSRC2:TGID_Y_EN: 0
; COMPUTE_PGM_RSRC2:TGID_Z_EN: 0
; COMPUTE_PGM_RSRC2:TIDIG_COMP_CNT: 2
	.section	.text._ZN9rocsparseL20bsrxmvn_17_32_kernelILj28E21rocsparse_complex_numIdEllS2_S2_S2_EEvT2_20rocsparse_direction_NS_24const_host_device_scalarIT0_EES3_PKS3_PKT1_SC_S9_PKT3_PKT4_S7_PT5_21rocsparse_index_base_b,"axG",@progbits,_ZN9rocsparseL20bsrxmvn_17_32_kernelILj28E21rocsparse_complex_numIdEllS2_S2_S2_EEvT2_20rocsparse_direction_NS_24const_host_device_scalarIT0_EES3_PKS3_PKT1_SC_S9_PKT3_PKT4_S7_PT5_21rocsparse_index_base_b,comdat
	.globl	_ZN9rocsparseL20bsrxmvn_17_32_kernelILj28E21rocsparse_complex_numIdEllS2_S2_S2_EEvT2_20rocsparse_direction_NS_24const_host_device_scalarIT0_EES3_PKS3_PKT1_SC_S9_PKT3_PKT4_S7_PT5_21rocsparse_index_base_b ; -- Begin function _ZN9rocsparseL20bsrxmvn_17_32_kernelILj28E21rocsparse_complex_numIdEllS2_S2_S2_EEvT2_20rocsparse_direction_NS_24const_host_device_scalarIT0_EES3_PKS3_PKT1_SC_S9_PKT3_PKT4_S7_PT5_21rocsparse_index_base_b
	.p2align	8
	.type	_ZN9rocsparseL20bsrxmvn_17_32_kernelILj28E21rocsparse_complex_numIdEllS2_S2_S2_EEvT2_20rocsparse_direction_NS_24const_host_device_scalarIT0_EES3_PKS3_PKT1_SC_S9_PKT3_PKT4_S7_PT5_21rocsparse_index_base_b,@function
_ZN9rocsparseL20bsrxmvn_17_32_kernelILj28E21rocsparse_complex_numIdEllS2_S2_S2_EEvT2_20rocsparse_direction_NS_24const_host_device_scalarIT0_EES3_PKS3_PKT1_SC_S9_PKT3_PKT4_S7_PT5_21rocsparse_index_base_b: ; @_ZN9rocsparseL20bsrxmvn_17_32_kernelILj28E21rocsparse_complex_numIdEllS2_S2_S2_EEvT2_20rocsparse_direction_NS_24const_host_device_scalarIT0_EES3_PKS3_PKT1_SC_S9_PKT3_PKT4_S7_PT5_21rocsparse_index_base_b
; %bb.0:
	s_mov_b32 s12, s15
	s_clause 0x1
	s_load_b64 s[14:15], s[2:3], 0x70
	s_load_b128 s[4:7], s[2:3], 0x10
	s_load_b64 s[16:17], s[0:1], 0x4
	s_mov_b64 s[0:1], src_shared_base
	v_and_b32_e32 v16, 0x3ff, v0
	s_load_b128 s[8:11], s[2:3], 0x58
	v_bfe_u32 v2, v0, 10, 10
	v_bfe_u32 v0, v0, 20, 10
	s_waitcnt lgkmcnt(0)
	s_bitcmp1_b32 s15, 0
	v_mov_b32_e32 v11, s7
	s_cselect_b32 s0, -1, 0
	v_mov_b32_e32 v10, s6
	s_and_b32 vcc_lo, s0, exec_lo
	s_cselect_b32 s13, s1, s5
	s_lshr_b32 s15, s16, 16
	s_xor_b32 s6, s0, -1
	s_mul_i32 s15, s15, s17
	v_mov_b32_e32 v5, s13
	v_mul_lo_u32 v1, s15, v16
	s_delay_alu instid0(VALU_DEP_1) | instskip(SKIP_1) | instid1(VALU_DEP_2)
	v_mad_u32_u24 v1, v2, s17, v1
	v_dual_mov_b32 v2, s8 :: v_dual_mov_b32 v3, s9
	v_add_lshl_u32 v6, v1, v0, 3
	v_dual_mov_b32 v0, s4 :: v_dual_mov_b32 v1, s5
	ds_store_b64 v6, v[0:1] offset:18816
	ds_store_b64 v6, v[2:3] offset:12544
	v_add_nc_u32_e32 v4, 0x4980, v6
	v_add_nc_u32_e32 v0, 0x3100, v6
	s_delay_alu instid0(VALU_DEP_2)
	v_cndmask_b32_e64 v4, s4, v4, s0
	flat_load_b64 v[8:9], v[4:5]
	s_cbranch_vccnz .LBB187_2
; %bb.1:
	v_dual_mov_b32 v1, s4 :: v_dual_mov_b32 v2, s5
	flat_load_b64 v[10:11], v[1:2] offset:8
.LBB187_2:
	s_and_b32 s4, s0, exec_lo
	s_cselect_b32 s1, s1, s9
	v_cndmask_b32_e64 v0, s8, v0, s0
	v_dual_mov_b32 v1, s1 :: v_dual_mov_b32 v6, s10
	v_mov_b32_e32 v7, s11
	s_and_not1_b32 vcc_lo, exec_lo, s6
	flat_load_b64 v[4:5], v[0:1]
	s_cbranch_vccnz .LBB187_4
; %bb.3:
	v_dual_mov_b32 v0, s8 :: v_dual_mov_b32 v1, s9
	flat_load_b64 v[6:7], v[0:1] offset:8
.LBB187_4:
	s_waitcnt vmcnt(1) lgkmcnt(1)
	v_cmp_eq_f64_e32 vcc_lo, 0, v[8:9]
	v_cmp_eq_f64_e64 s0, 0, v[10:11]
	s_delay_alu instid0(VALU_DEP_1)
	s_and_b32 s4, vcc_lo, s0
	s_mov_b32 s0, -1
	s_and_saveexec_b32 s1, s4
	s_cbranch_execz .LBB187_6
; %bb.5:
	s_waitcnt vmcnt(0) lgkmcnt(0)
	v_cmp_neq_f64_e32 vcc_lo, 1.0, v[4:5]
	v_cmp_neq_f64_e64 s0, 0, v[6:7]
	s_delay_alu instid0(VALU_DEP_1) | instskip(NEXT) | instid1(SALU_CYCLE_1)
	s_or_b32 s0, vcc_lo, s0
	s_or_not1_b32 s0, s0, exec_lo
.LBB187_6:
	s_or_b32 exec_lo, exec_lo, s1
	s_and_saveexec_b32 s1, s0
	s_cbranch_execz .LBB187_43
; %bb.7:
	s_clause 0x1
	s_load_b128 s[4:7], s[2:3], 0x28
	s_load_b64 s[8:9], s[2:3], 0x38
	s_mov_b32 s13, 0
	s_delay_alu instid0(SALU_CYCLE_1)
	s_mov_b32 s15, s13
	s_waitcnt lgkmcnt(0)
	s_cmp_eq_u64 s[4:5], 0
	s_cbranch_scc1 .LBB187_9
; %bb.8:
	s_lshl_b64 s[0:1], s[12:13], 3
	s_delay_alu instid0(SALU_CYCLE_1)
	s_add_u32 s0, s4, s0
	s_addc_u32 s1, s5, s1
	s_load_b64 s[0:1], s[0:1], 0x0
	s_waitcnt lgkmcnt(0)
	s_sub_u32 s12, s0, s14
	s_subb_u32 s13, s1, 0
.LBB187_9:
	s_load_b32 s1, s[2:3], 0x8
	v_mul_u32_u24_e32 v0, 0x925, v16
	v_dual_mov_b32 v2, 0 :: v_dual_lshlrev_b32 v17, 4, v16
	v_mov_b32_e32 v3, 0
	s_delay_alu instid0(VALU_DEP_3) | instskip(NEXT) | instid1(VALU_DEP_1)
	v_lshrrev_b32_e32 v12, 16, v0
	v_mul_lo_u16 v0, v12, 28
	s_delay_alu instid0(VALU_DEP_1) | instskip(NEXT) | instid1(VALU_DEP_4)
	v_sub_nc_u16 v18, v16, v0
	v_dual_mov_b32 v0, v2 :: v_dual_mov_b32 v1, v3
	s_waitcnt lgkmcnt(0)
	s_cmp_eq_u32 s1, 1
	s_cselect_b32 s0, -1, 0
	s_cmp_lg_u32 s1, 1
	s_cselect_b32 s18, -1, 0
	s_lshl_b64 s[4:5], s[12:13], 3
	s_delay_alu instid0(SALU_CYCLE_1)
	s_add_u32 s6, s6, s4
	s_addc_u32 s7, s7, s5
	s_add_u32 s1, s6, 8
	s_addc_u32 s10, s7, 0
	;; [unrolled: 2-line block ×3, first 2 shown]
	s_cmp_eq_u64 s[8:9], 0
	s_load_b64 s[8:9], s[2:3], 0x68
	s_cselect_b32 s5, s10, s5
	s_cselect_b32 s4, s1, s4
	s_load_b64 s[10:11], s[6:7], 0x0
	s_load_b64 s[16:17], s[4:5], 0x0
	s_waitcnt lgkmcnt(0)
	v_cmp_ge_i64_e64 s1, s[10:11], s[16:17]
	s_delay_alu instid0(VALU_DEP_1)
	s_and_b32 vcc_lo, exec_lo, s1
	s_cbranch_vccnz .LBB187_14
; %bb.10:
	s_clause 0x1
	s_load_b64 s[20:21], s[2:3], 0x50
	s_load_b128 s[4:7], s[2:3], 0x40
	v_and_b32_e32 v0, 0xffff, v18
	v_dual_mov_b32 v2, 0 :: v_dual_and_b32 v1, 0xffff, v12
	v_mov_b32_e32 v3, 0
	s_sub_u32 s2, s16, s14
	s_subb_u32 s3, s17, 0
	s_delay_alu instid0(VALU_DEP_2)
	v_cndmask_b32_e64 v0, v0, v1, s0
	s_sub_u32 s0, s10, s14
	s_subb_u32 s1, s11, 0
	s_mul_hi_u32 s16, s0, 0x3100
	s_mul_i32 s17, s1, 0x3100
	v_lshlrev_b32_e32 v0, 4, v0
	s_mul_i32 s19, s0, 0x3100
	s_add_i32 s16, s16, s17
	s_waitcnt lgkmcnt(0)
	s_delay_alu instid0(VALU_DEP_1) | instskip(NEXT) | instid1(VALU_DEP_1)
	v_add_co_u32 v12, s17, s20, v0
	v_add_co_ci_u32_e64 v13, null, s21, 0, s17
	s_add_u32 s17, s6, s19
	s_addc_u32 s16, s7, s16
	s_lshl_b64 s[6:7], s[10:11], 3
	s_lshl_b64 s[10:11], s[14:15], 3
	v_add_co_u32 v14, s15, s17, v17
	v_dual_mov_b32 v0, v2 :: v_dual_mov_b32 v1, v3
	v_add_co_ci_u32_e64 v15, null, s16, 0, s15
	s_sub_u32 s6, s6, s10
	s_subb_u32 s7, s7, s11
	s_add_u32 s4, s4, s6
	s_addc_u32 s5, s5, s7
	s_set_inst_prefetch_distance 0x1
	s_branch .LBB187_12
	.p2align	6
.LBB187_11:                             ;   in Loop: Header=BB187_12 Depth=1
	s_add_u32 s0, s0, 1
	s_addc_u32 s1, s1, 0
	s_add_u32 s4, s4, 8
	v_cmp_lt_i64_e64 s6, s[0:1], s[2:3]
	s_addc_u32 s5, s5, 0
	s_delay_alu instid0(VALU_DEP_1)
	s_and_b32 vcc_lo, exec_lo, s6
	s_cbranch_vccz .LBB187_14
.LBB187_12:                             ; =>This Inner Loop Header: Depth=1
	v_cmp_ge_i64_e64 s6, s[0:1], s[2:3]
	s_delay_alu instid0(VALU_DEP_1)
	s_and_b32 vcc_lo, exec_lo, s6
	s_cbranch_vccnz .LBB187_11
; %bb.13:                               ;   in Loop: Header=BB187_12 Depth=1
	s_load_b64 s[6:7], s[4:5], 0x0
	s_waitcnt lgkmcnt(0)
	s_sub_u32 s6, s6, s14
	s_delay_alu instid0(SALU_CYCLE_1) | instskip(SKIP_1) | instid1(VALU_DEP_1)
	v_mad_u64_u32 v[23:24], null, 0x1c0, s6, v[12:13]
	s_subb_u32 s6, s7, 0
	v_mov_b32_e32 v19, v24
	s_delay_alu instid0(VALU_DEP_1) | instskip(NEXT) | instid1(VALU_DEP_1)
	v_mad_u64_u32 v[20:21], null, 0x1c0, s6, v[19:20]
	v_mov_b32_e32 v24, v20
	global_load_b128 v[19:22], v[14:15], off
	global_load_b128 v[23:26], v[23:24], off
	v_add_co_u32 v14, vcc_lo, 0x3100, v14
	v_add_co_ci_u32_e32 v15, vcc_lo, 0, v15, vcc_lo
	s_waitcnt vmcnt(0)
	v_fma_f64 v[0:1], v[19:20], v[23:24], v[0:1]
	v_fma_f64 v[2:3], v[21:22], v[23:24], v[2:3]
	s_delay_alu instid0(VALU_DEP_2) | instskip(NEXT) | instid1(VALU_DEP_2)
	v_fma_f64 v[0:1], -v[21:22], v[25:26], v[0:1]
	v_fma_f64 v[2:3], v[19:20], v[25:26], v[2:3]
	s_branch .LBB187_11
.LBB187_14:
	s_set_inst_prefetch_distance 0x2
	s_and_b32 vcc_lo, exec_lo, s18
	ds_store_b128 v17, v[0:3]
	s_waitcnt vmcnt(0) lgkmcnt(0)
	s_barrier
	buffer_gl0_inv
	s_cbranch_vccz .LBB187_26
; %bb.15:
	s_mov_b32 s0, exec_lo
	v_cmpx_gt_u16_e32 12, v18
	s_cbranch_execz .LBB187_17
; %bb.16:
	ds_load_b128 v[12:15], v17 offset:256
	ds_load_b128 v[19:22], v17
	s_waitcnt lgkmcnt(0)
	v_add_f64 v[12:13], v[12:13], v[19:20]
	v_add_f64 v[14:15], v[14:15], v[21:22]
	ds_store_b128 v17, v[12:15]
.LBB187_17:
	s_or_b32 exec_lo, exec_lo, s0
	s_delay_alu instid0(SALU_CYCLE_1)
	s_mov_b32 s0, exec_lo
	s_waitcnt lgkmcnt(0)
	s_barrier
	buffer_gl0_inv
	v_cmpx_gt_u16_e32 8, v18
	s_cbranch_execz .LBB187_19
; %bb.18:
	ds_load_b128 v[12:15], v17 offset:128
	ds_load_b128 v[19:22], v17
	s_waitcnt lgkmcnt(0)
	v_add_f64 v[12:13], v[12:13], v[19:20]
	v_add_f64 v[14:15], v[14:15], v[21:22]
	ds_store_b128 v17, v[12:15]
.LBB187_19:
	s_or_b32 exec_lo, exec_lo, s0
	s_delay_alu instid0(SALU_CYCLE_1)
	s_mov_b32 s0, exec_lo
	s_waitcnt lgkmcnt(0)
	s_barrier
	buffer_gl0_inv
	;; [unrolled: 16-line block ×3, first 2 shown]
	v_cmpx_gt_u16_e32 2, v18
	s_cbranch_execz .LBB187_23
; %bb.22:
	ds_load_b128 v[12:15], v17
	ds_load_b128 v[18:21], v17 offset:32
	s_waitcnt lgkmcnt(0)
	v_add_f64 v[12:13], v[18:19], v[12:13]
	v_add_f64 v[14:15], v[20:21], v[14:15]
	ds_store_b128 v17, v[12:15]
.LBB187_23:
	s_or_b32 exec_lo, exec_lo, s0
	v_dual_mov_b32 v15, v3 :: v_dual_mov_b32 v14, v2
	v_dual_mov_b32 v13, v1 :: v_dual_mov_b32 v12, v0
	s_mov_b32 s0, exec_lo
	s_waitcnt lgkmcnt(0)
	s_barrier
	buffer_gl0_inv
	v_cmpx_gt_u32_e32 28, v16
	s_cbranch_execz .LBB187_25
; %bb.24:
	v_mul_u32_u24_e32 v12, 28, v16
	s_delay_alu instid0(VALU_DEP_1)
	v_lshlrev_b32_e32 v18, 4, v12
	ds_load_b128 v[12:15], v18
	ds_load_b128 v[18:21], v18 offset:16
	s_waitcnt lgkmcnt(0)
	v_add_f64 v[12:13], v[18:19], v[12:13]
	v_add_f64 v[14:15], v[20:21], v[14:15]
.LBB187_25:
	s_or_b32 exec_lo, exec_lo, s0
	s_branch .LBB187_38
.LBB187_26:
                                        ; implicit-def: $vgpr14_vgpr15
                                        ; implicit-def: $vgpr12_vgpr13
	s_cbranch_execz .LBB187_38
; %bb.27:
	s_mov_b32 s0, exec_lo
	v_cmpx_gt_u32_e32 0x150, v16
	s_cbranch_execz .LBB187_29
; %bb.28:
	ds_load_b128 v[12:15], v17 offset:7168
	ds_load_b128 v[18:21], v17
	s_waitcnt lgkmcnt(0)
	v_add_f64 v[12:13], v[12:13], v[18:19]
	v_add_f64 v[14:15], v[14:15], v[20:21]
	ds_store_b128 v17, v[12:15]
.LBB187_29:
	s_or_b32 exec_lo, exec_lo, s0
	s_delay_alu instid0(SALU_CYCLE_1)
	s_mov_b32 s0, exec_lo
	s_waitcnt lgkmcnt(0)
	s_barrier
	buffer_gl0_inv
	v_cmpx_gt_u32_e32 0xe0, v16
	s_cbranch_execz .LBB187_31
; %bb.30:
	ds_load_b128 v[12:15], v17 offset:3584
	ds_load_b128 v[18:21], v17
	s_waitcnt lgkmcnt(0)
	v_add_f64 v[12:13], v[12:13], v[18:19]
	v_add_f64 v[14:15], v[14:15], v[20:21]
	ds_store_b128 v17, v[12:15]
.LBB187_31:
	s_or_b32 exec_lo, exec_lo, s0
	s_delay_alu instid0(SALU_CYCLE_1)
	s_mov_b32 s0, exec_lo
	s_waitcnt lgkmcnt(0)
	s_barrier
	buffer_gl0_inv
	;; [unrolled: 16-line block ×3, first 2 shown]
	v_cmpx_gt_u32_e32 56, v16
	s_cbranch_execz .LBB187_35
; %bb.34:
	ds_load_b128 v[12:15], v17 offset:896
	ds_load_b128 v[18:21], v17
	s_waitcnt lgkmcnt(0)
	v_add_f64 v[12:13], v[12:13], v[18:19]
	v_add_f64 v[14:15], v[14:15], v[20:21]
	ds_store_b128 v17, v[12:15]
.LBB187_35:
	s_or_b32 exec_lo, exec_lo, s0
	s_delay_alu instid0(SALU_CYCLE_1)
	s_mov_b32 s0, exec_lo
	s_waitcnt lgkmcnt(0)
	buffer_gl0_inv
	v_cmpx_gt_u32_e32 28, v16
	s_cbranch_execz .LBB187_37
; %bb.36:
	ds_load_b128 v[0:3], v17 offset:448
	ds_load_b128 v[12:15], v17
	s_waitcnt lgkmcnt(0)
	v_add_f64 v[0:1], v[0:1], v[12:13]
	v_add_f64 v[2:3], v[2:3], v[14:15]
.LBB187_37:
	s_or_b32 exec_lo, exec_lo, s0
	s_delay_alu instid0(VALU_DEP_1) | instskip(NEXT) | instid1(VALU_DEP_3)
	v_dual_mov_b32 v15, v3 :: v_dual_mov_b32 v14, v2
	v_dual_mov_b32 v13, v1 :: v_dual_mov_b32 v12, v0
.LBB187_38:
	v_cmp_gt_u32_e32 vcc_lo, 28, v16
	s_and_b32 exec_lo, exec_lo, vcc_lo
	s_cbranch_execz .LBB187_43
; %bb.39:
	s_delay_alu instid0(VALU_DEP_2)
	v_mul_f64 v[0:1], v[14:15], -v[10:11]
	v_mul_f64 v[2:3], v[8:9], v[14:15]
	v_cmp_eq_f64_e32 vcc_lo, 0, v[4:5]
	v_cmp_eq_f64_e64 s0, 0, v[6:7]
	s_mul_hi_u32 s1, s12, 0x1c0
	s_mul_i32 s2, s12, 0x1c0
	s_delay_alu instid0(VALU_DEP_4) | instskip(NEXT) | instid1(VALU_DEP_4)
	v_fma_f64 v[0:1], v[8:9], v[12:13], v[0:1]
	v_fma_f64 v[2:3], v[10:11], v[12:13], v[2:3]
	s_delay_alu instid0(VALU_DEP_3) | instskip(SKIP_2) | instid1(SALU_CYCLE_1)
	s_and_b32 s3, vcc_lo, s0
	s_mul_i32 s0, s13, 0x1c0
	s_and_saveexec_b32 s4, s3
	s_xor_b32 s3, exec_lo, s4
	s_cbranch_execz .LBB187_41
; %bb.40:
	s_add_i32 s5, s1, s0
	s_add_u32 s4, s8, s2
	s_addc_u32 s5, s9, s5
                                        ; implicit-def: $vgpr4_vgpr5
                                        ; implicit-def: $vgpr6_vgpr7
	global_store_b128 v17, v[0:3], s[4:5]
                                        ; implicit-def: $vgpr17
                                        ; implicit-def: $vgpr0_vgpr1
.LBB187_41:
	s_and_not1_saveexec_b32 s3, s3
	s_cbranch_execz .LBB187_43
; %bb.42:
	s_add_i32 s1, s1, s0
	s_add_u32 s0, s8, s2
	s_addc_u32 s1, s9, s1
	global_load_b128 v[8:11], v17, s[0:1]
	s_waitcnt vmcnt(0)
	v_fma_f64 v[0:1], v[4:5], v[8:9], v[0:1]
	v_fma_f64 v[2:3], v[6:7], v[8:9], v[2:3]
	s_delay_alu instid0(VALU_DEP_2) | instskip(NEXT) | instid1(VALU_DEP_2)
	v_fma_f64 v[0:1], -v[6:7], v[10:11], v[0:1]
	v_fma_f64 v[2:3], v[4:5], v[10:11], v[2:3]
	global_store_b128 v17, v[0:3], s[0:1]
.LBB187_43:
	s_nop 0
	s_sendmsg sendmsg(MSG_DEALLOC_VGPRS)
	s_endpgm
	.section	.rodata,"a",@progbits
	.p2align	6, 0x0
	.amdhsa_kernel _ZN9rocsparseL20bsrxmvn_17_32_kernelILj28E21rocsparse_complex_numIdEllS2_S2_S2_EEvT2_20rocsparse_direction_NS_24const_host_device_scalarIT0_EES3_PKS3_PKT1_SC_S9_PKT3_PKT4_S7_PT5_21rocsparse_index_base_b
		.amdhsa_group_segment_fixed_size 25088
		.amdhsa_private_segment_fixed_size 0
		.amdhsa_kernarg_size 120
		.amdhsa_user_sgpr_count 15
		.amdhsa_user_sgpr_dispatch_ptr 1
		.amdhsa_user_sgpr_queue_ptr 0
		.amdhsa_user_sgpr_kernarg_segment_ptr 1
		.amdhsa_user_sgpr_dispatch_id 0
		.amdhsa_user_sgpr_private_segment_size 0
		.amdhsa_wavefront_size32 1
		.amdhsa_uses_dynamic_stack 0
		.amdhsa_enable_private_segment 0
		.amdhsa_system_sgpr_workgroup_id_x 1
		.amdhsa_system_sgpr_workgroup_id_y 0
		.amdhsa_system_sgpr_workgroup_id_z 0
		.amdhsa_system_sgpr_workgroup_info 0
		.amdhsa_system_vgpr_workitem_id 2
		.amdhsa_next_free_vgpr 27
		.amdhsa_next_free_sgpr 22
		.amdhsa_reserve_vcc 1
		.amdhsa_float_round_mode_32 0
		.amdhsa_float_round_mode_16_64 0
		.amdhsa_float_denorm_mode_32 3
		.amdhsa_float_denorm_mode_16_64 3
		.amdhsa_dx10_clamp 1
		.amdhsa_ieee_mode 1
		.amdhsa_fp16_overflow 0
		.amdhsa_workgroup_processor_mode 1
		.amdhsa_memory_ordered 1
		.amdhsa_forward_progress 0
		.amdhsa_shared_vgpr_count 0
		.amdhsa_exception_fp_ieee_invalid_op 0
		.amdhsa_exception_fp_denorm_src 0
		.amdhsa_exception_fp_ieee_div_zero 0
		.amdhsa_exception_fp_ieee_overflow 0
		.amdhsa_exception_fp_ieee_underflow 0
		.amdhsa_exception_fp_ieee_inexact 0
		.amdhsa_exception_int_div_zero 0
	.end_amdhsa_kernel
	.section	.text._ZN9rocsparseL20bsrxmvn_17_32_kernelILj28E21rocsparse_complex_numIdEllS2_S2_S2_EEvT2_20rocsparse_direction_NS_24const_host_device_scalarIT0_EES3_PKS3_PKT1_SC_S9_PKT3_PKT4_S7_PT5_21rocsparse_index_base_b,"axG",@progbits,_ZN9rocsparseL20bsrxmvn_17_32_kernelILj28E21rocsparse_complex_numIdEllS2_S2_S2_EEvT2_20rocsparse_direction_NS_24const_host_device_scalarIT0_EES3_PKS3_PKT1_SC_S9_PKT3_PKT4_S7_PT5_21rocsparse_index_base_b,comdat
.Lfunc_end187:
	.size	_ZN9rocsparseL20bsrxmvn_17_32_kernelILj28E21rocsparse_complex_numIdEllS2_S2_S2_EEvT2_20rocsparse_direction_NS_24const_host_device_scalarIT0_EES3_PKS3_PKT1_SC_S9_PKT3_PKT4_S7_PT5_21rocsparse_index_base_b, .Lfunc_end187-_ZN9rocsparseL20bsrxmvn_17_32_kernelILj28E21rocsparse_complex_numIdEllS2_S2_S2_EEvT2_20rocsparse_direction_NS_24const_host_device_scalarIT0_EES3_PKS3_PKT1_SC_S9_PKT3_PKT4_S7_PT5_21rocsparse_index_base_b
                                        ; -- End function
	.section	.AMDGPU.csdata,"",@progbits
; Kernel info:
; codeLenInByte = 2060
; NumSgprs: 24
; NumVgprs: 27
; ScratchSize: 0
; MemoryBound: 1
; FloatMode: 240
; IeeeMode: 1
; LDSByteSize: 25088 bytes/workgroup (compile time only)
; SGPRBlocks: 2
; VGPRBlocks: 3
; NumSGPRsForWavesPerEU: 24
; NumVGPRsForWavesPerEU: 27
; Occupancy: 13
; WaveLimiterHint : 1
; COMPUTE_PGM_RSRC2:SCRATCH_EN: 0
; COMPUTE_PGM_RSRC2:USER_SGPR: 15
; COMPUTE_PGM_RSRC2:TRAP_HANDLER: 0
; COMPUTE_PGM_RSRC2:TGID_X_EN: 1
; COMPUTE_PGM_RSRC2:TGID_Y_EN: 0
; COMPUTE_PGM_RSRC2:TGID_Z_EN: 0
; COMPUTE_PGM_RSRC2:TIDIG_COMP_CNT: 2
	.section	.text._ZN9rocsparseL20bsrxmvn_17_32_kernelILj29E21rocsparse_complex_numIdEllS2_S2_S2_EEvT2_20rocsparse_direction_NS_24const_host_device_scalarIT0_EES3_PKS3_PKT1_SC_S9_PKT3_PKT4_S7_PT5_21rocsparse_index_base_b,"axG",@progbits,_ZN9rocsparseL20bsrxmvn_17_32_kernelILj29E21rocsparse_complex_numIdEllS2_S2_S2_EEvT2_20rocsparse_direction_NS_24const_host_device_scalarIT0_EES3_PKS3_PKT1_SC_S9_PKT3_PKT4_S7_PT5_21rocsparse_index_base_b,comdat
	.globl	_ZN9rocsparseL20bsrxmvn_17_32_kernelILj29E21rocsparse_complex_numIdEllS2_S2_S2_EEvT2_20rocsparse_direction_NS_24const_host_device_scalarIT0_EES3_PKS3_PKT1_SC_S9_PKT3_PKT4_S7_PT5_21rocsparse_index_base_b ; -- Begin function _ZN9rocsparseL20bsrxmvn_17_32_kernelILj29E21rocsparse_complex_numIdEllS2_S2_S2_EEvT2_20rocsparse_direction_NS_24const_host_device_scalarIT0_EES3_PKS3_PKT1_SC_S9_PKT3_PKT4_S7_PT5_21rocsparse_index_base_b
	.p2align	8
	.type	_ZN9rocsparseL20bsrxmvn_17_32_kernelILj29E21rocsparse_complex_numIdEllS2_S2_S2_EEvT2_20rocsparse_direction_NS_24const_host_device_scalarIT0_EES3_PKS3_PKT1_SC_S9_PKT3_PKT4_S7_PT5_21rocsparse_index_base_b,@function
_ZN9rocsparseL20bsrxmvn_17_32_kernelILj29E21rocsparse_complex_numIdEllS2_S2_S2_EEvT2_20rocsparse_direction_NS_24const_host_device_scalarIT0_EES3_PKS3_PKT1_SC_S9_PKT3_PKT4_S7_PT5_21rocsparse_index_base_b: ; @_ZN9rocsparseL20bsrxmvn_17_32_kernelILj29E21rocsparse_complex_numIdEllS2_S2_S2_EEvT2_20rocsparse_direction_NS_24const_host_device_scalarIT0_EES3_PKS3_PKT1_SC_S9_PKT3_PKT4_S7_PT5_21rocsparse_index_base_b
; %bb.0:
	s_mov_b32 s12, s15
	s_clause 0x1
	s_load_b64 s[14:15], s[2:3], 0x70
	s_load_b128 s[4:7], s[2:3], 0x10
	s_load_b64 s[16:17], s[0:1], 0x4
	s_mov_b64 s[0:1], src_shared_base
	v_and_b32_e32 v16, 0x3ff, v0
	s_load_b128 s[8:11], s[2:3], 0x58
	v_bfe_u32 v2, v0, 10, 10
	v_bfe_u32 v0, v0, 20, 10
	s_waitcnt lgkmcnt(0)
	s_bitcmp1_b32 s15, 0
	v_mov_b32_e32 v11, s7
	s_cselect_b32 s0, -1, 0
	v_mov_b32_e32 v10, s6
	s_and_b32 vcc_lo, s0, exec_lo
	s_cselect_b32 s13, s1, s5
	s_lshr_b32 s15, s16, 16
	s_xor_b32 s6, s0, -1
	s_mul_i32 s15, s15, s17
	v_mov_b32_e32 v5, s13
	v_mul_lo_u32 v1, s15, v16
	s_delay_alu instid0(VALU_DEP_1) | instskip(SKIP_1) | instid1(VALU_DEP_2)
	v_mad_u32_u24 v1, v2, s17, v1
	v_dual_mov_b32 v2, s8 :: v_dual_mov_b32 v3, s9
	v_add_lshl_u32 v6, v1, v0, 3
	v_dual_mov_b32 v0, s4 :: v_dual_mov_b32 v1, s5
	ds_store_b64 v6, v[0:1] offset:20184
	ds_store_b64 v6, v[2:3] offset:13456
	v_add_nc_u32_e32 v4, 0x4ed8, v6
	v_add_nc_u32_e32 v0, 0x3490, v6
	s_delay_alu instid0(VALU_DEP_2)
	v_cndmask_b32_e64 v4, s4, v4, s0
	flat_load_b64 v[8:9], v[4:5]
	s_cbranch_vccnz .LBB188_2
; %bb.1:
	v_dual_mov_b32 v1, s4 :: v_dual_mov_b32 v2, s5
	flat_load_b64 v[10:11], v[1:2] offset:8
.LBB188_2:
	s_and_b32 s4, s0, exec_lo
	s_cselect_b32 s1, s1, s9
	v_cndmask_b32_e64 v0, s8, v0, s0
	v_dual_mov_b32 v1, s1 :: v_dual_mov_b32 v6, s10
	v_mov_b32_e32 v7, s11
	s_and_not1_b32 vcc_lo, exec_lo, s6
	flat_load_b64 v[4:5], v[0:1]
	s_cbranch_vccnz .LBB188_4
; %bb.3:
	v_dual_mov_b32 v0, s8 :: v_dual_mov_b32 v1, s9
	flat_load_b64 v[6:7], v[0:1] offset:8
.LBB188_4:
	s_waitcnt vmcnt(1) lgkmcnt(1)
	v_cmp_eq_f64_e32 vcc_lo, 0, v[8:9]
	v_cmp_eq_f64_e64 s0, 0, v[10:11]
	s_delay_alu instid0(VALU_DEP_1)
	s_and_b32 s4, vcc_lo, s0
	s_mov_b32 s0, -1
	s_and_saveexec_b32 s1, s4
	s_cbranch_execz .LBB188_6
; %bb.5:
	s_waitcnt vmcnt(0) lgkmcnt(0)
	v_cmp_neq_f64_e32 vcc_lo, 1.0, v[4:5]
	v_cmp_neq_f64_e64 s0, 0, v[6:7]
	s_delay_alu instid0(VALU_DEP_1) | instskip(NEXT) | instid1(SALU_CYCLE_1)
	s_or_b32 s0, vcc_lo, s0
	s_or_not1_b32 s0, s0, exec_lo
.LBB188_6:
	s_or_b32 exec_lo, exec_lo, s1
	s_and_saveexec_b32 s1, s0
	s_cbranch_execz .LBB188_43
; %bb.7:
	s_clause 0x1
	s_load_b128 s[4:7], s[2:3], 0x28
	s_load_b64 s[8:9], s[2:3], 0x38
	s_mov_b32 s13, 0
	s_delay_alu instid0(SALU_CYCLE_1)
	s_mov_b32 s15, s13
	s_waitcnt lgkmcnt(0)
	s_cmp_eq_u64 s[4:5], 0
	s_cbranch_scc1 .LBB188_9
; %bb.8:
	s_lshl_b64 s[0:1], s[12:13], 3
	s_delay_alu instid0(SALU_CYCLE_1)
	s_add_u32 s0, s4, s0
	s_addc_u32 s1, s5, s1
	s_load_b64 s[0:1], s[0:1], 0x0
	s_waitcnt lgkmcnt(0)
	s_sub_u32 s12, s0, s14
	s_subb_u32 s13, s1, 0
.LBB188_9:
	s_load_b32 s1, s[2:3], 0x8
	v_mul_u32_u24_e32 v0, 0x8d4, v16
	v_dual_mov_b32 v2, 0 :: v_dual_lshlrev_b32 v17, 4, v16
	v_mov_b32_e32 v3, 0
	s_delay_alu instid0(VALU_DEP_3) | instskip(NEXT) | instid1(VALU_DEP_1)
	v_lshrrev_b32_e32 v12, 16, v0
	v_mul_lo_u16 v0, v12, 29
	s_delay_alu instid0(VALU_DEP_1) | instskip(NEXT) | instid1(VALU_DEP_4)
	v_sub_nc_u16 v18, v16, v0
	v_dual_mov_b32 v0, v2 :: v_dual_mov_b32 v1, v3
	s_waitcnt lgkmcnt(0)
	s_cmp_eq_u32 s1, 1
	s_cselect_b32 s0, -1, 0
	s_cmp_lg_u32 s1, 1
	s_cselect_b32 s18, -1, 0
	s_lshl_b64 s[4:5], s[12:13], 3
	s_delay_alu instid0(SALU_CYCLE_1)
	s_add_u32 s6, s6, s4
	s_addc_u32 s7, s7, s5
	s_add_u32 s1, s6, 8
	s_addc_u32 s10, s7, 0
	s_add_u32 s4, s8, s4
	s_addc_u32 s5, s9, s5
	s_cmp_eq_u64 s[8:9], 0
	s_load_b64 s[8:9], s[2:3], 0x68
	s_cselect_b32 s5, s10, s5
	s_cselect_b32 s4, s1, s4
	s_load_b64 s[10:11], s[6:7], 0x0
	s_load_b64 s[16:17], s[4:5], 0x0
	s_waitcnt lgkmcnt(0)
	v_cmp_ge_i64_e64 s1, s[10:11], s[16:17]
	s_delay_alu instid0(VALU_DEP_1)
	s_and_b32 vcc_lo, exec_lo, s1
	s_cbranch_vccnz .LBB188_14
; %bb.10:
	s_clause 0x1
	s_load_b64 s[20:21], s[2:3], 0x50
	s_load_b128 s[4:7], s[2:3], 0x40
	v_and_b32_e32 v0, 0xffff, v18
	v_dual_mov_b32 v2, 0 :: v_dual_and_b32 v1, 0xffff, v12
	v_mov_b32_e32 v3, 0
	s_sub_u32 s2, s16, s14
	s_subb_u32 s3, s17, 0
	s_delay_alu instid0(VALU_DEP_2)
	v_cndmask_b32_e64 v0, v0, v1, s0
	s_sub_u32 s0, s10, s14
	s_subb_u32 s1, s11, 0
	s_mul_hi_u32 s16, s0, 0x3490
	s_mul_i32 s17, s1, 0x3490
	v_lshlrev_b32_e32 v0, 4, v0
	s_mul_i32 s19, s0, 0x3490
	s_add_i32 s16, s16, s17
	s_waitcnt lgkmcnt(0)
	s_delay_alu instid0(VALU_DEP_1) | instskip(NEXT) | instid1(VALU_DEP_1)
	v_add_co_u32 v12, s17, s20, v0
	v_add_co_ci_u32_e64 v13, null, s21, 0, s17
	s_add_u32 s17, s6, s19
	s_addc_u32 s16, s7, s16
	s_lshl_b64 s[6:7], s[10:11], 3
	s_lshl_b64 s[10:11], s[14:15], 3
	v_add_co_u32 v14, s15, s17, v17
	v_dual_mov_b32 v0, v2 :: v_dual_mov_b32 v1, v3
	v_add_co_ci_u32_e64 v15, null, s16, 0, s15
	s_sub_u32 s6, s6, s10
	s_subb_u32 s7, s7, s11
	s_add_u32 s4, s4, s6
	s_addc_u32 s5, s5, s7
	s_set_inst_prefetch_distance 0x1
	s_branch .LBB188_12
	.p2align	6
.LBB188_11:                             ;   in Loop: Header=BB188_12 Depth=1
	s_add_u32 s0, s0, 1
	s_addc_u32 s1, s1, 0
	s_add_u32 s4, s4, 8
	v_cmp_lt_i64_e64 s6, s[0:1], s[2:3]
	s_addc_u32 s5, s5, 0
	s_delay_alu instid0(VALU_DEP_1)
	s_and_b32 vcc_lo, exec_lo, s6
	s_cbranch_vccz .LBB188_14
.LBB188_12:                             ; =>This Inner Loop Header: Depth=1
	v_cmp_ge_i64_e64 s6, s[0:1], s[2:3]
	s_delay_alu instid0(VALU_DEP_1)
	s_and_b32 vcc_lo, exec_lo, s6
	s_cbranch_vccnz .LBB188_11
; %bb.13:                               ;   in Loop: Header=BB188_12 Depth=1
	s_load_b64 s[6:7], s[4:5], 0x0
	s_waitcnt lgkmcnt(0)
	s_sub_u32 s6, s6, s14
	s_delay_alu instid0(SALU_CYCLE_1) | instskip(SKIP_1) | instid1(VALU_DEP_1)
	v_mad_u64_u32 v[23:24], null, 0x1d0, s6, v[12:13]
	s_subb_u32 s6, s7, 0
	v_mov_b32_e32 v19, v24
	s_delay_alu instid0(VALU_DEP_1) | instskip(NEXT) | instid1(VALU_DEP_1)
	v_mad_u64_u32 v[20:21], null, 0x1d0, s6, v[19:20]
	v_mov_b32_e32 v24, v20
	global_load_b128 v[19:22], v[14:15], off
	global_load_b128 v[23:26], v[23:24], off
	v_add_co_u32 v14, vcc_lo, 0x3490, v14
	v_add_co_ci_u32_e32 v15, vcc_lo, 0, v15, vcc_lo
	s_waitcnt vmcnt(0)
	v_fma_f64 v[0:1], v[19:20], v[23:24], v[0:1]
	v_fma_f64 v[2:3], v[21:22], v[23:24], v[2:3]
	s_delay_alu instid0(VALU_DEP_2) | instskip(NEXT) | instid1(VALU_DEP_2)
	v_fma_f64 v[0:1], -v[21:22], v[25:26], v[0:1]
	v_fma_f64 v[2:3], v[19:20], v[25:26], v[2:3]
	s_branch .LBB188_11
.LBB188_14:
	s_set_inst_prefetch_distance 0x2
	s_and_b32 vcc_lo, exec_lo, s18
	ds_store_b128 v17, v[0:3]
	s_waitcnt vmcnt(0) lgkmcnt(0)
	s_barrier
	buffer_gl0_inv
	s_cbranch_vccz .LBB188_26
; %bb.15:
	s_mov_b32 s0, exec_lo
	v_cmpx_gt_u16_e32 13, v18
	s_cbranch_execz .LBB188_17
; %bb.16:
	ds_load_b128 v[12:15], v17 offset:256
	ds_load_b128 v[19:22], v17
	s_waitcnt lgkmcnt(0)
	v_add_f64 v[12:13], v[12:13], v[19:20]
	v_add_f64 v[14:15], v[14:15], v[21:22]
	ds_store_b128 v17, v[12:15]
.LBB188_17:
	s_or_b32 exec_lo, exec_lo, s0
	s_delay_alu instid0(SALU_CYCLE_1)
	s_mov_b32 s0, exec_lo
	s_waitcnt lgkmcnt(0)
	s_barrier
	buffer_gl0_inv
	v_cmpx_gt_u16_e32 8, v18
	s_cbranch_execz .LBB188_19
; %bb.18:
	ds_load_b128 v[12:15], v17 offset:128
	ds_load_b128 v[19:22], v17
	s_waitcnt lgkmcnt(0)
	v_add_f64 v[12:13], v[12:13], v[19:20]
	v_add_f64 v[14:15], v[14:15], v[21:22]
	ds_store_b128 v17, v[12:15]
.LBB188_19:
	s_or_b32 exec_lo, exec_lo, s0
	s_delay_alu instid0(SALU_CYCLE_1)
	s_mov_b32 s0, exec_lo
	s_waitcnt lgkmcnt(0)
	s_barrier
	buffer_gl0_inv
	;; [unrolled: 16-line block ×3, first 2 shown]
	v_cmpx_gt_u16_e32 2, v18
	s_cbranch_execz .LBB188_23
; %bb.22:
	ds_load_b128 v[12:15], v17
	ds_load_b128 v[18:21], v17 offset:32
	s_waitcnt lgkmcnt(0)
	v_add_f64 v[12:13], v[18:19], v[12:13]
	v_add_f64 v[14:15], v[20:21], v[14:15]
	ds_store_b128 v17, v[12:15]
.LBB188_23:
	s_or_b32 exec_lo, exec_lo, s0
	v_dual_mov_b32 v15, v3 :: v_dual_mov_b32 v14, v2
	v_dual_mov_b32 v13, v1 :: v_dual_mov_b32 v12, v0
	s_mov_b32 s0, exec_lo
	s_waitcnt lgkmcnt(0)
	s_barrier
	buffer_gl0_inv
	v_cmpx_gt_u32_e32 29, v16
	s_cbranch_execz .LBB188_25
; %bb.24:
	v_mul_u32_u24_e32 v12, 29, v16
	s_delay_alu instid0(VALU_DEP_1)
	v_lshlrev_b32_e32 v18, 4, v12
	ds_load_b128 v[12:15], v18
	ds_load_b128 v[18:21], v18 offset:16
	s_waitcnt lgkmcnt(0)
	v_add_f64 v[12:13], v[18:19], v[12:13]
	v_add_f64 v[14:15], v[20:21], v[14:15]
.LBB188_25:
	s_or_b32 exec_lo, exec_lo, s0
	s_branch .LBB188_38
.LBB188_26:
                                        ; implicit-def: $vgpr14_vgpr15
                                        ; implicit-def: $vgpr12_vgpr13
	s_cbranch_execz .LBB188_38
; %bb.27:
	s_mov_b32 s0, exec_lo
	v_cmpx_gt_u32_e32 0x179, v16
	s_cbranch_execz .LBB188_29
; %bb.28:
	ds_load_b128 v[12:15], v17 offset:7424
	ds_load_b128 v[18:21], v17
	s_waitcnt lgkmcnt(0)
	v_add_f64 v[12:13], v[12:13], v[18:19]
	v_add_f64 v[14:15], v[14:15], v[20:21]
	ds_store_b128 v17, v[12:15]
.LBB188_29:
	s_or_b32 exec_lo, exec_lo, s0
	s_delay_alu instid0(SALU_CYCLE_1)
	s_mov_b32 s0, exec_lo
	s_waitcnt lgkmcnt(0)
	s_barrier
	buffer_gl0_inv
	v_cmpx_gt_u32_e32 0xe8, v16
	s_cbranch_execz .LBB188_31
; %bb.30:
	ds_load_b128 v[12:15], v17 offset:3712
	ds_load_b128 v[18:21], v17
	s_waitcnt lgkmcnt(0)
	v_add_f64 v[12:13], v[12:13], v[18:19]
	v_add_f64 v[14:15], v[14:15], v[20:21]
	ds_store_b128 v17, v[12:15]
.LBB188_31:
	s_or_b32 exec_lo, exec_lo, s0
	s_delay_alu instid0(SALU_CYCLE_1)
	s_mov_b32 s0, exec_lo
	s_waitcnt lgkmcnt(0)
	s_barrier
	buffer_gl0_inv
	;; [unrolled: 16-line block ×3, first 2 shown]
	v_cmpx_gt_u32_e32 58, v16
	s_cbranch_execz .LBB188_35
; %bb.34:
	ds_load_b128 v[12:15], v17 offset:928
	ds_load_b128 v[18:21], v17
	s_waitcnt lgkmcnt(0)
	v_add_f64 v[12:13], v[12:13], v[18:19]
	v_add_f64 v[14:15], v[14:15], v[20:21]
	ds_store_b128 v17, v[12:15]
.LBB188_35:
	s_or_b32 exec_lo, exec_lo, s0
	s_delay_alu instid0(SALU_CYCLE_1)
	s_mov_b32 s0, exec_lo
	s_waitcnt lgkmcnt(0)
	buffer_gl0_inv
	v_cmpx_gt_u32_e32 29, v16
	s_cbranch_execz .LBB188_37
; %bb.36:
	ds_load_b128 v[0:3], v17 offset:464
	ds_load_b128 v[12:15], v17
	s_waitcnt lgkmcnt(0)
	v_add_f64 v[0:1], v[0:1], v[12:13]
	v_add_f64 v[2:3], v[2:3], v[14:15]
.LBB188_37:
	s_or_b32 exec_lo, exec_lo, s0
	s_delay_alu instid0(VALU_DEP_1) | instskip(NEXT) | instid1(VALU_DEP_3)
	v_dual_mov_b32 v15, v3 :: v_dual_mov_b32 v14, v2
	v_dual_mov_b32 v13, v1 :: v_dual_mov_b32 v12, v0
.LBB188_38:
	v_cmp_gt_u32_e32 vcc_lo, 29, v16
	s_and_b32 exec_lo, exec_lo, vcc_lo
	s_cbranch_execz .LBB188_43
; %bb.39:
	s_delay_alu instid0(VALU_DEP_2)
	v_mul_f64 v[0:1], v[14:15], -v[10:11]
	v_mul_f64 v[2:3], v[8:9], v[14:15]
	v_cmp_eq_f64_e32 vcc_lo, 0, v[4:5]
	v_cmp_eq_f64_e64 s0, 0, v[6:7]
	s_mul_hi_u32 s1, s12, 0x1d0
	s_mul_i32 s2, s12, 0x1d0
	s_delay_alu instid0(VALU_DEP_4) | instskip(NEXT) | instid1(VALU_DEP_4)
	v_fma_f64 v[0:1], v[8:9], v[12:13], v[0:1]
	v_fma_f64 v[2:3], v[10:11], v[12:13], v[2:3]
	s_delay_alu instid0(VALU_DEP_3) | instskip(SKIP_2) | instid1(SALU_CYCLE_1)
	s_and_b32 s3, vcc_lo, s0
	s_mul_i32 s0, s13, 0x1d0
	s_and_saveexec_b32 s4, s3
	s_xor_b32 s3, exec_lo, s4
	s_cbranch_execz .LBB188_41
; %bb.40:
	s_add_i32 s5, s1, s0
	s_add_u32 s4, s8, s2
	s_addc_u32 s5, s9, s5
                                        ; implicit-def: $vgpr4_vgpr5
                                        ; implicit-def: $vgpr6_vgpr7
	global_store_b128 v17, v[0:3], s[4:5]
                                        ; implicit-def: $vgpr17
                                        ; implicit-def: $vgpr0_vgpr1
.LBB188_41:
	s_and_not1_saveexec_b32 s3, s3
	s_cbranch_execz .LBB188_43
; %bb.42:
	s_add_i32 s1, s1, s0
	s_add_u32 s0, s8, s2
	s_addc_u32 s1, s9, s1
	global_load_b128 v[8:11], v17, s[0:1]
	s_waitcnt vmcnt(0)
	v_fma_f64 v[0:1], v[4:5], v[8:9], v[0:1]
	v_fma_f64 v[2:3], v[6:7], v[8:9], v[2:3]
	s_delay_alu instid0(VALU_DEP_2) | instskip(NEXT) | instid1(VALU_DEP_2)
	v_fma_f64 v[0:1], -v[6:7], v[10:11], v[0:1]
	v_fma_f64 v[2:3], v[4:5], v[10:11], v[2:3]
	global_store_b128 v17, v[0:3], s[0:1]
.LBB188_43:
	s_nop 0
	s_sendmsg sendmsg(MSG_DEALLOC_VGPRS)
	s_endpgm
	.section	.rodata,"a",@progbits
	.p2align	6, 0x0
	.amdhsa_kernel _ZN9rocsparseL20bsrxmvn_17_32_kernelILj29E21rocsparse_complex_numIdEllS2_S2_S2_EEvT2_20rocsparse_direction_NS_24const_host_device_scalarIT0_EES3_PKS3_PKT1_SC_S9_PKT3_PKT4_S7_PT5_21rocsparse_index_base_b
		.amdhsa_group_segment_fixed_size 26912
		.amdhsa_private_segment_fixed_size 0
		.amdhsa_kernarg_size 120
		.amdhsa_user_sgpr_count 15
		.amdhsa_user_sgpr_dispatch_ptr 1
		.amdhsa_user_sgpr_queue_ptr 0
		.amdhsa_user_sgpr_kernarg_segment_ptr 1
		.amdhsa_user_sgpr_dispatch_id 0
		.amdhsa_user_sgpr_private_segment_size 0
		.amdhsa_wavefront_size32 1
		.amdhsa_uses_dynamic_stack 0
		.amdhsa_enable_private_segment 0
		.amdhsa_system_sgpr_workgroup_id_x 1
		.amdhsa_system_sgpr_workgroup_id_y 0
		.amdhsa_system_sgpr_workgroup_id_z 0
		.amdhsa_system_sgpr_workgroup_info 0
		.amdhsa_system_vgpr_workitem_id 2
		.amdhsa_next_free_vgpr 27
		.amdhsa_next_free_sgpr 22
		.amdhsa_reserve_vcc 1
		.amdhsa_float_round_mode_32 0
		.amdhsa_float_round_mode_16_64 0
		.amdhsa_float_denorm_mode_32 3
		.amdhsa_float_denorm_mode_16_64 3
		.amdhsa_dx10_clamp 1
		.amdhsa_ieee_mode 1
		.amdhsa_fp16_overflow 0
		.amdhsa_workgroup_processor_mode 1
		.amdhsa_memory_ordered 1
		.amdhsa_forward_progress 0
		.amdhsa_shared_vgpr_count 0
		.amdhsa_exception_fp_ieee_invalid_op 0
		.amdhsa_exception_fp_denorm_src 0
		.amdhsa_exception_fp_ieee_div_zero 0
		.amdhsa_exception_fp_ieee_overflow 0
		.amdhsa_exception_fp_ieee_underflow 0
		.amdhsa_exception_fp_ieee_inexact 0
		.amdhsa_exception_int_div_zero 0
	.end_amdhsa_kernel
	.section	.text._ZN9rocsparseL20bsrxmvn_17_32_kernelILj29E21rocsparse_complex_numIdEllS2_S2_S2_EEvT2_20rocsparse_direction_NS_24const_host_device_scalarIT0_EES3_PKS3_PKT1_SC_S9_PKT3_PKT4_S7_PT5_21rocsparse_index_base_b,"axG",@progbits,_ZN9rocsparseL20bsrxmvn_17_32_kernelILj29E21rocsparse_complex_numIdEllS2_S2_S2_EEvT2_20rocsparse_direction_NS_24const_host_device_scalarIT0_EES3_PKS3_PKT1_SC_S9_PKT3_PKT4_S7_PT5_21rocsparse_index_base_b,comdat
.Lfunc_end188:
	.size	_ZN9rocsparseL20bsrxmvn_17_32_kernelILj29E21rocsparse_complex_numIdEllS2_S2_S2_EEvT2_20rocsparse_direction_NS_24const_host_device_scalarIT0_EES3_PKS3_PKT1_SC_S9_PKT3_PKT4_S7_PT5_21rocsparse_index_base_b, .Lfunc_end188-_ZN9rocsparseL20bsrxmvn_17_32_kernelILj29E21rocsparse_complex_numIdEllS2_S2_S2_EEvT2_20rocsparse_direction_NS_24const_host_device_scalarIT0_EES3_PKS3_PKT1_SC_S9_PKT3_PKT4_S7_PT5_21rocsparse_index_base_b
                                        ; -- End function
	.section	.AMDGPU.csdata,"",@progbits
; Kernel info:
; codeLenInByte = 2060
; NumSgprs: 24
; NumVgprs: 27
; ScratchSize: 0
; MemoryBound: 1
; FloatMode: 240
; IeeeMode: 1
; LDSByteSize: 26912 bytes/workgroup (compile time only)
; SGPRBlocks: 2
; VGPRBlocks: 3
; NumSGPRsForWavesPerEU: 24
; NumVGPRsForWavesPerEU: 27
; Occupancy: 14
; WaveLimiterHint : 1
; COMPUTE_PGM_RSRC2:SCRATCH_EN: 0
; COMPUTE_PGM_RSRC2:USER_SGPR: 15
; COMPUTE_PGM_RSRC2:TRAP_HANDLER: 0
; COMPUTE_PGM_RSRC2:TGID_X_EN: 1
; COMPUTE_PGM_RSRC2:TGID_Y_EN: 0
; COMPUTE_PGM_RSRC2:TGID_Z_EN: 0
; COMPUTE_PGM_RSRC2:TIDIG_COMP_CNT: 2
	.section	.text._ZN9rocsparseL20bsrxmvn_17_32_kernelILj30E21rocsparse_complex_numIdEllS2_S2_S2_EEvT2_20rocsparse_direction_NS_24const_host_device_scalarIT0_EES3_PKS3_PKT1_SC_S9_PKT3_PKT4_S7_PT5_21rocsparse_index_base_b,"axG",@progbits,_ZN9rocsparseL20bsrxmvn_17_32_kernelILj30E21rocsparse_complex_numIdEllS2_S2_S2_EEvT2_20rocsparse_direction_NS_24const_host_device_scalarIT0_EES3_PKS3_PKT1_SC_S9_PKT3_PKT4_S7_PT5_21rocsparse_index_base_b,comdat
	.globl	_ZN9rocsparseL20bsrxmvn_17_32_kernelILj30E21rocsparse_complex_numIdEllS2_S2_S2_EEvT2_20rocsparse_direction_NS_24const_host_device_scalarIT0_EES3_PKS3_PKT1_SC_S9_PKT3_PKT4_S7_PT5_21rocsparse_index_base_b ; -- Begin function _ZN9rocsparseL20bsrxmvn_17_32_kernelILj30E21rocsparse_complex_numIdEllS2_S2_S2_EEvT2_20rocsparse_direction_NS_24const_host_device_scalarIT0_EES3_PKS3_PKT1_SC_S9_PKT3_PKT4_S7_PT5_21rocsparse_index_base_b
	.p2align	8
	.type	_ZN9rocsparseL20bsrxmvn_17_32_kernelILj30E21rocsparse_complex_numIdEllS2_S2_S2_EEvT2_20rocsparse_direction_NS_24const_host_device_scalarIT0_EES3_PKS3_PKT1_SC_S9_PKT3_PKT4_S7_PT5_21rocsparse_index_base_b,@function
_ZN9rocsparseL20bsrxmvn_17_32_kernelILj30E21rocsparse_complex_numIdEllS2_S2_S2_EEvT2_20rocsparse_direction_NS_24const_host_device_scalarIT0_EES3_PKS3_PKT1_SC_S9_PKT3_PKT4_S7_PT5_21rocsparse_index_base_b: ; @_ZN9rocsparseL20bsrxmvn_17_32_kernelILj30E21rocsparse_complex_numIdEllS2_S2_S2_EEvT2_20rocsparse_direction_NS_24const_host_device_scalarIT0_EES3_PKS3_PKT1_SC_S9_PKT3_PKT4_S7_PT5_21rocsparse_index_base_b
; %bb.0:
	s_mov_b32 s12, s15
	s_clause 0x1
	s_load_b64 s[14:15], s[2:3], 0x70
	s_load_b128 s[4:7], s[2:3], 0x10
	s_load_b64 s[16:17], s[0:1], 0x4
	s_mov_b64 s[0:1], src_shared_base
	v_and_b32_e32 v16, 0x3ff, v0
	s_load_b128 s[8:11], s[2:3], 0x58
	v_bfe_u32 v2, v0, 10, 10
	v_bfe_u32 v0, v0, 20, 10
	s_waitcnt lgkmcnt(0)
	s_bitcmp1_b32 s15, 0
	v_mov_b32_e32 v11, s7
	s_cselect_b32 s0, -1, 0
	v_mov_b32_e32 v10, s6
	s_and_b32 vcc_lo, s0, exec_lo
	s_cselect_b32 s13, s1, s5
	s_lshr_b32 s15, s16, 16
	s_xor_b32 s6, s0, -1
	s_mul_i32 s15, s15, s17
	v_mov_b32_e32 v5, s13
	v_mul_lo_u32 v1, s15, v16
	s_delay_alu instid0(VALU_DEP_1) | instskip(SKIP_1) | instid1(VALU_DEP_2)
	v_mad_u32_u24 v1, v2, s17, v1
	v_dual_mov_b32 v2, s8 :: v_dual_mov_b32 v3, s9
	v_add_lshl_u32 v6, v1, v0, 3
	v_dual_mov_b32 v0, s4 :: v_dual_mov_b32 v1, s5
	ds_store_b64 v6, v[0:1] offset:21600
	ds_store_b64 v6, v[2:3] offset:14400
	v_add_nc_u32_e32 v4, 0x5460, v6
	v_add_nc_u32_e32 v0, 0x3840, v6
	s_delay_alu instid0(VALU_DEP_2)
	v_cndmask_b32_e64 v4, s4, v4, s0
	flat_load_b64 v[8:9], v[4:5]
	s_cbranch_vccnz .LBB189_2
; %bb.1:
	v_dual_mov_b32 v1, s4 :: v_dual_mov_b32 v2, s5
	flat_load_b64 v[10:11], v[1:2] offset:8
.LBB189_2:
	s_and_b32 s4, s0, exec_lo
	s_cselect_b32 s1, s1, s9
	v_cndmask_b32_e64 v0, s8, v0, s0
	v_dual_mov_b32 v1, s1 :: v_dual_mov_b32 v6, s10
	v_mov_b32_e32 v7, s11
	s_and_not1_b32 vcc_lo, exec_lo, s6
	flat_load_b64 v[4:5], v[0:1]
	s_cbranch_vccnz .LBB189_4
; %bb.3:
	v_dual_mov_b32 v0, s8 :: v_dual_mov_b32 v1, s9
	flat_load_b64 v[6:7], v[0:1] offset:8
.LBB189_4:
	s_waitcnt vmcnt(1) lgkmcnt(1)
	v_cmp_eq_f64_e32 vcc_lo, 0, v[8:9]
	v_cmp_eq_f64_e64 s0, 0, v[10:11]
	s_delay_alu instid0(VALU_DEP_1)
	s_and_b32 s4, vcc_lo, s0
	s_mov_b32 s0, -1
	s_and_saveexec_b32 s1, s4
	s_cbranch_execz .LBB189_6
; %bb.5:
	s_waitcnt vmcnt(0) lgkmcnt(0)
	v_cmp_neq_f64_e32 vcc_lo, 1.0, v[4:5]
	v_cmp_neq_f64_e64 s0, 0, v[6:7]
	s_delay_alu instid0(VALU_DEP_1) | instskip(NEXT) | instid1(SALU_CYCLE_1)
	s_or_b32 s0, vcc_lo, s0
	s_or_not1_b32 s0, s0, exec_lo
.LBB189_6:
	s_or_b32 exec_lo, exec_lo, s1
	s_and_saveexec_b32 s1, s0
	s_cbranch_execz .LBB189_43
; %bb.7:
	s_clause 0x1
	s_load_b128 s[4:7], s[2:3], 0x28
	s_load_b64 s[8:9], s[2:3], 0x38
	s_mov_b32 s13, 0
	s_delay_alu instid0(SALU_CYCLE_1)
	s_mov_b32 s15, s13
	s_waitcnt lgkmcnt(0)
	s_cmp_eq_u64 s[4:5], 0
	s_cbranch_scc1 .LBB189_9
; %bb.8:
	s_lshl_b64 s[0:1], s[12:13], 3
	s_delay_alu instid0(SALU_CYCLE_1)
	s_add_u32 s0, s4, s0
	s_addc_u32 s1, s5, s1
	s_load_b64 s[0:1], s[0:1], 0x0
	s_waitcnt lgkmcnt(0)
	s_sub_u32 s12, s0, s14
	s_subb_u32 s13, s1, 0
.LBB189_9:
	s_load_b32 s1, s[2:3], 0x8
	v_mul_u32_u24_e32 v0, 0x889, v16
	v_dual_mov_b32 v2, 0 :: v_dual_lshlrev_b32 v17, 4, v16
	v_mov_b32_e32 v3, 0
	s_delay_alu instid0(VALU_DEP_3) | instskip(NEXT) | instid1(VALU_DEP_1)
	v_lshrrev_b32_e32 v12, 16, v0
	v_mul_lo_u16 v0, v12, 30
	s_delay_alu instid0(VALU_DEP_1) | instskip(NEXT) | instid1(VALU_DEP_4)
	v_sub_nc_u16 v18, v16, v0
	v_dual_mov_b32 v0, v2 :: v_dual_mov_b32 v1, v3
	s_waitcnt lgkmcnt(0)
	s_cmp_eq_u32 s1, 1
	s_cselect_b32 s0, -1, 0
	s_cmp_lg_u32 s1, 1
	s_cselect_b32 s18, -1, 0
	s_lshl_b64 s[4:5], s[12:13], 3
	s_delay_alu instid0(SALU_CYCLE_1)
	s_add_u32 s6, s6, s4
	s_addc_u32 s7, s7, s5
	s_add_u32 s1, s6, 8
	s_addc_u32 s10, s7, 0
	;; [unrolled: 2-line block ×3, first 2 shown]
	s_cmp_eq_u64 s[8:9], 0
	s_load_b64 s[8:9], s[2:3], 0x68
	s_cselect_b32 s5, s10, s5
	s_cselect_b32 s4, s1, s4
	s_load_b64 s[10:11], s[6:7], 0x0
	s_load_b64 s[16:17], s[4:5], 0x0
	s_waitcnt lgkmcnt(0)
	v_cmp_ge_i64_e64 s1, s[10:11], s[16:17]
	s_delay_alu instid0(VALU_DEP_1)
	s_and_b32 vcc_lo, exec_lo, s1
	s_cbranch_vccnz .LBB189_14
; %bb.10:
	s_clause 0x1
	s_load_b64 s[20:21], s[2:3], 0x50
	s_load_b128 s[4:7], s[2:3], 0x40
	v_and_b32_e32 v0, 0xffff, v18
	v_dual_mov_b32 v2, 0 :: v_dual_and_b32 v1, 0xffff, v12
	v_mov_b32_e32 v3, 0
	s_sub_u32 s2, s16, s14
	s_subb_u32 s3, s17, 0
	s_delay_alu instid0(VALU_DEP_2)
	v_cndmask_b32_e64 v0, v0, v1, s0
	s_sub_u32 s0, s10, s14
	s_subb_u32 s1, s11, 0
	s_mul_hi_u32 s16, s0, 0x3840
	s_mul_i32 s17, s1, 0x3840
	v_lshlrev_b32_e32 v0, 4, v0
	s_mul_i32 s19, s0, 0x3840
	s_add_i32 s16, s16, s17
	s_waitcnt lgkmcnt(0)
	s_delay_alu instid0(VALU_DEP_1) | instskip(NEXT) | instid1(VALU_DEP_1)
	v_add_co_u32 v12, s17, s20, v0
	v_add_co_ci_u32_e64 v13, null, s21, 0, s17
	s_add_u32 s17, s6, s19
	s_addc_u32 s16, s7, s16
	s_lshl_b64 s[6:7], s[10:11], 3
	s_lshl_b64 s[10:11], s[14:15], 3
	v_add_co_u32 v14, s15, s17, v17
	v_dual_mov_b32 v0, v2 :: v_dual_mov_b32 v1, v3
	v_add_co_ci_u32_e64 v15, null, s16, 0, s15
	s_sub_u32 s6, s6, s10
	s_subb_u32 s7, s7, s11
	s_add_u32 s4, s4, s6
	s_addc_u32 s5, s5, s7
	s_set_inst_prefetch_distance 0x1
	s_branch .LBB189_12
	.p2align	6
.LBB189_11:                             ;   in Loop: Header=BB189_12 Depth=1
	s_add_u32 s0, s0, 1
	s_addc_u32 s1, s1, 0
	s_add_u32 s4, s4, 8
	v_cmp_lt_i64_e64 s6, s[0:1], s[2:3]
	s_addc_u32 s5, s5, 0
	s_delay_alu instid0(VALU_DEP_1)
	s_and_b32 vcc_lo, exec_lo, s6
	s_cbranch_vccz .LBB189_14
.LBB189_12:                             ; =>This Inner Loop Header: Depth=1
	v_cmp_ge_i64_e64 s6, s[0:1], s[2:3]
	s_delay_alu instid0(VALU_DEP_1)
	s_and_b32 vcc_lo, exec_lo, s6
	s_cbranch_vccnz .LBB189_11
; %bb.13:                               ;   in Loop: Header=BB189_12 Depth=1
	s_load_b64 s[6:7], s[4:5], 0x0
	s_waitcnt lgkmcnt(0)
	s_sub_u32 s6, s6, s14
	s_delay_alu instid0(SALU_CYCLE_1) | instskip(SKIP_1) | instid1(VALU_DEP_1)
	v_mad_u64_u32 v[23:24], null, 0x1e0, s6, v[12:13]
	s_subb_u32 s6, s7, 0
	v_mov_b32_e32 v19, v24
	s_delay_alu instid0(VALU_DEP_1) | instskip(NEXT) | instid1(VALU_DEP_1)
	v_mad_u64_u32 v[20:21], null, 0x1e0, s6, v[19:20]
	v_mov_b32_e32 v24, v20
	global_load_b128 v[19:22], v[14:15], off
	global_load_b128 v[23:26], v[23:24], off
	v_add_co_u32 v14, vcc_lo, 0x3840, v14
	v_add_co_ci_u32_e32 v15, vcc_lo, 0, v15, vcc_lo
	s_waitcnt vmcnt(0)
	v_fma_f64 v[0:1], v[19:20], v[23:24], v[0:1]
	v_fma_f64 v[2:3], v[21:22], v[23:24], v[2:3]
	s_delay_alu instid0(VALU_DEP_2) | instskip(NEXT) | instid1(VALU_DEP_2)
	v_fma_f64 v[0:1], -v[21:22], v[25:26], v[0:1]
	v_fma_f64 v[2:3], v[19:20], v[25:26], v[2:3]
	s_branch .LBB189_11
.LBB189_14:
	s_set_inst_prefetch_distance 0x2
	s_and_b32 vcc_lo, exec_lo, s18
	ds_store_b128 v17, v[0:3]
	s_waitcnt vmcnt(0) lgkmcnt(0)
	s_barrier
	buffer_gl0_inv
	s_cbranch_vccz .LBB189_26
; %bb.15:
	s_mov_b32 s0, exec_lo
	v_cmpx_gt_u16_e32 14, v18
	s_cbranch_execz .LBB189_17
; %bb.16:
	ds_load_b128 v[12:15], v17 offset:256
	ds_load_b128 v[19:22], v17
	s_waitcnt lgkmcnt(0)
	v_add_f64 v[12:13], v[12:13], v[19:20]
	v_add_f64 v[14:15], v[14:15], v[21:22]
	ds_store_b128 v17, v[12:15]
.LBB189_17:
	s_or_b32 exec_lo, exec_lo, s0
	s_delay_alu instid0(SALU_CYCLE_1)
	s_mov_b32 s0, exec_lo
	s_waitcnt lgkmcnt(0)
	s_barrier
	buffer_gl0_inv
	v_cmpx_gt_u16_e32 8, v18
	s_cbranch_execz .LBB189_19
; %bb.18:
	ds_load_b128 v[12:15], v17 offset:128
	ds_load_b128 v[19:22], v17
	s_waitcnt lgkmcnt(0)
	v_add_f64 v[12:13], v[12:13], v[19:20]
	v_add_f64 v[14:15], v[14:15], v[21:22]
	ds_store_b128 v17, v[12:15]
.LBB189_19:
	s_or_b32 exec_lo, exec_lo, s0
	s_delay_alu instid0(SALU_CYCLE_1)
	s_mov_b32 s0, exec_lo
	s_waitcnt lgkmcnt(0)
	s_barrier
	buffer_gl0_inv
	;; [unrolled: 16-line block ×3, first 2 shown]
	v_cmpx_gt_u16_e32 2, v18
	s_cbranch_execz .LBB189_23
; %bb.22:
	ds_load_b128 v[12:15], v17
	ds_load_b128 v[18:21], v17 offset:32
	s_waitcnt lgkmcnt(0)
	v_add_f64 v[12:13], v[18:19], v[12:13]
	v_add_f64 v[14:15], v[20:21], v[14:15]
	ds_store_b128 v17, v[12:15]
.LBB189_23:
	s_or_b32 exec_lo, exec_lo, s0
	v_dual_mov_b32 v15, v3 :: v_dual_mov_b32 v14, v2
	v_dual_mov_b32 v13, v1 :: v_dual_mov_b32 v12, v0
	s_mov_b32 s0, exec_lo
	s_waitcnt lgkmcnt(0)
	s_barrier
	buffer_gl0_inv
	v_cmpx_gt_u32_e32 30, v16
	s_cbranch_execz .LBB189_25
; %bb.24:
	v_mul_u32_u24_e32 v12, 30, v16
	s_delay_alu instid0(VALU_DEP_1)
	v_lshlrev_b32_e32 v18, 4, v12
	ds_load_b128 v[12:15], v18
	ds_load_b128 v[18:21], v18 offset:16
	s_waitcnt lgkmcnt(0)
	v_add_f64 v[12:13], v[18:19], v[12:13]
	v_add_f64 v[14:15], v[20:21], v[14:15]
.LBB189_25:
	s_or_b32 exec_lo, exec_lo, s0
	s_branch .LBB189_38
.LBB189_26:
                                        ; implicit-def: $vgpr14_vgpr15
                                        ; implicit-def: $vgpr12_vgpr13
	s_cbranch_execz .LBB189_38
; %bb.27:
	s_mov_b32 s0, exec_lo
	v_cmpx_gt_u32_e32 0x1a4, v16
	s_cbranch_execz .LBB189_29
; %bb.28:
	ds_load_b128 v[12:15], v17 offset:7680
	ds_load_b128 v[18:21], v17
	s_waitcnt lgkmcnt(0)
	v_add_f64 v[12:13], v[12:13], v[18:19]
	v_add_f64 v[14:15], v[14:15], v[20:21]
	ds_store_b128 v17, v[12:15]
.LBB189_29:
	s_or_b32 exec_lo, exec_lo, s0
	s_delay_alu instid0(SALU_CYCLE_1)
	s_mov_b32 s0, exec_lo
	s_waitcnt lgkmcnt(0)
	s_barrier
	buffer_gl0_inv
	v_cmpx_gt_u32_e32 0xf0, v16
	s_cbranch_execz .LBB189_31
; %bb.30:
	ds_load_b128 v[12:15], v17 offset:3840
	ds_load_b128 v[18:21], v17
	s_waitcnt lgkmcnt(0)
	v_add_f64 v[12:13], v[12:13], v[18:19]
	v_add_f64 v[14:15], v[14:15], v[20:21]
	ds_store_b128 v17, v[12:15]
.LBB189_31:
	s_or_b32 exec_lo, exec_lo, s0
	s_delay_alu instid0(SALU_CYCLE_1)
	s_mov_b32 s0, exec_lo
	s_waitcnt lgkmcnt(0)
	s_barrier
	buffer_gl0_inv
	;; [unrolled: 16-line block ×3, first 2 shown]
	v_cmpx_gt_u32_e32 60, v16
	s_cbranch_execz .LBB189_35
; %bb.34:
	ds_load_b128 v[12:15], v17 offset:960
	ds_load_b128 v[18:21], v17
	s_waitcnt lgkmcnt(0)
	v_add_f64 v[12:13], v[12:13], v[18:19]
	v_add_f64 v[14:15], v[14:15], v[20:21]
	ds_store_b128 v17, v[12:15]
.LBB189_35:
	s_or_b32 exec_lo, exec_lo, s0
	s_delay_alu instid0(SALU_CYCLE_1)
	s_mov_b32 s0, exec_lo
	s_waitcnt lgkmcnt(0)
	buffer_gl0_inv
	v_cmpx_gt_u32_e32 30, v16
	s_cbranch_execz .LBB189_37
; %bb.36:
	ds_load_b128 v[0:3], v17 offset:480
	ds_load_b128 v[12:15], v17
	s_waitcnt lgkmcnt(0)
	v_add_f64 v[0:1], v[0:1], v[12:13]
	v_add_f64 v[2:3], v[2:3], v[14:15]
.LBB189_37:
	s_or_b32 exec_lo, exec_lo, s0
	s_delay_alu instid0(VALU_DEP_1) | instskip(NEXT) | instid1(VALU_DEP_3)
	v_dual_mov_b32 v15, v3 :: v_dual_mov_b32 v14, v2
	v_dual_mov_b32 v13, v1 :: v_dual_mov_b32 v12, v0
.LBB189_38:
	v_cmp_gt_u32_e32 vcc_lo, 30, v16
	s_and_b32 exec_lo, exec_lo, vcc_lo
	s_cbranch_execz .LBB189_43
; %bb.39:
	s_delay_alu instid0(VALU_DEP_2)
	v_mul_f64 v[0:1], v[14:15], -v[10:11]
	v_mul_f64 v[2:3], v[8:9], v[14:15]
	v_cmp_eq_f64_e32 vcc_lo, 0, v[4:5]
	v_cmp_eq_f64_e64 s0, 0, v[6:7]
	s_mul_hi_u32 s1, s12, 0x1e0
	s_mul_i32 s2, s12, 0x1e0
	s_delay_alu instid0(VALU_DEP_4) | instskip(NEXT) | instid1(VALU_DEP_4)
	v_fma_f64 v[0:1], v[8:9], v[12:13], v[0:1]
	v_fma_f64 v[2:3], v[10:11], v[12:13], v[2:3]
	s_delay_alu instid0(VALU_DEP_3) | instskip(SKIP_2) | instid1(SALU_CYCLE_1)
	s_and_b32 s3, vcc_lo, s0
	s_mul_i32 s0, s13, 0x1e0
	s_and_saveexec_b32 s4, s3
	s_xor_b32 s3, exec_lo, s4
	s_cbranch_execz .LBB189_41
; %bb.40:
	s_add_i32 s5, s1, s0
	s_add_u32 s4, s8, s2
	s_addc_u32 s5, s9, s5
                                        ; implicit-def: $vgpr4_vgpr5
                                        ; implicit-def: $vgpr6_vgpr7
	global_store_b128 v17, v[0:3], s[4:5]
                                        ; implicit-def: $vgpr17
                                        ; implicit-def: $vgpr0_vgpr1
.LBB189_41:
	s_and_not1_saveexec_b32 s3, s3
	s_cbranch_execz .LBB189_43
; %bb.42:
	s_add_i32 s1, s1, s0
	s_add_u32 s0, s8, s2
	s_addc_u32 s1, s9, s1
	global_load_b128 v[8:11], v17, s[0:1]
	s_waitcnt vmcnt(0)
	v_fma_f64 v[0:1], v[4:5], v[8:9], v[0:1]
	v_fma_f64 v[2:3], v[6:7], v[8:9], v[2:3]
	s_delay_alu instid0(VALU_DEP_2) | instskip(NEXT) | instid1(VALU_DEP_2)
	v_fma_f64 v[0:1], -v[6:7], v[10:11], v[0:1]
	v_fma_f64 v[2:3], v[4:5], v[10:11], v[2:3]
	global_store_b128 v17, v[0:3], s[0:1]
.LBB189_43:
	s_nop 0
	s_sendmsg sendmsg(MSG_DEALLOC_VGPRS)
	s_endpgm
	.section	.rodata,"a",@progbits
	.p2align	6, 0x0
	.amdhsa_kernel _ZN9rocsparseL20bsrxmvn_17_32_kernelILj30E21rocsparse_complex_numIdEllS2_S2_S2_EEvT2_20rocsparse_direction_NS_24const_host_device_scalarIT0_EES3_PKS3_PKT1_SC_S9_PKT3_PKT4_S7_PT5_21rocsparse_index_base_b
		.amdhsa_group_segment_fixed_size 28800
		.amdhsa_private_segment_fixed_size 0
		.amdhsa_kernarg_size 120
		.amdhsa_user_sgpr_count 15
		.amdhsa_user_sgpr_dispatch_ptr 1
		.amdhsa_user_sgpr_queue_ptr 0
		.amdhsa_user_sgpr_kernarg_segment_ptr 1
		.amdhsa_user_sgpr_dispatch_id 0
		.amdhsa_user_sgpr_private_segment_size 0
		.amdhsa_wavefront_size32 1
		.amdhsa_uses_dynamic_stack 0
		.amdhsa_enable_private_segment 0
		.amdhsa_system_sgpr_workgroup_id_x 1
		.amdhsa_system_sgpr_workgroup_id_y 0
		.amdhsa_system_sgpr_workgroup_id_z 0
		.amdhsa_system_sgpr_workgroup_info 0
		.amdhsa_system_vgpr_workitem_id 2
		.amdhsa_next_free_vgpr 27
		.amdhsa_next_free_sgpr 22
		.amdhsa_reserve_vcc 1
		.amdhsa_float_round_mode_32 0
		.amdhsa_float_round_mode_16_64 0
		.amdhsa_float_denorm_mode_32 3
		.amdhsa_float_denorm_mode_16_64 3
		.amdhsa_dx10_clamp 1
		.amdhsa_ieee_mode 1
		.amdhsa_fp16_overflow 0
		.amdhsa_workgroup_processor_mode 1
		.amdhsa_memory_ordered 1
		.amdhsa_forward_progress 0
		.amdhsa_shared_vgpr_count 0
		.amdhsa_exception_fp_ieee_invalid_op 0
		.amdhsa_exception_fp_denorm_src 0
		.amdhsa_exception_fp_ieee_div_zero 0
		.amdhsa_exception_fp_ieee_overflow 0
		.amdhsa_exception_fp_ieee_underflow 0
		.amdhsa_exception_fp_ieee_inexact 0
		.amdhsa_exception_int_div_zero 0
	.end_amdhsa_kernel
	.section	.text._ZN9rocsparseL20bsrxmvn_17_32_kernelILj30E21rocsparse_complex_numIdEllS2_S2_S2_EEvT2_20rocsparse_direction_NS_24const_host_device_scalarIT0_EES3_PKS3_PKT1_SC_S9_PKT3_PKT4_S7_PT5_21rocsparse_index_base_b,"axG",@progbits,_ZN9rocsparseL20bsrxmvn_17_32_kernelILj30E21rocsparse_complex_numIdEllS2_S2_S2_EEvT2_20rocsparse_direction_NS_24const_host_device_scalarIT0_EES3_PKS3_PKT1_SC_S9_PKT3_PKT4_S7_PT5_21rocsparse_index_base_b,comdat
.Lfunc_end189:
	.size	_ZN9rocsparseL20bsrxmvn_17_32_kernelILj30E21rocsparse_complex_numIdEllS2_S2_S2_EEvT2_20rocsparse_direction_NS_24const_host_device_scalarIT0_EES3_PKS3_PKT1_SC_S9_PKT3_PKT4_S7_PT5_21rocsparse_index_base_b, .Lfunc_end189-_ZN9rocsparseL20bsrxmvn_17_32_kernelILj30E21rocsparse_complex_numIdEllS2_S2_S2_EEvT2_20rocsparse_direction_NS_24const_host_device_scalarIT0_EES3_PKS3_PKT1_SC_S9_PKT3_PKT4_S7_PT5_21rocsparse_index_base_b
                                        ; -- End function
	.section	.AMDGPU.csdata,"",@progbits
; Kernel info:
; codeLenInByte = 2060
; NumSgprs: 24
; NumVgprs: 27
; ScratchSize: 0
; MemoryBound: 1
; FloatMode: 240
; IeeeMode: 1
; LDSByteSize: 28800 bytes/workgroup (compile time only)
; SGPRBlocks: 2
; VGPRBlocks: 3
; NumSGPRsForWavesPerEU: 24
; NumVGPRsForWavesPerEU: 27
; Occupancy: 15
; WaveLimiterHint : 1
; COMPUTE_PGM_RSRC2:SCRATCH_EN: 0
; COMPUTE_PGM_RSRC2:USER_SGPR: 15
; COMPUTE_PGM_RSRC2:TRAP_HANDLER: 0
; COMPUTE_PGM_RSRC2:TGID_X_EN: 1
; COMPUTE_PGM_RSRC2:TGID_Y_EN: 0
; COMPUTE_PGM_RSRC2:TGID_Z_EN: 0
; COMPUTE_PGM_RSRC2:TIDIG_COMP_CNT: 2
	.section	.text._ZN9rocsparseL20bsrxmvn_17_32_kernelILj31E21rocsparse_complex_numIdEllS2_S2_S2_EEvT2_20rocsparse_direction_NS_24const_host_device_scalarIT0_EES3_PKS3_PKT1_SC_S9_PKT3_PKT4_S7_PT5_21rocsparse_index_base_b,"axG",@progbits,_ZN9rocsparseL20bsrxmvn_17_32_kernelILj31E21rocsparse_complex_numIdEllS2_S2_S2_EEvT2_20rocsparse_direction_NS_24const_host_device_scalarIT0_EES3_PKS3_PKT1_SC_S9_PKT3_PKT4_S7_PT5_21rocsparse_index_base_b,comdat
	.globl	_ZN9rocsparseL20bsrxmvn_17_32_kernelILj31E21rocsparse_complex_numIdEllS2_S2_S2_EEvT2_20rocsparse_direction_NS_24const_host_device_scalarIT0_EES3_PKS3_PKT1_SC_S9_PKT3_PKT4_S7_PT5_21rocsparse_index_base_b ; -- Begin function _ZN9rocsparseL20bsrxmvn_17_32_kernelILj31E21rocsparse_complex_numIdEllS2_S2_S2_EEvT2_20rocsparse_direction_NS_24const_host_device_scalarIT0_EES3_PKS3_PKT1_SC_S9_PKT3_PKT4_S7_PT5_21rocsparse_index_base_b
	.p2align	8
	.type	_ZN9rocsparseL20bsrxmvn_17_32_kernelILj31E21rocsparse_complex_numIdEllS2_S2_S2_EEvT2_20rocsparse_direction_NS_24const_host_device_scalarIT0_EES3_PKS3_PKT1_SC_S9_PKT3_PKT4_S7_PT5_21rocsparse_index_base_b,@function
_ZN9rocsparseL20bsrxmvn_17_32_kernelILj31E21rocsparse_complex_numIdEllS2_S2_S2_EEvT2_20rocsparse_direction_NS_24const_host_device_scalarIT0_EES3_PKS3_PKT1_SC_S9_PKT3_PKT4_S7_PT5_21rocsparse_index_base_b: ; @_ZN9rocsparseL20bsrxmvn_17_32_kernelILj31E21rocsparse_complex_numIdEllS2_S2_S2_EEvT2_20rocsparse_direction_NS_24const_host_device_scalarIT0_EES3_PKS3_PKT1_SC_S9_PKT3_PKT4_S7_PT5_21rocsparse_index_base_b
; %bb.0:
	s_mov_b32 s12, s15
	s_clause 0x1
	s_load_b64 s[14:15], s[2:3], 0x70
	s_load_b128 s[4:7], s[2:3], 0x10
	s_load_b64 s[16:17], s[0:1], 0x4
	s_mov_b64 s[0:1], src_shared_base
	v_and_b32_e32 v16, 0x3ff, v0
	s_load_b128 s[8:11], s[2:3], 0x58
	v_bfe_u32 v2, v0, 10, 10
	v_bfe_u32 v0, v0, 20, 10
	s_waitcnt lgkmcnt(0)
	s_bitcmp1_b32 s15, 0
	v_mov_b32_e32 v11, s7
	s_cselect_b32 s0, -1, 0
	v_mov_b32_e32 v10, s6
	s_and_b32 vcc_lo, s0, exec_lo
	s_cselect_b32 s13, s1, s5
	s_lshr_b32 s15, s16, 16
	s_xor_b32 s6, s0, -1
	s_mul_i32 s15, s15, s17
	v_mov_b32_e32 v5, s13
	v_mul_lo_u32 v1, s15, v16
	s_delay_alu instid0(VALU_DEP_1) | instskip(SKIP_1) | instid1(VALU_DEP_2)
	v_mad_u32_u24 v1, v2, s17, v1
	v_dual_mov_b32 v2, s8 :: v_dual_mov_b32 v3, s9
	v_add_lshl_u32 v6, v1, v0, 3
	v_dual_mov_b32 v0, s4 :: v_dual_mov_b32 v1, s5
	ds_store_b64 v6, v[0:1] offset:23064
	ds_store_b64 v6, v[2:3] offset:15376
	v_add_nc_u32_e32 v4, 0x5a18, v6
	v_add_nc_u32_e32 v0, 0x3c10, v6
	s_delay_alu instid0(VALU_DEP_2)
	v_cndmask_b32_e64 v4, s4, v4, s0
	flat_load_b64 v[8:9], v[4:5]
	s_cbranch_vccnz .LBB190_2
; %bb.1:
	v_dual_mov_b32 v1, s4 :: v_dual_mov_b32 v2, s5
	flat_load_b64 v[10:11], v[1:2] offset:8
.LBB190_2:
	s_and_b32 s4, s0, exec_lo
	s_cselect_b32 s1, s1, s9
	v_cndmask_b32_e64 v0, s8, v0, s0
	v_dual_mov_b32 v1, s1 :: v_dual_mov_b32 v6, s10
	v_mov_b32_e32 v7, s11
	s_and_not1_b32 vcc_lo, exec_lo, s6
	flat_load_b64 v[4:5], v[0:1]
	s_cbranch_vccnz .LBB190_4
; %bb.3:
	v_dual_mov_b32 v0, s8 :: v_dual_mov_b32 v1, s9
	flat_load_b64 v[6:7], v[0:1] offset:8
.LBB190_4:
	s_waitcnt vmcnt(1) lgkmcnt(1)
	v_cmp_eq_f64_e32 vcc_lo, 0, v[8:9]
	v_cmp_eq_f64_e64 s0, 0, v[10:11]
	s_delay_alu instid0(VALU_DEP_1)
	s_and_b32 s4, vcc_lo, s0
	s_mov_b32 s0, -1
	s_and_saveexec_b32 s1, s4
	s_cbranch_execz .LBB190_6
; %bb.5:
	s_waitcnt vmcnt(0) lgkmcnt(0)
	v_cmp_neq_f64_e32 vcc_lo, 1.0, v[4:5]
	v_cmp_neq_f64_e64 s0, 0, v[6:7]
	s_delay_alu instid0(VALU_DEP_1) | instskip(NEXT) | instid1(SALU_CYCLE_1)
	s_or_b32 s0, vcc_lo, s0
	s_or_not1_b32 s0, s0, exec_lo
.LBB190_6:
	s_or_b32 exec_lo, exec_lo, s1
	s_and_saveexec_b32 s1, s0
	s_cbranch_execz .LBB190_43
; %bb.7:
	s_clause 0x1
	s_load_b128 s[4:7], s[2:3], 0x28
	s_load_b64 s[8:9], s[2:3], 0x38
	s_mov_b32 s13, 0
	s_delay_alu instid0(SALU_CYCLE_1)
	s_mov_b32 s15, s13
	s_waitcnt lgkmcnt(0)
	s_cmp_eq_u64 s[4:5], 0
	s_cbranch_scc1 .LBB190_9
; %bb.8:
	s_lshl_b64 s[0:1], s[12:13], 3
	s_delay_alu instid0(SALU_CYCLE_1)
	s_add_u32 s0, s4, s0
	s_addc_u32 s1, s5, s1
	s_load_b64 s[0:1], s[0:1], 0x0
	s_waitcnt lgkmcnt(0)
	s_sub_u32 s12, s0, s14
	s_subb_u32 s13, s1, 0
.LBB190_9:
	s_load_b32 s1, s[2:3], 0x8
	v_mul_u32_u24_e32 v0, 0x843, v16
	v_dual_mov_b32 v2, 0 :: v_dual_lshlrev_b32 v17, 4, v16
	v_mov_b32_e32 v3, 0
	s_delay_alu instid0(VALU_DEP_3) | instskip(NEXT) | instid1(VALU_DEP_1)
	v_lshrrev_b32_e32 v12, 16, v0
	v_mul_lo_u16 v0, v12, 31
	s_delay_alu instid0(VALU_DEP_1) | instskip(NEXT) | instid1(VALU_DEP_4)
	v_sub_nc_u16 v18, v16, v0
	v_dual_mov_b32 v0, v2 :: v_dual_mov_b32 v1, v3
	s_waitcnt lgkmcnt(0)
	s_cmp_eq_u32 s1, 1
	s_cselect_b32 s0, -1, 0
	s_cmp_lg_u32 s1, 1
	s_cselect_b32 s18, -1, 0
	s_lshl_b64 s[4:5], s[12:13], 3
	s_delay_alu instid0(SALU_CYCLE_1)
	s_add_u32 s6, s6, s4
	s_addc_u32 s7, s7, s5
	s_add_u32 s1, s6, 8
	s_addc_u32 s10, s7, 0
	;; [unrolled: 2-line block ×3, first 2 shown]
	s_cmp_eq_u64 s[8:9], 0
	s_load_b64 s[8:9], s[2:3], 0x68
	s_cselect_b32 s5, s10, s5
	s_cselect_b32 s4, s1, s4
	s_load_b64 s[10:11], s[6:7], 0x0
	s_load_b64 s[16:17], s[4:5], 0x0
	s_waitcnt lgkmcnt(0)
	v_cmp_ge_i64_e64 s1, s[10:11], s[16:17]
	s_delay_alu instid0(VALU_DEP_1)
	s_and_b32 vcc_lo, exec_lo, s1
	s_cbranch_vccnz .LBB190_14
; %bb.10:
	s_clause 0x1
	s_load_b64 s[20:21], s[2:3], 0x50
	s_load_b128 s[4:7], s[2:3], 0x40
	v_and_b32_e32 v0, 0xffff, v18
	v_dual_mov_b32 v2, 0 :: v_dual_and_b32 v1, 0xffff, v12
	v_mov_b32_e32 v3, 0
	s_sub_u32 s2, s16, s14
	s_subb_u32 s3, s17, 0
	s_delay_alu instid0(VALU_DEP_2)
	v_cndmask_b32_e64 v0, v0, v1, s0
	s_sub_u32 s0, s10, s14
	s_subb_u32 s1, s11, 0
	s_mul_hi_u32 s16, s0, 0x3c10
	s_mul_i32 s17, s1, 0x3c10
	v_lshlrev_b32_e32 v0, 4, v0
	s_mul_i32 s19, s0, 0x3c10
	s_add_i32 s16, s16, s17
	s_waitcnt lgkmcnt(0)
	s_delay_alu instid0(VALU_DEP_1) | instskip(NEXT) | instid1(VALU_DEP_1)
	v_add_co_u32 v12, s17, s20, v0
	v_add_co_ci_u32_e64 v13, null, s21, 0, s17
	s_add_u32 s17, s6, s19
	s_addc_u32 s16, s7, s16
	s_lshl_b64 s[6:7], s[10:11], 3
	s_lshl_b64 s[10:11], s[14:15], 3
	v_add_co_u32 v14, s15, s17, v17
	v_dual_mov_b32 v0, v2 :: v_dual_mov_b32 v1, v3
	v_add_co_ci_u32_e64 v15, null, s16, 0, s15
	s_sub_u32 s6, s6, s10
	s_subb_u32 s7, s7, s11
	s_add_u32 s4, s4, s6
	s_addc_u32 s5, s5, s7
	s_set_inst_prefetch_distance 0x1
	s_branch .LBB190_12
	.p2align	6
.LBB190_11:                             ;   in Loop: Header=BB190_12 Depth=1
	s_add_u32 s0, s0, 1
	s_addc_u32 s1, s1, 0
	s_add_u32 s4, s4, 8
	v_cmp_lt_i64_e64 s6, s[0:1], s[2:3]
	s_addc_u32 s5, s5, 0
	s_delay_alu instid0(VALU_DEP_1)
	s_and_b32 vcc_lo, exec_lo, s6
	s_cbranch_vccz .LBB190_14
.LBB190_12:                             ; =>This Inner Loop Header: Depth=1
	v_cmp_ge_i64_e64 s6, s[0:1], s[2:3]
	s_delay_alu instid0(VALU_DEP_1)
	s_and_b32 vcc_lo, exec_lo, s6
	s_cbranch_vccnz .LBB190_11
; %bb.13:                               ;   in Loop: Header=BB190_12 Depth=1
	s_load_b64 s[6:7], s[4:5], 0x0
	s_waitcnt lgkmcnt(0)
	s_sub_u32 s6, s6, s14
	s_delay_alu instid0(SALU_CYCLE_1) | instskip(SKIP_1) | instid1(VALU_DEP_1)
	v_mad_u64_u32 v[23:24], null, 0x1f0, s6, v[12:13]
	s_subb_u32 s6, s7, 0
	v_mov_b32_e32 v19, v24
	s_delay_alu instid0(VALU_DEP_1) | instskip(NEXT) | instid1(VALU_DEP_1)
	v_mad_u64_u32 v[20:21], null, 0x1f0, s6, v[19:20]
	v_mov_b32_e32 v24, v20
	global_load_b128 v[19:22], v[14:15], off
	global_load_b128 v[23:26], v[23:24], off
	v_add_co_u32 v14, vcc_lo, 0x3c10, v14
	v_add_co_ci_u32_e32 v15, vcc_lo, 0, v15, vcc_lo
	s_waitcnt vmcnt(0)
	v_fma_f64 v[0:1], v[19:20], v[23:24], v[0:1]
	v_fma_f64 v[2:3], v[21:22], v[23:24], v[2:3]
	s_delay_alu instid0(VALU_DEP_2) | instskip(NEXT) | instid1(VALU_DEP_2)
	v_fma_f64 v[0:1], -v[21:22], v[25:26], v[0:1]
	v_fma_f64 v[2:3], v[19:20], v[25:26], v[2:3]
	s_branch .LBB190_11
.LBB190_14:
	s_set_inst_prefetch_distance 0x2
	s_and_b32 vcc_lo, exec_lo, s18
	ds_store_b128 v17, v[0:3]
	s_waitcnt vmcnt(0) lgkmcnt(0)
	s_barrier
	buffer_gl0_inv
	s_cbranch_vccz .LBB190_26
; %bb.15:
	s_mov_b32 s0, exec_lo
	v_cmpx_gt_u16_e32 15, v18
	s_cbranch_execz .LBB190_17
; %bb.16:
	ds_load_b128 v[12:15], v17 offset:256
	ds_load_b128 v[19:22], v17
	s_waitcnt lgkmcnt(0)
	v_add_f64 v[12:13], v[12:13], v[19:20]
	v_add_f64 v[14:15], v[14:15], v[21:22]
	ds_store_b128 v17, v[12:15]
.LBB190_17:
	s_or_b32 exec_lo, exec_lo, s0
	s_delay_alu instid0(SALU_CYCLE_1)
	s_mov_b32 s0, exec_lo
	s_waitcnt lgkmcnt(0)
	s_barrier
	buffer_gl0_inv
	v_cmpx_gt_u16_e32 8, v18
	s_cbranch_execz .LBB190_19
; %bb.18:
	ds_load_b128 v[12:15], v17 offset:128
	ds_load_b128 v[19:22], v17
	s_waitcnt lgkmcnt(0)
	v_add_f64 v[12:13], v[12:13], v[19:20]
	v_add_f64 v[14:15], v[14:15], v[21:22]
	ds_store_b128 v17, v[12:15]
.LBB190_19:
	s_or_b32 exec_lo, exec_lo, s0
	s_delay_alu instid0(SALU_CYCLE_1)
	s_mov_b32 s0, exec_lo
	s_waitcnt lgkmcnt(0)
	s_barrier
	buffer_gl0_inv
	;; [unrolled: 16-line block ×3, first 2 shown]
	v_cmpx_gt_u16_e32 2, v18
	s_cbranch_execz .LBB190_23
; %bb.22:
	ds_load_b128 v[12:15], v17
	ds_load_b128 v[18:21], v17 offset:32
	s_waitcnt lgkmcnt(0)
	v_add_f64 v[12:13], v[18:19], v[12:13]
	v_add_f64 v[14:15], v[20:21], v[14:15]
	ds_store_b128 v17, v[12:15]
.LBB190_23:
	s_or_b32 exec_lo, exec_lo, s0
	v_dual_mov_b32 v15, v3 :: v_dual_mov_b32 v14, v2
	v_dual_mov_b32 v13, v1 :: v_dual_mov_b32 v12, v0
	s_mov_b32 s0, exec_lo
	s_waitcnt lgkmcnt(0)
	s_barrier
	buffer_gl0_inv
	v_cmpx_gt_u32_e32 31, v16
	s_cbranch_execz .LBB190_25
; %bb.24:
	v_mul_u32_u24_e32 v12, 31, v16
	s_delay_alu instid0(VALU_DEP_1)
	v_lshlrev_b32_e32 v18, 4, v12
	ds_load_b128 v[12:15], v18
	ds_load_b128 v[18:21], v18 offset:16
	s_waitcnt lgkmcnt(0)
	v_add_f64 v[12:13], v[18:19], v[12:13]
	v_add_f64 v[14:15], v[20:21], v[14:15]
.LBB190_25:
	s_or_b32 exec_lo, exec_lo, s0
	s_branch .LBB190_38
.LBB190_26:
                                        ; implicit-def: $vgpr14_vgpr15
                                        ; implicit-def: $vgpr12_vgpr13
	s_cbranch_execz .LBB190_38
; %bb.27:
	s_mov_b32 s0, exec_lo
	v_cmpx_gt_u32_e32 0x1d1, v16
	s_cbranch_execz .LBB190_29
; %bb.28:
	ds_load_b128 v[12:15], v17 offset:7936
	ds_load_b128 v[18:21], v17
	s_waitcnt lgkmcnt(0)
	v_add_f64 v[12:13], v[12:13], v[18:19]
	v_add_f64 v[14:15], v[14:15], v[20:21]
	ds_store_b128 v17, v[12:15]
.LBB190_29:
	s_or_b32 exec_lo, exec_lo, s0
	s_delay_alu instid0(SALU_CYCLE_1)
	s_mov_b32 s0, exec_lo
	s_waitcnt lgkmcnt(0)
	s_barrier
	buffer_gl0_inv
	v_cmpx_gt_u32_e32 0xf8, v16
	s_cbranch_execz .LBB190_31
; %bb.30:
	ds_load_b128 v[12:15], v17 offset:3968
	ds_load_b128 v[18:21], v17
	s_waitcnt lgkmcnt(0)
	v_add_f64 v[12:13], v[12:13], v[18:19]
	v_add_f64 v[14:15], v[14:15], v[20:21]
	ds_store_b128 v17, v[12:15]
.LBB190_31:
	s_or_b32 exec_lo, exec_lo, s0
	s_delay_alu instid0(SALU_CYCLE_1)
	s_mov_b32 s0, exec_lo
	s_waitcnt lgkmcnt(0)
	s_barrier
	buffer_gl0_inv
	;; [unrolled: 16-line block ×3, first 2 shown]
	v_cmpx_gt_u32_e32 62, v16
	s_cbranch_execz .LBB190_35
; %bb.34:
	ds_load_b128 v[12:15], v17 offset:992
	ds_load_b128 v[18:21], v17
	s_waitcnt lgkmcnt(0)
	v_add_f64 v[12:13], v[12:13], v[18:19]
	v_add_f64 v[14:15], v[14:15], v[20:21]
	ds_store_b128 v17, v[12:15]
.LBB190_35:
	s_or_b32 exec_lo, exec_lo, s0
	s_delay_alu instid0(SALU_CYCLE_1)
	s_mov_b32 s0, exec_lo
	s_waitcnt lgkmcnt(0)
	buffer_gl0_inv
	v_cmpx_gt_u32_e32 31, v16
	s_cbranch_execz .LBB190_37
; %bb.36:
	ds_load_b128 v[0:3], v17 offset:496
	ds_load_b128 v[12:15], v17
	s_waitcnt lgkmcnt(0)
	v_add_f64 v[0:1], v[0:1], v[12:13]
	v_add_f64 v[2:3], v[2:3], v[14:15]
.LBB190_37:
	s_or_b32 exec_lo, exec_lo, s0
	s_delay_alu instid0(VALU_DEP_1) | instskip(NEXT) | instid1(VALU_DEP_3)
	v_dual_mov_b32 v15, v3 :: v_dual_mov_b32 v14, v2
	v_dual_mov_b32 v13, v1 :: v_dual_mov_b32 v12, v0
.LBB190_38:
	v_cmp_gt_u32_e32 vcc_lo, 31, v16
	s_and_b32 exec_lo, exec_lo, vcc_lo
	s_cbranch_execz .LBB190_43
; %bb.39:
	s_delay_alu instid0(VALU_DEP_2)
	v_mul_f64 v[0:1], v[14:15], -v[10:11]
	v_mul_f64 v[2:3], v[8:9], v[14:15]
	v_cmp_eq_f64_e32 vcc_lo, 0, v[4:5]
	v_cmp_eq_f64_e64 s0, 0, v[6:7]
	s_mul_hi_u32 s1, s12, 0x1f0
	s_mul_i32 s2, s12, 0x1f0
	s_delay_alu instid0(VALU_DEP_4) | instskip(NEXT) | instid1(VALU_DEP_4)
	v_fma_f64 v[0:1], v[8:9], v[12:13], v[0:1]
	v_fma_f64 v[2:3], v[10:11], v[12:13], v[2:3]
	s_delay_alu instid0(VALU_DEP_3) | instskip(SKIP_2) | instid1(SALU_CYCLE_1)
	s_and_b32 s3, vcc_lo, s0
	s_mul_i32 s0, s13, 0x1f0
	s_and_saveexec_b32 s4, s3
	s_xor_b32 s3, exec_lo, s4
	s_cbranch_execz .LBB190_41
; %bb.40:
	s_add_i32 s5, s1, s0
	s_add_u32 s4, s8, s2
	s_addc_u32 s5, s9, s5
                                        ; implicit-def: $vgpr4_vgpr5
                                        ; implicit-def: $vgpr6_vgpr7
	global_store_b128 v17, v[0:3], s[4:5]
                                        ; implicit-def: $vgpr17
                                        ; implicit-def: $vgpr0_vgpr1
.LBB190_41:
	s_and_not1_saveexec_b32 s3, s3
	s_cbranch_execz .LBB190_43
; %bb.42:
	s_add_i32 s1, s1, s0
	s_add_u32 s0, s8, s2
	s_addc_u32 s1, s9, s1
	global_load_b128 v[8:11], v17, s[0:1]
	s_waitcnt vmcnt(0)
	v_fma_f64 v[0:1], v[4:5], v[8:9], v[0:1]
	v_fma_f64 v[2:3], v[6:7], v[8:9], v[2:3]
	s_delay_alu instid0(VALU_DEP_2) | instskip(NEXT) | instid1(VALU_DEP_2)
	v_fma_f64 v[0:1], -v[6:7], v[10:11], v[0:1]
	v_fma_f64 v[2:3], v[4:5], v[10:11], v[2:3]
	global_store_b128 v17, v[0:3], s[0:1]
.LBB190_43:
	s_nop 0
	s_sendmsg sendmsg(MSG_DEALLOC_VGPRS)
	s_endpgm
	.section	.rodata,"a",@progbits
	.p2align	6, 0x0
	.amdhsa_kernel _ZN9rocsparseL20bsrxmvn_17_32_kernelILj31E21rocsparse_complex_numIdEllS2_S2_S2_EEvT2_20rocsparse_direction_NS_24const_host_device_scalarIT0_EES3_PKS3_PKT1_SC_S9_PKT3_PKT4_S7_PT5_21rocsparse_index_base_b
		.amdhsa_group_segment_fixed_size 30752
		.amdhsa_private_segment_fixed_size 0
		.amdhsa_kernarg_size 120
		.amdhsa_user_sgpr_count 15
		.amdhsa_user_sgpr_dispatch_ptr 1
		.amdhsa_user_sgpr_queue_ptr 0
		.amdhsa_user_sgpr_kernarg_segment_ptr 1
		.amdhsa_user_sgpr_dispatch_id 0
		.amdhsa_user_sgpr_private_segment_size 0
		.amdhsa_wavefront_size32 1
		.amdhsa_uses_dynamic_stack 0
		.amdhsa_enable_private_segment 0
		.amdhsa_system_sgpr_workgroup_id_x 1
		.amdhsa_system_sgpr_workgroup_id_y 0
		.amdhsa_system_sgpr_workgroup_id_z 0
		.amdhsa_system_sgpr_workgroup_info 0
		.amdhsa_system_vgpr_workitem_id 2
		.amdhsa_next_free_vgpr 27
		.amdhsa_next_free_sgpr 22
		.amdhsa_reserve_vcc 1
		.amdhsa_float_round_mode_32 0
		.amdhsa_float_round_mode_16_64 0
		.amdhsa_float_denorm_mode_32 3
		.amdhsa_float_denorm_mode_16_64 3
		.amdhsa_dx10_clamp 1
		.amdhsa_ieee_mode 1
		.amdhsa_fp16_overflow 0
		.amdhsa_workgroup_processor_mode 1
		.amdhsa_memory_ordered 1
		.amdhsa_forward_progress 0
		.amdhsa_shared_vgpr_count 0
		.amdhsa_exception_fp_ieee_invalid_op 0
		.amdhsa_exception_fp_denorm_src 0
		.amdhsa_exception_fp_ieee_div_zero 0
		.amdhsa_exception_fp_ieee_overflow 0
		.amdhsa_exception_fp_ieee_underflow 0
		.amdhsa_exception_fp_ieee_inexact 0
		.amdhsa_exception_int_div_zero 0
	.end_amdhsa_kernel
	.section	.text._ZN9rocsparseL20bsrxmvn_17_32_kernelILj31E21rocsparse_complex_numIdEllS2_S2_S2_EEvT2_20rocsparse_direction_NS_24const_host_device_scalarIT0_EES3_PKS3_PKT1_SC_S9_PKT3_PKT4_S7_PT5_21rocsparse_index_base_b,"axG",@progbits,_ZN9rocsparseL20bsrxmvn_17_32_kernelILj31E21rocsparse_complex_numIdEllS2_S2_S2_EEvT2_20rocsparse_direction_NS_24const_host_device_scalarIT0_EES3_PKS3_PKT1_SC_S9_PKT3_PKT4_S7_PT5_21rocsparse_index_base_b,comdat
.Lfunc_end190:
	.size	_ZN9rocsparseL20bsrxmvn_17_32_kernelILj31E21rocsparse_complex_numIdEllS2_S2_S2_EEvT2_20rocsparse_direction_NS_24const_host_device_scalarIT0_EES3_PKS3_PKT1_SC_S9_PKT3_PKT4_S7_PT5_21rocsparse_index_base_b, .Lfunc_end190-_ZN9rocsparseL20bsrxmvn_17_32_kernelILj31E21rocsparse_complex_numIdEllS2_S2_S2_EEvT2_20rocsparse_direction_NS_24const_host_device_scalarIT0_EES3_PKS3_PKT1_SC_S9_PKT3_PKT4_S7_PT5_21rocsparse_index_base_b
                                        ; -- End function
	.section	.AMDGPU.csdata,"",@progbits
; Kernel info:
; codeLenInByte = 2060
; NumSgprs: 24
; NumVgprs: 27
; ScratchSize: 0
; MemoryBound: 1
; FloatMode: 240
; IeeeMode: 1
; LDSByteSize: 30752 bytes/workgroup (compile time only)
; SGPRBlocks: 2
; VGPRBlocks: 3
; NumSGPRsForWavesPerEU: 24
; NumVGPRsForWavesPerEU: 27
; Occupancy: 16
; WaveLimiterHint : 1
; COMPUTE_PGM_RSRC2:SCRATCH_EN: 0
; COMPUTE_PGM_RSRC2:USER_SGPR: 15
; COMPUTE_PGM_RSRC2:TRAP_HANDLER: 0
; COMPUTE_PGM_RSRC2:TGID_X_EN: 1
; COMPUTE_PGM_RSRC2:TGID_Y_EN: 0
; COMPUTE_PGM_RSRC2:TGID_Z_EN: 0
; COMPUTE_PGM_RSRC2:TIDIG_COMP_CNT: 2
	.section	.text._ZN9rocsparseL20bsrxmvn_17_32_kernelILj32E21rocsparse_complex_numIdEllS2_S2_S2_EEvT2_20rocsparse_direction_NS_24const_host_device_scalarIT0_EES3_PKS3_PKT1_SC_S9_PKT3_PKT4_S7_PT5_21rocsparse_index_base_b,"axG",@progbits,_ZN9rocsparseL20bsrxmvn_17_32_kernelILj32E21rocsparse_complex_numIdEllS2_S2_S2_EEvT2_20rocsparse_direction_NS_24const_host_device_scalarIT0_EES3_PKS3_PKT1_SC_S9_PKT3_PKT4_S7_PT5_21rocsparse_index_base_b,comdat
	.globl	_ZN9rocsparseL20bsrxmvn_17_32_kernelILj32E21rocsparse_complex_numIdEllS2_S2_S2_EEvT2_20rocsparse_direction_NS_24const_host_device_scalarIT0_EES3_PKS3_PKT1_SC_S9_PKT3_PKT4_S7_PT5_21rocsparse_index_base_b ; -- Begin function _ZN9rocsparseL20bsrxmvn_17_32_kernelILj32E21rocsparse_complex_numIdEllS2_S2_S2_EEvT2_20rocsparse_direction_NS_24const_host_device_scalarIT0_EES3_PKS3_PKT1_SC_S9_PKT3_PKT4_S7_PT5_21rocsparse_index_base_b
	.p2align	8
	.type	_ZN9rocsparseL20bsrxmvn_17_32_kernelILj32E21rocsparse_complex_numIdEllS2_S2_S2_EEvT2_20rocsparse_direction_NS_24const_host_device_scalarIT0_EES3_PKS3_PKT1_SC_S9_PKT3_PKT4_S7_PT5_21rocsparse_index_base_b,@function
_ZN9rocsparseL20bsrxmvn_17_32_kernelILj32E21rocsparse_complex_numIdEllS2_S2_S2_EEvT2_20rocsparse_direction_NS_24const_host_device_scalarIT0_EES3_PKS3_PKT1_SC_S9_PKT3_PKT4_S7_PT5_21rocsparse_index_base_b: ; @_ZN9rocsparseL20bsrxmvn_17_32_kernelILj32E21rocsparse_complex_numIdEllS2_S2_S2_EEvT2_20rocsparse_direction_NS_24const_host_device_scalarIT0_EES3_PKS3_PKT1_SC_S9_PKT3_PKT4_S7_PT5_21rocsparse_index_base_b
; %bb.0:
	s_mov_b32 s12, s15
	s_clause 0x1
	s_load_b64 s[14:15], s[2:3], 0x70
	s_load_b128 s[4:7], s[2:3], 0x10
	s_load_b64 s[16:17], s[0:1], 0x4
	s_mov_b64 s[0:1], src_shared_base
	v_and_b32_e32 v16, 0x3ff, v0
	s_load_b128 s[8:11], s[2:3], 0x58
	v_bfe_u32 v2, v0, 10, 10
	v_bfe_u32 v0, v0, 20, 10
	s_waitcnt lgkmcnt(0)
	s_bitcmp1_b32 s15, 0
	v_mov_b32_e32 v11, s7
	s_cselect_b32 s0, -1, 0
	v_mov_b32_e32 v10, s6
	s_and_b32 vcc_lo, s0, exec_lo
	s_cselect_b32 s13, s1, s5
	s_lshr_b32 s15, s16, 16
	s_xor_b32 s6, s0, -1
	s_mul_i32 s15, s15, s17
	v_mov_b32_e32 v5, s13
	v_mul_lo_u32 v1, s15, v16
	s_delay_alu instid0(VALU_DEP_1) | instskip(SKIP_1) | instid1(VALU_DEP_2)
	v_mad_u32_u24 v1, v2, s17, v1
	v_dual_mov_b32 v2, s8 :: v_dual_mov_b32 v3, s9
	v_add_lshl_u32 v6, v1, v0, 3
	v_dual_mov_b32 v0, s4 :: v_dual_mov_b32 v1, s5
	s_delay_alu instid0(VALU_DEP_2)
	v_add_nc_u32_e32 v4, 0x6000, v6
	ds_store_2addr_stride64_b64 v6, v[2:3], v[0:1] offset0:32 offset1:48
	v_add_nc_u32_e32 v0, 0x4000, v6
	v_cndmask_b32_e64 v4, s4, v4, s0
	flat_load_b64 v[8:9], v[4:5]
	s_cbranch_vccnz .LBB191_2
; %bb.1:
	v_dual_mov_b32 v1, s4 :: v_dual_mov_b32 v2, s5
	flat_load_b64 v[10:11], v[1:2] offset:8
.LBB191_2:
	s_and_b32 s4, s0, exec_lo
	s_cselect_b32 s1, s1, s9
	v_cndmask_b32_e64 v0, s8, v0, s0
	v_dual_mov_b32 v1, s1 :: v_dual_mov_b32 v6, s10
	v_mov_b32_e32 v7, s11
	s_and_not1_b32 vcc_lo, exec_lo, s6
	flat_load_b64 v[4:5], v[0:1]
	s_cbranch_vccnz .LBB191_4
; %bb.3:
	v_dual_mov_b32 v0, s8 :: v_dual_mov_b32 v1, s9
	flat_load_b64 v[6:7], v[0:1] offset:8
.LBB191_4:
	s_waitcnt vmcnt(1) lgkmcnt(1)
	v_cmp_eq_f64_e32 vcc_lo, 0, v[8:9]
	v_cmp_eq_f64_e64 s0, 0, v[10:11]
	s_delay_alu instid0(VALU_DEP_1)
	s_and_b32 s4, vcc_lo, s0
	s_mov_b32 s0, -1
	s_and_saveexec_b32 s1, s4
	s_cbranch_execz .LBB191_6
; %bb.5:
	s_waitcnt vmcnt(0) lgkmcnt(0)
	v_cmp_neq_f64_e32 vcc_lo, 1.0, v[4:5]
	v_cmp_neq_f64_e64 s0, 0, v[6:7]
	s_delay_alu instid0(VALU_DEP_1) | instskip(NEXT) | instid1(SALU_CYCLE_1)
	s_or_b32 s0, vcc_lo, s0
	s_or_not1_b32 s0, s0, exec_lo
.LBB191_6:
	s_or_b32 exec_lo, exec_lo, s1
	s_and_saveexec_b32 s1, s0
	s_cbranch_execz .LBB191_41
; %bb.7:
	s_clause 0x1
	s_load_b128 s[4:7], s[2:3], 0x28
	s_load_b64 s[8:9], s[2:3], 0x38
	s_mov_b32 s13, 0
	s_delay_alu instid0(SALU_CYCLE_1)
	s_mov_b32 s15, s13
	s_waitcnt lgkmcnt(0)
	s_cmp_eq_u64 s[4:5], 0
	s_cbranch_scc1 .LBB191_9
; %bb.8:
	s_lshl_b64 s[0:1], s[12:13], 3
	s_delay_alu instid0(SALU_CYCLE_1)
	s_add_u32 s0, s4, s0
	s_addc_u32 s1, s5, s1
	s_load_b64 s[0:1], s[0:1], 0x0
	s_waitcnt lgkmcnt(0)
	s_sub_u32 s12, s0, s14
	s_subb_u32 s13, s1, 0
.LBB191_9:
	s_load_b32 s1, s[2:3], 0x8
	v_mov_b32_e32 v2, 0
	v_dual_mov_b32 v3, 0 :: v_dual_and_b32 v14, 31, v16
	s_delay_alu instid0(VALU_DEP_1)
	v_dual_mov_b32 v0, v2 :: v_dual_mov_b32 v1, v3
	s_waitcnt lgkmcnt(0)
	s_cmp_eq_u32 s1, 1
	s_cselect_b32 s0, -1, 0
	s_cmp_lg_u32 s1, 1
	s_cselect_b32 s18, -1, 0
	s_lshl_b64 s[4:5], s[12:13], 3
	s_delay_alu instid0(SALU_CYCLE_1)
	s_add_u32 s6, s6, s4
	s_addc_u32 s7, s7, s5
	s_add_u32 s1, s6, 8
	s_addc_u32 s10, s7, 0
	;; [unrolled: 2-line block ×3, first 2 shown]
	s_cmp_eq_u64 s[8:9], 0
	s_cselect_b32 s5, s10, s5
	s_cselect_b32 s4, s1, s4
	s_load_b64 s[10:11], s[6:7], 0x0
	s_load_b64 s[16:17], s[4:5], 0x0
	;; [unrolled: 1-line block ×3, first 2 shown]
	s_waitcnt lgkmcnt(0)
	v_cmp_ge_i64_e64 s1, s[10:11], s[16:17]
	s_delay_alu instid0(VALU_DEP_1)
	s_and_b32 vcc_lo, exec_lo, s1
	s_cbranch_vccnz .LBB191_12
; %bb.10:
	s_clause 0x1
	s_load_b64 s[20:21], s[2:3], 0x50
	s_load_b128 s[4:7], s[2:3], 0x40
	v_lshrrev_b32_e32 v0, 5, v16
	s_sub_u32 s2, s16, s14
	s_subb_u32 s3, s17, 0
	s_delay_alu instid0(VALU_DEP_1) | instskip(SKIP_4) | instid1(SALU_CYCLE_1)
	v_cndmask_b32_e64 v0, v14, v0, s0
	s_sub_u32 s0, s10, s14
	s_subb_u32 s1, s11, 0
	s_lshl_b64 s[10:11], s[10:11], 3
	s_lshl_b64 s[16:17], s[0:1], 14
	v_dual_mov_b32 v2, 0 :: v_dual_mov_b32 v13, s17
	v_dual_mov_b32 v3, 0 :: v_dual_lshlrev_b32 v0, 4, v0
	v_lshl_or_b32 v1, v16, 4, s16
	s_lshl_b64 s[22:23], s[14:15], 3
	s_waitcnt lgkmcnt(0)
	s_delay_alu instid0(VALU_DEP_2) | instskip(NEXT) | instid1(VALU_DEP_2)
	v_add_co_u32 v15, s15, s20, v0
	v_add_co_u32 v12, vcc_lo, s6, v1
	v_add_co_ci_u32_e64 v17, null, s21, 0, s15
	v_add_co_ci_u32_e32 v13, vcc_lo, s7, v13, vcc_lo
	s_sub_u32 s6, s10, s22
	v_dual_mov_b32 v0, v2 :: v_dual_mov_b32 v1, v3
	s_subb_u32 s7, s11, s23
	s_add_u32 s4, s4, s6
	s_addc_u32 s5, s5, s7
	.p2align	6
.LBB191_11:                             ; =>This Inner Loop Header: Depth=1
	s_load_b64 s[6:7], s[4:5], 0x0
	s_waitcnt lgkmcnt(0)
	s_sub_u32 s6, s6, s14
	s_subb_u32 s7, s7, 0
	s_delay_alu instid0(SALU_CYCLE_1)
	s_lshl_b64 s[6:7], s[6:7], 9
	s_add_u32 s0, s0, 1
	v_add_co_u32 v22, vcc_lo, v15, s6
	v_add_co_ci_u32_e32 v23, vcc_lo, s7, v17, vcc_lo
	s_addc_u32 s1, s1, 0
	s_add_u32 s4, s4, 8
	global_load_b128 v[18:21], v[12:13], off
	global_load_b128 v[22:25], v[22:23], off
	v_cmp_lt_i64_e64 s6, s[0:1], s[2:3]
	v_add_co_u32 v12, vcc_lo, 0x4000, v12
	v_add_co_ci_u32_e32 v13, vcc_lo, 0, v13, vcc_lo
	s_addc_u32 s5, s5, 0
	s_delay_alu instid0(VALU_DEP_3) | instskip(SKIP_3) | instid1(VALU_DEP_2)
	s_and_b32 vcc_lo, exec_lo, s6
	s_waitcnt vmcnt(0)
	v_fma_f64 v[0:1], v[18:19], v[22:23], v[0:1]
	v_fma_f64 v[2:3], v[20:21], v[22:23], v[2:3]
	v_fma_f64 v[0:1], -v[20:21], v[24:25], v[0:1]
	s_delay_alu instid0(VALU_DEP_2)
	v_fma_f64 v[2:3], v[18:19], v[24:25], v[2:3]
	s_cbranch_vccnz .LBB191_11
.LBB191_12:
	v_lshlrev_b32_e32 v17, 4, v16
	s_and_b32 vcc_lo, exec_lo, s18
	ds_store_b128 v17, v[0:3]
	s_waitcnt vmcnt(0) lgkmcnt(0)
	s_barrier
	buffer_gl0_inv
	s_cbranch_vccz .LBB191_24
; %bb.13:
	s_mov_b32 s0, exec_lo
	v_cmpx_gt_u32_e32 16, v14
	s_cbranch_execz .LBB191_15
; %bb.14:
	ds_load_b128 v[18:21], v17 offset:256
	ds_load_b128 v[22:25], v17
	s_waitcnt lgkmcnt(0)
	v_add_f64 v[18:19], v[18:19], v[22:23]
	v_add_f64 v[20:21], v[20:21], v[24:25]
	ds_store_b128 v17, v[18:21]
.LBB191_15:
	s_or_b32 exec_lo, exec_lo, s0
	s_delay_alu instid0(SALU_CYCLE_1)
	s_mov_b32 s0, exec_lo
	s_waitcnt lgkmcnt(0)
	s_barrier
	buffer_gl0_inv
	v_cmpx_gt_u32_e32 8, v14
	s_cbranch_execz .LBB191_17
; %bb.16:
	ds_load_b128 v[18:21], v17 offset:128
	ds_load_b128 v[22:25], v17
	s_waitcnt lgkmcnt(0)
	v_add_f64 v[18:19], v[18:19], v[22:23]
	v_add_f64 v[20:21], v[20:21], v[24:25]
	ds_store_b128 v17, v[18:21]
.LBB191_17:
	s_or_b32 exec_lo, exec_lo, s0
	s_delay_alu instid0(SALU_CYCLE_1)
	s_mov_b32 s0, exec_lo
	s_waitcnt lgkmcnt(0)
	s_barrier
	buffer_gl0_inv
	;; [unrolled: 16-line block ×3, first 2 shown]
	v_cmpx_gt_u32_e32 2, v14
	s_cbranch_execz .LBB191_21
; %bb.20:
	ds_load_b128 v[12:15], v17
	ds_load_b128 v[18:21], v17 offset:32
	s_waitcnt lgkmcnt(0)
	v_add_f64 v[12:13], v[18:19], v[12:13]
	v_add_f64 v[14:15], v[20:21], v[14:15]
	ds_store_b128 v17, v[12:15]
.LBB191_21:
	s_or_b32 exec_lo, exec_lo, s0
	v_dual_mov_b32 v15, v3 :: v_dual_mov_b32 v14, v2
	v_dual_mov_b32 v13, v1 :: v_dual_mov_b32 v12, v0
	s_mov_b32 s0, exec_lo
	s_waitcnt lgkmcnt(0)
	s_barrier
	buffer_gl0_inv
	v_cmpx_gt_u32_e32 32, v16
	s_cbranch_execz .LBB191_23
; %bb.22:
	v_mad_u32_u24 v18, 0x1f0, v16, v17
	ds_load_b128 v[12:15], v18
	ds_load_b128 v[18:21], v18 offset:16
	s_waitcnt lgkmcnt(0)
	v_add_f64 v[12:13], v[18:19], v[12:13]
	v_add_f64 v[14:15], v[20:21], v[14:15]
.LBB191_23:
	s_or_b32 exec_lo, exec_lo, s0
	s_branch .LBB191_36
.LBB191_24:
                                        ; implicit-def: $vgpr14_vgpr15
                                        ; implicit-def: $vgpr12_vgpr13
	s_cbranch_execz .LBB191_36
; %bb.25:
	s_mov_b32 s0, exec_lo
	v_cmpx_gt_u32_e32 0x200, v16
	s_cbranch_execz .LBB191_27
; %bb.26:
	ds_load_b128 v[12:15], v17 offset:8192
	ds_load_b128 v[18:21], v17
	s_waitcnt lgkmcnt(0)
	v_add_f64 v[12:13], v[12:13], v[18:19]
	v_add_f64 v[14:15], v[14:15], v[20:21]
	ds_store_b128 v17, v[12:15]
.LBB191_27:
	s_or_b32 exec_lo, exec_lo, s0
	s_delay_alu instid0(SALU_CYCLE_1)
	s_mov_b32 s0, exec_lo
	s_waitcnt lgkmcnt(0)
	s_barrier
	buffer_gl0_inv
	v_cmpx_gt_u32_e32 0x100, v16
	s_cbranch_execz .LBB191_29
; %bb.28:
	ds_load_b128 v[12:15], v17 offset:4096
	ds_load_b128 v[18:21], v17
	s_waitcnt lgkmcnt(0)
	v_add_f64 v[12:13], v[12:13], v[18:19]
	v_add_f64 v[14:15], v[14:15], v[20:21]
	ds_store_b128 v17, v[12:15]
.LBB191_29:
	s_or_b32 exec_lo, exec_lo, s0
	s_delay_alu instid0(SALU_CYCLE_1)
	s_mov_b32 s0, exec_lo
	s_waitcnt lgkmcnt(0)
	s_barrier
	buffer_gl0_inv
	;; [unrolled: 16-line block ×3, first 2 shown]
	v_cmpx_gt_u32_e32 64, v16
	s_cbranch_execz .LBB191_33
; %bb.32:
	ds_load_b128 v[12:15], v17 offset:1024
	ds_load_b128 v[18:21], v17
	s_waitcnt lgkmcnt(0)
	v_add_f64 v[12:13], v[12:13], v[18:19]
	v_add_f64 v[14:15], v[14:15], v[20:21]
	ds_store_b128 v17, v[12:15]
.LBB191_33:
	s_or_b32 exec_lo, exec_lo, s0
	s_delay_alu instid0(SALU_CYCLE_1)
	s_mov_b32 s0, exec_lo
	s_waitcnt lgkmcnt(0)
	buffer_gl0_inv
	v_cmpx_gt_u32_e32 32, v16
	s_cbranch_execz .LBB191_35
; %bb.34:
	ds_load_b128 v[0:3], v17 offset:512
	ds_load_b128 v[12:15], v17
	s_waitcnt lgkmcnt(0)
	v_add_f64 v[0:1], v[0:1], v[12:13]
	v_add_f64 v[2:3], v[2:3], v[14:15]
.LBB191_35:
	s_or_b32 exec_lo, exec_lo, s0
	s_delay_alu instid0(VALU_DEP_1) | instskip(NEXT) | instid1(VALU_DEP_3)
	v_dual_mov_b32 v15, v3 :: v_dual_mov_b32 v14, v2
	v_dual_mov_b32 v13, v1 :: v_dual_mov_b32 v12, v0
.LBB191_36:
	v_cmp_gt_u32_e32 vcc_lo, 32, v16
	s_and_b32 exec_lo, exec_lo, vcc_lo
	s_cbranch_execz .LBB191_41
; %bb.37:
	s_delay_alu instid0(VALU_DEP_2) | instskip(SKIP_3) | instid1(VALU_DEP_4)
	v_mul_f64 v[0:1], v[14:15], -v[10:11]
	v_mul_f64 v[2:3], v[8:9], v[14:15]
	v_cmp_eq_f64_e32 vcc_lo, 0, v[4:5]
	v_cmp_eq_f64_e64 s0, 0, v[6:7]
	v_fma_f64 v[0:1], v[8:9], v[12:13], v[0:1]
	s_delay_alu instid0(VALU_DEP_4) | instskip(NEXT) | instid1(VALU_DEP_3)
	v_fma_f64 v[2:3], v[10:11], v[12:13], v[2:3]
	s_and_b32 s0, vcc_lo, s0
	s_delay_alu instid0(SALU_CYCLE_1) | instskip(NEXT) | instid1(SALU_CYCLE_1)
	s_and_saveexec_b32 s1, s0
	s_xor_b32 s0, exec_lo, s1
	s_cbranch_execz .LBB191_39
; %bb.38:
	s_lshl_b64 s[2:3], s[12:13], 9
                                        ; implicit-def: $vgpr4_vgpr5
                                        ; implicit-def: $vgpr6_vgpr7
	s_delay_alu instid0(SALU_CYCLE_1)
	s_add_u32 s2, s8, s2
	s_addc_u32 s3, s9, s3
	global_store_b128 v17, v[0:3], s[2:3]
                                        ; implicit-def: $vgpr17
                                        ; implicit-def: $vgpr0_vgpr1
.LBB191_39:
	s_and_not1_saveexec_b32 s0, s0
	s_cbranch_execz .LBB191_41
; %bb.40:
	s_lshl_b64 s[0:1], s[12:13], 9
	s_delay_alu instid0(SALU_CYCLE_1)
	s_add_u32 s0, s8, s0
	s_addc_u32 s1, s9, s1
	global_load_b128 v[8:11], v17, s[0:1]
	s_waitcnt vmcnt(0)
	v_fma_f64 v[0:1], v[4:5], v[8:9], v[0:1]
	v_fma_f64 v[2:3], v[6:7], v[8:9], v[2:3]
	s_delay_alu instid0(VALU_DEP_2) | instskip(NEXT) | instid1(VALU_DEP_2)
	v_fma_f64 v[0:1], -v[6:7], v[10:11], v[0:1]
	v_fma_f64 v[2:3], v[4:5], v[10:11], v[2:3]
	global_store_b128 v17, v[0:3], s[0:1]
.LBB191_41:
	s_nop 0
	s_sendmsg sendmsg(MSG_DEALLOC_VGPRS)
	s_endpgm
	.section	.rodata,"a",@progbits
	.p2align	6, 0x0
	.amdhsa_kernel _ZN9rocsparseL20bsrxmvn_17_32_kernelILj32E21rocsparse_complex_numIdEllS2_S2_S2_EEvT2_20rocsparse_direction_NS_24const_host_device_scalarIT0_EES3_PKS3_PKT1_SC_S9_PKT3_PKT4_S7_PT5_21rocsparse_index_base_b
		.amdhsa_group_segment_fixed_size 32768
		.amdhsa_private_segment_fixed_size 0
		.amdhsa_kernarg_size 120
		.amdhsa_user_sgpr_count 15
		.amdhsa_user_sgpr_dispatch_ptr 1
		.amdhsa_user_sgpr_queue_ptr 0
		.amdhsa_user_sgpr_kernarg_segment_ptr 1
		.amdhsa_user_sgpr_dispatch_id 0
		.amdhsa_user_sgpr_private_segment_size 0
		.amdhsa_wavefront_size32 1
		.amdhsa_uses_dynamic_stack 0
		.amdhsa_enable_private_segment 0
		.amdhsa_system_sgpr_workgroup_id_x 1
		.amdhsa_system_sgpr_workgroup_id_y 0
		.amdhsa_system_sgpr_workgroup_id_z 0
		.amdhsa_system_sgpr_workgroup_info 0
		.amdhsa_system_vgpr_workitem_id 2
		.amdhsa_next_free_vgpr 26
		.amdhsa_next_free_sgpr 24
		.amdhsa_reserve_vcc 1
		.amdhsa_float_round_mode_32 0
		.amdhsa_float_round_mode_16_64 0
		.amdhsa_float_denorm_mode_32 3
		.amdhsa_float_denorm_mode_16_64 3
		.amdhsa_dx10_clamp 1
		.amdhsa_ieee_mode 1
		.amdhsa_fp16_overflow 0
		.amdhsa_workgroup_processor_mode 1
		.amdhsa_memory_ordered 1
		.amdhsa_forward_progress 0
		.amdhsa_shared_vgpr_count 0
		.amdhsa_exception_fp_ieee_invalid_op 0
		.amdhsa_exception_fp_denorm_src 0
		.amdhsa_exception_fp_ieee_div_zero 0
		.amdhsa_exception_fp_ieee_overflow 0
		.amdhsa_exception_fp_ieee_underflow 0
		.amdhsa_exception_fp_ieee_inexact 0
		.amdhsa_exception_int_div_zero 0
	.end_amdhsa_kernel
	.section	.text._ZN9rocsparseL20bsrxmvn_17_32_kernelILj32E21rocsparse_complex_numIdEllS2_S2_S2_EEvT2_20rocsparse_direction_NS_24const_host_device_scalarIT0_EES3_PKS3_PKT1_SC_S9_PKT3_PKT4_S7_PT5_21rocsparse_index_base_b,"axG",@progbits,_ZN9rocsparseL20bsrxmvn_17_32_kernelILj32E21rocsparse_complex_numIdEllS2_S2_S2_EEvT2_20rocsparse_direction_NS_24const_host_device_scalarIT0_EES3_PKS3_PKT1_SC_S9_PKT3_PKT4_S7_PT5_21rocsparse_index_base_b,comdat
.Lfunc_end191:
	.size	_ZN9rocsparseL20bsrxmvn_17_32_kernelILj32E21rocsparse_complex_numIdEllS2_S2_S2_EEvT2_20rocsparse_direction_NS_24const_host_device_scalarIT0_EES3_PKS3_PKT1_SC_S9_PKT3_PKT4_S7_PT5_21rocsparse_index_base_b, .Lfunc_end191-_ZN9rocsparseL20bsrxmvn_17_32_kernelILj32E21rocsparse_complex_numIdEllS2_S2_S2_EEvT2_20rocsparse_direction_NS_24const_host_device_scalarIT0_EES3_PKS3_PKT1_SC_S9_PKT3_PKT4_S7_PT5_21rocsparse_index_base_b
                                        ; -- End function
	.section	.AMDGPU.csdata,"",@progbits
; Kernel info:
; codeLenInByte = 1916
; NumSgprs: 26
; NumVgprs: 26
; ScratchSize: 0
; MemoryBound: 0
; FloatMode: 240
; IeeeMode: 1
; LDSByteSize: 32768 bytes/workgroup (compile time only)
; SGPRBlocks: 3
; VGPRBlocks: 3
; NumSGPRsForWavesPerEU: 26
; NumVGPRsForWavesPerEU: 26
; Occupancy: 16
; WaveLimiterHint : 1
; COMPUTE_PGM_RSRC2:SCRATCH_EN: 0
; COMPUTE_PGM_RSRC2:USER_SGPR: 15
; COMPUTE_PGM_RSRC2:TRAP_HANDLER: 0
; COMPUTE_PGM_RSRC2:TGID_X_EN: 1
; COMPUTE_PGM_RSRC2:TGID_Y_EN: 0
; COMPUTE_PGM_RSRC2:TGID_Z_EN: 0
; COMPUTE_PGM_RSRC2:TIDIG_COMP_CNT: 2
	.section	.text._ZN9rocsparseL20bsrxmvn_17_32_kernelILj17EiiiaaiEEvT2_20rocsparse_direction_NS_24const_host_device_scalarIT0_EES1_PKS1_PKT1_SA_S7_PKT3_PKT4_S5_PT5_21rocsparse_index_base_b,"axG",@progbits,_ZN9rocsparseL20bsrxmvn_17_32_kernelILj17EiiiaaiEEvT2_20rocsparse_direction_NS_24const_host_device_scalarIT0_EES1_PKS1_PKT1_SA_S7_PKT3_PKT4_S5_PT5_21rocsparse_index_base_b,comdat
	.globl	_ZN9rocsparseL20bsrxmvn_17_32_kernelILj17EiiiaaiEEvT2_20rocsparse_direction_NS_24const_host_device_scalarIT0_EES1_PKS1_PKT1_SA_S7_PKT3_PKT4_S5_PT5_21rocsparse_index_base_b ; -- Begin function _ZN9rocsparseL20bsrxmvn_17_32_kernelILj17EiiiaaiEEvT2_20rocsparse_direction_NS_24const_host_device_scalarIT0_EES1_PKS1_PKT1_SA_S7_PKT3_PKT4_S5_PT5_21rocsparse_index_base_b
	.p2align	8
	.type	_ZN9rocsparseL20bsrxmvn_17_32_kernelILj17EiiiaaiEEvT2_20rocsparse_direction_NS_24const_host_device_scalarIT0_EES1_PKS1_PKT1_SA_S7_PKT3_PKT4_S5_PT5_21rocsparse_index_base_b,@function
_ZN9rocsparseL20bsrxmvn_17_32_kernelILj17EiiiaaiEEvT2_20rocsparse_direction_NS_24const_host_device_scalarIT0_EES1_PKS1_PKT1_SA_S7_PKT3_PKT4_S5_PT5_21rocsparse_index_base_b: ; @_ZN9rocsparseL20bsrxmvn_17_32_kernelILj17EiiiaaiEEvT2_20rocsparse_direction_NS_24const_host_device_scalarIT0_EES1_PKS1_PKT1_SA_S7_PKT3_PKT4_S5_PT5_21rocsparse_index_base_b
; %bb.0:
	s_clause 0x1
	s_load_b64 s[10:11], s[0:1], 0x58
	s_load_b64 s[6:7], s[0:1], 0x8
	s_mov_b32 s2, s15
	s_mov_b32 s8, -1
	s_waitcnt lgkmcnt(0)
	s_bitcmp1_b32 s11, 0
                                        ; implicit-def: $sgpr11
	s_cselect_b32 s3, -1, 0
	s_delay_alu instid0(SALU_CYCLE_1) | instskip(NEXT) | instid1(SALU_CYCLE_1)
	s_xor_b32 s3, s3, -1
	s_and_b32 vcc_lo, exec_lo, s3
	s_cbranch_vccnz .LBB192_4
; %bb.1:
	s_load_b64 s[4:5], s[0:1], 0x48
	s_and_not1_b32 vcc_lo, exec_lo, s8
	s_cbranch_vccz .LBB192_5
.LBB192_2:
	s_and_b32 vcc_lo, exec_lo, s3
	s_cbranch_vccz .LBB192_6
.LBB192_3:
	s_waitcnt lgkmcnt(0)
	s_load_b32 s12, s[4:5], 0x0
	s_cbranch_execz .LBB192_7
	s_branch .LBB192_8
.LBB192_4:
	s_load_b32 s11, s[6:7], 0x0
	s_load_b64 s[4:5], s[0:1], 0x48
	s_cbranch_execnz .LBB192_2
.LBB192_5:
	s_waitcnt lgkmcnt(0)
	s_mov_b32 s11, s6
	s_and_b32 vcc_lo, exec_lo, s3
	s_cbranch_vccnz .LBB192_3
.LBB192_6:
                                        ; implicit-def: $sgpr12
.LBB192_7:
	s_waitcnt lgkmcnt(0)
	s_mov_b32 s12, s4
.LBB192_8:
	s_waitcnt lgkmcnt(0)
	s_cmp_lg_u32 s11, 0
	s_cselect_b32 s3, -1, 0
	s_cmp_lg_u32 s12, 1
	s_cselect_b32 s4, -1, 0
	s_delay_alu instid0(SALU_CYCLE_1) | instskip(NEXT) | instid1(SALU_CYCLE_1)
	s_or_b32 s3, s3, s4
	s_and_not1_b32 vcc_lo, exec_lo, s3
	s_cbranch_vccnz .LBB192_46
; %bb.9:
	s_clause 0x1
	s_load_b128 s[4:7], s[0:1], 0x18
	s_load_b64 s[8:9], s[0:1], 0x28
	s_waitcnt lgkmcnt(0)
	s_cmp_eq_u64 s[4:5], 0
	s_cbranch_scc1 .LBB192_11
; %bb.10:
	s_ashr_i32 s3, s2, 31
	s_delay_alu instid0(SALU_CYCLE_1) | instskip(NEXT) | instid1(SALU_CYCLE_1)
	s_lshl_b64 s[2:3], s[2:3], 2
	s_add_u32 s2, s4, s2
	s_addc_u32 s3, s5, s3
	s_load_b32 s2, s[2:3], 0x0
	s_waitcnt lgkmcnt(0)
	s_sub_i32 s2, s2, s10
.LBB192_11:
	s_load_b32 s3, s[0:1], 0x4
	v_mul_u32_u24_e32 v1, 0xf10, v0
	v_mov_b32_e32 v6, 0
	s_delay_alu instid0(VALU_DEP_2) | instskip(NEXT) | instid1(VALU_DEP_1)
	v_lshrrev_b32_e32 v1, 16, v1
	v_mul_lo_u16 v2, v1, 17
	s_delay_alu instid0(VALU_DEP_1)
	v_sub_nc_u16 v7, v0, v2
	s_waitcnt lgkmcnt(0)
	s_cmp_eq_u32 s3, 1
	s_cselect_b32 vcc_lo, -1, 0
	s_cmp_lg_u32 s3, 1
	s_cselect_b32 s13, -1, 0
	s_ashr_i32 s3, s2, 31
	s_delay_alu instid0(SALU_CYCLE_1) | instskip(NEXT) | instid1(SALU_CYCLE_1)
	s_lshl_b64 s[4:5], s[2:3], 2
	s_add_u32 s6, s6, s4
	s_addc_u32 s7, s7, s5
	s_add_u32 s3, s6, 4
	s_addc_u32 s14, s7, 0
	;; [unrolled: 2-line block ×3, first 2 shown]
	s_cmp_eq_u64 s[8:9], 0
	s_load_b64 s[8:9], s[0:1], 0x50
	s_cselect_b32 s5, s14, s5
	s_cselect_b32 s4, s3, s4
	s_load_b32 s14, s[6:7], 0x0
	s_load_b32 s3, s[4:5], 0x0
	s_waitcnt lgkmcnt(0)
	s_cmp_ge_i32 s14, s3
	s_cbranch_scc1 .LBB192_16
; %bb.12:
	v_mul_lo_u16 v2, v1, 31
	s_clause 0x1
	s_load_b128 s[4:7], s[0:1], 0x30
	s_load_b64 s[0:1], s[0:1], 0x40
	v_dual_mov_b32 v6, 0 :: v_dual_and_b32 v3, 0xffff, v7
	v_lshrrev_b16 v2, 9, v2
	s_sub_i32 s14, s14, s10
	s_sub_i32 s3, s3, s10
	s_mul_i32 s16, s14, 0x121
	s_mul_hi_i32 s15, s14, 0x121
	v_mul_lo_u16 v2, v2, 17
	s_delay_alu instid0(VALU_DEP_1) | instskip(NEXT) | instid1(VALU_DEP_1)
	v_sub_nc_u16 v1, v1, v2
	v_and_b32_e32 v5, 0xff, v1
	v_and_b32_e32 v4, 0xffff, v0
	s_waitcnt lgkmcnt(0)
	s_add_u32 s6, s6, s16
	s_addc_u32 s7, s7, s15
	v_add_co_u32 v1, s6, s6, v0
	v_cndmask_b32_e32 v3, v3, v5, vcc_lo
	v_mul_u32_u24_e32 v4, 0xe3, v4
	v_add_co_ci_u32_e64 v2, null, s7, 0, s6
	s_delay_alu instid0(VALU_DEP_2)
	v_lshrrev_b32_e32 v8, 16, v4
	s_set_inst_prefetch_distance 0x1
	s_branch .LBB192_14
	.p2align	6
.LBB192_13:                             ;   in Loop: Header=BB192_14 Depth=1
	s_or_b32 exec_lo, exec_lo, s6
	s_add_i32 s14, s14, 1
	s_delay_alu instid0(SALU_CYCLE_1)
	s_cmp_lt_i32 s14, s3
	s_cbranch_scc0 .LBB192_16
.LBB192_14:                             ; =>This Inner Loop Header: Depth=1
	s_delay_alu instid0(VALU_DEP_1) | instskip(SKIP_1) | instid1(VALU_DEP_1)
	v_add_nc_u32_e32 v4, s14, v8
	s_mov_b32 s6, exec_lo
	v_cmpx_gt_i32_e64 s3, v4
	s_cbranch_execz .LBB192_13
; %bb.15:                               ;   in Loop: Header=BB192_14 Depth=1
	v_ashrrev_i32_e32 v5, 31, v4
	s_delay_alu instid0(VALU_DEP_1) | instskip(NEXT) | instid1(VALU_DEP_1)
	v_lshlrev_b64 v[4:5], 2, v[4:5]
	v_add_co_u32 v4, vcc_lo, s4, v4
	s_delay_alu instid0(VALU_DEP_2) | instskip(SKIP_3) | instid1(VALU_DEP_1)
	v_add_co_ci_u32_e32 v5, vcc_lo, s5, v5, vcc_lo
	global_load_b32 v4, v[4:5], off
	s_waitcnt vmcnt(0)
	v_subrev_nc_u32_e32 v9, s10, v4
	v_mad_u64_u32 v[4:5], null, v9, 17, v[3:4]
	s_delay_alu instid0(VALU_DEP_1) | instskip(SKIP_1) | instid1(VALU_DEP_2)
	v_ashrrev_i32_e32 v5, 31, v4
	v_add_co_u32 v4, vcc_lo, s0, v4
	v_add_co_ci_u32_e32 v5, vcc_lo, s1, v5, vcc_lo
	global_load_i8 v9, v[1:2], off
	global_load_i8 v4, v[4:5], off
	v_add_co_u32 v1, vcc_lo, 0x121, v1
	v_add_co_ci_u32_e32 v2, vcc_lo, 0, v2, vcc_lo
	s_waitcnt vmcnt(0)
	v_mad_i32_i24 v6, v4, v9, v6
	s_branch .LBB192_13
.LBB192_16:
	s_set_inst_prefetch_distance 0x2
	v_lshlrev_b32_e32 v1, 2, v0
	s_and_b32 vcc_lo, exec_lo, s13
	ds_store_b32 v1, v6
	s_waitcnt lgkmcnt(0)
	s_barrier
	buffer_gl0_inv
	s_cbranch_vccz .LBB192_28
; %bb.17:
	s_mov_b32 s0, exec_lo
	v_cmpx_eq_u16_e32 0, v7
	s_cbranch_execz .LBB192_19
; %bb.18:
	ds_load_2addr_b32 v[2:3], v1 offset1:16
	s_waitcnt lgkmcnt(0)
	v_add_nc_u32_e32 v2, v2, v3
	ds_store_b32 v1, v2
.LBB192_19:
	s_or_b32 exec_lo, exec_lo, s0
	s_delay_alu instid0(SALU_CYCLE_1)
	s_mov_b32 s0, exec_lo
	s_waitcnt lgkmcnt(0)
	s_barrier
	buffer_gl0_inv
	v_cmpx_gt_u16_e32 8, v7
	s_cbranch_execz .LBB192_21
; %bb.20:
	ds_load_2addr_b32 v[2:3], v1 offset1:8
	s_waitcnt lgkmcnt(0)
	v_add_nc_u32_e32 v2, v2, v3
	ds_store_b32 v1, v2
.LBB192_21:
	s_or_b32 exec_lo, exec_lo, s0
	s_delay_alu instid0(SALU_CYCLE_1)
	s_mov_b32 s0, exec_lo
	s_waitcnt lgkmcnt(0)
	s_barrier
	buffer_gl0_inv
	v_cmpx_gt_u16_e32 4, v7
	;; [unrolled: 14-line block ×3, first 2 shown]
	s_cbranch_execz .LBB192_25
; %bb.24:
	ds_load_2addr_b32 v[2:3], v1 offset1:2
	s_waitcnt lgkmcnt(0)
	v_add_nc_u32_e32 v2, v2, v3
	ds_store_b32 v1, v2
.LBB192_25:
	s_or_b32 exec_lo, exec_lo, s0
	s_mov_b32 s0, 0
	s_mov_b32 s1, 0
	s_mov_b32 s3, exec_lo
	s_waitcnt lgkmcnt(0)
	s_barrier
	buffer_gl0_inv
                                        ; implicit-def: $vgpr2
                                        ; implicit-def: $vgpr3
	v_cmpx_gt_u32_e32 17, v0
	s_xor_b32 s3, exec_lo, s3
; %bb.26:
	v_mul_u32_u24_e32 v3, 17, v0
	v_mad_u32_u24 v2, v0, 17, 1
	s_mov_b32 s1, exec_lo
	s_delay_alu instid0(VALU_DEP_2)
	v_lshlrev_b32_e32 v3, 2, v3
; %bb.27:
	s_or_b32 exec_lo, exec_lo, s3
	s_delay_alu instid0(SALU_CYCLE_1)
	s_and_b32 vcc_lo, exec_lo, s0
	v_cmp_gt_u32_e64 s0, 17, v0
	s_cbranch_vccnz .LBB192_29
	s_branch .LBB192_40
.LBB192_28:
	s_mov_b32 s1, 0
                                        ; implicit-def: $vgpr2
                                        ; implicit-def: $vgpr3
	v_cmp_gt_u32_e64 s0, 17, v0
	s_cbranch_execz .LBB192_40
.LBB192_29:
	s_delay_alu instid0(VALU_DEP_1)
	s_and_saveexec_b32 s3, s0
	s_cbranch_execz .LBB192_31
; %bb.30:
	ds_load_b32 v2, v1 offset:1088
	ds_load_b32 v3, v1
	s_waitcnt lgkmcnt(0)
	v_add_nc_u32_e32 v2, v3, v2
	ds_store_b32 v1, v2
.LBB192_31:
	s_or_b32 exec_lo, exec_lo, s3
	s_delay_alu instid0(SALU_CYCLE_1)
	s_mov_b32 s3, exec_lo
	s_waitcnt lgkmcnt(0)
	s_barrier
	buffer_gl0_inv
	v_cmpx_gt_u32_e32 0x88, v0
	s_cbranch_execz .LBB192_33
; %bb.32:
	ds_load_2addr_b32 v[2:3], v1 offset1:136
	s_waitcnt lgkmcnt(0)
	v_add_nc_u32_e32 v2, v2, v3
	ds_store_b32 v1, v2
.LBB192_33:
	s_or_b32 exec_lo, exec_lo, s3
	s_delay_alu instid0(SALU_CYCLE_1)
	s_mov_b32 s3, exec_lo
	s_waitcnt lgkmcnt(0)
	s_barrier
	buffer_gl0_inv
	v_cmpx_gt_u32_e32 0x44, v0
	s_cbranch_execz .LBB192_35
; %bb.34:
	ds_load_2addr_b32 v[2:3], v1 offset1:68
	s_waitcnt lgkmcnt(0)
	v_add_nc_u32_e32 v2, v2, v3
	ds_store_b32 v1, v2
.LBB192_35:
	;; [unrolled: 14-line block ×3, first 2 shown]
	s_or_b32 exec_lo, exec_lo, s3
	s_waitcnt lgkmcnt(0)
	buffer_gl0_inv
                                        ; implicit-def: $vgpr2
	s_and_saveexec_b32 s3, s0
; %bb.38:
	v_add_nc_u32_e32 v2, 17, v0
	s_or_b32 s1, s1, exec_lo
                                        ; implicit-def: $vgpr6
; %bb.39:
	s_or_b32 exec_lo, exec_lo, s3
	v_mov_b32_e32 v3, v1
.LBB192_40:
	s_and_saveexec_b32 s0, s1
	s_cbranch_execz .LBB192_42
; %bb.41:
	v_lshlrev_b32_e32 v1, 2, v2
	ds_load_b32 v2, v3
	ds_load_b32 v1, v1
	s_waitcnt lgkmcnt(0)
	v_add_nc_u32_e32 v6, v1, v2
.LBB192_42:
	s_or_b32 exec_lo, exec_lo, s0
	s_delay_alu instid0(SALU_CYCLE_1)
	s_mov_b32 s0, exec_lo
	v_cmpx_gt_u32_e32 17, v0
	s_cbranch_execz .LBB192_46
; %bb.43:
	v_mul_lo_u32 v1, v6, s11
	s_cmp_eq_u32 s12, 0
	s_mov_b32 s0, 0
	s_cbranch_scc1 .LBB192_47
; %bb.44:
	s_delay_alu instid0(VALU_DEP_1) | instskip(SKIP_1) | instid1(VALU_DEP_1)
	v_mad_u64_u32 v[2:3], null, s2, 17, v[0:1]
	v_mov_b32_e32 v3, 0
	v_lshlrev_b64 v[2:3], 2, v[2:3]
	s_delay_alu instid0(VALU_DEP_1) | instskip(NEXT) | instid1(VALU_DEP_2)
	v_add_co_u32 v2, vcc_lo, s8, v2
	v_add_co_ci_u32_e32 v3, vcc_lo, s9, v3, vcc_lo
	global_load_b32 v6, v[2:3], off
	s_waitcnt vmcnt(0)
	v_mad_u64_u32 v[4:5], null, v6, s12, v[1:2]
	global_store_b32 v[2:3], v4, off
	s_and_not1_b32 vcc_lo, exec_lo, s0
	s_cbranch_vccnz .LBB192_46
.LBB192_45:
	s_delay_alu instid0(VALU_DEP_1) | instskip(SKIP_1) | instid1(VALU_DEP_1)
	v_mad_u64_u32 v[2:3], null, s2, 17, v[0:1]
	v_mov_b32_e32 v3, 0
	v_lshlrev_b64 v[2:3], 2, v[2:3]
	s_delay_alu instid0(VALU_DEP_1) | instskip(NEXT) | instid1(VALU_DEP_2)
	v_add_co_u32 v2, vcc_lo, s8, v2
	v_add_co_ci_u32_e32 v3, vcc_lo, s9, v3, vcc_lo
	global_store_b32 v[2:3], v1, off
.LBB192_46:
	s_nop 0
	s_sendmsg sendmsg(MSG_DEALLOC_VGPRS)
	s_endpgm
.LBB192_47:
	s_branch .LBB192_45
	.section	.rodata,"a",@progbits
	.p2align	6, 0x0
	.amdhsa_kernel _ZN9rocsparseL20bsrxmvn_17_32_kernelILj17EiiiaaiEEvT2_20rocsparse_direction_NS_24const_host_device_scalarIT0_EES1_PKS1_PKT1_SA_S7_PKT3_PKT4_S5_PT5_21rocsparse_index_base_b
		.amdhsa_group_segment_fixed_size 1156
		.amdhsa_private_segment_fixed_size 0
		.amdhsa_kernarg_size 96
		.amdhsa_user_sgpr_count 15
		.amdhsa_user_sgpr_dispatch_ptr 0
		.amdhsa_user_sgpr_queue_ptr 0
		.amdhsa_user_sgpr_kernarg_segment_ptr 1
		.amdhsa_user_sgpr_dispatch_id 0
		.amdhsa_user_sgpr_private_segment_size 0
		.amdhsa_wavefront_size32 1
		.amdhsa_uses_dynamic_stack 0
		.amdhsa_enable_private_segment 0
		.amdhsa_system_sgpr_workgroup_id_x 1
		.amdhsa_system_sgpr_workgroup_id_y 0
		.amdhsa_system_sgpr_workgroup_id_z 0
		.amdhsa_system_sgpr_workgroup_info 0
		.amdhsa_system_vgpr_workitem_id 0
		.amdhsa_next_free_vgpr 10
		.amdhsa_next_free_sgpr 17
		.amdhsa_reserve_vcc 1
		.amdhsa_float_round_mode_32 0
		.amdhsa_float_round_mode_16_64 0
		.amdhsa_float_denorm_mode_32 3
		.amdhsa_float_denorm_mode_16_64 3
		.amdhsa_dx10_clamp 1
		.amdhsa_ieee_mode 1
		.amdhsa_fp16_overflow 0
		.amdhsa_workgroup_processor_mode 1
		.amdhsa_memory_ordered 1
		.amdhsa_forward_progress 0
		.amdhsa_shared_vgpr_count 0
		.amdhsa_exception_fp_ieee_invalid_op 0
		.amdhsa_exception_fp_denorm_src 0
		.amdhsa_exception_fp_ieee_div_zero 0
		.amdhsa_exception_fp_ieee_overflow 0
		.amdhsa_exception_fp_ieee_underflow 0
		.amdhsa_exception_fp_ieee_inexact 0
		.amdhsa_exception_int_div_zero 0
	.end_amdhsa_kernel
	.section	.text._ZN9rocsparseL20bsrxmvn_17_32_kernelILj17EiiiaaiEEvT2_20rocsparse_direction_NS_24const_host_device_scalarIT0_EES1_PKS1_PKT1_SA_S7_PKT3_PKT4_S5_PT5_21rocsparse_index_base_b,"axG",@progbits,_ZN9rocsparseL20bsrxmvn_17_32_kernelILj17EiiiaaiEEvT2_20rocsparse_direction_NS_24const_host_device_scalarIT0_EES1_PKS1_PKT1_SA_S7_PKT3_PKT4_S5_PT5_21rocsparse_index_base_b,comdat
.Lfunc_end192:
	.size	_ZN9rocsparseL20bsrxmvn_17_32_kernelILj17EiiiaaiEEvT2_20rocsparse_direction_NS_24const_host_device_scalarIT0_EES1_PKS1_PKT1_SA_S7_PKT3_PKT4_S5_PT5_21rocsparse_index_base_b, .Lfunc_end192-_ZN9rocsparseL20bsrxmvn_17_32_kernelILj17EiiiaaiEEvT2_20rocsparse_direction_NS_24const_host_device_scalarIT0_EES1_PKS1_PKT1_SA_S7_PKT3_PKT4_S5_PT5_21rocsparse_index_base_b
                                        ; -- End function
	.section	.AMDGPU.csdata,"",@progbits
; Kernel info:
; codeLenInByte = 1580
; NumSgprs: 19
; NumVgprs: 10
; ScratchSize: 0
; MemoryBound: 0
; FloatMode: 240
; IeeeMode: 1
; LDSByteSize: 1156 bytes/workgroup (compile time only)
; SGPRBlocks: 2
; VGPRBlocks: 1
; NumSGPRsForWavesPerEU: 19
; NumVGPRsForWavesPerEU: 10
; Occupancy: 15
; WaveLimiterHint : 1
; COMPUTE_PGM_RSRC2:SCRATCH_EN: 0
; COMPUTE_PGM_RSRC2:USER_SGPR: 15
; COMPUTE_PGM_RSRC2:TRAP_HANDLER: 0
; COMPUTE_PGM_RSRC2:TGID_X_EN: 1
; COMPUTE_PGM_RSRC2:TGID_Y_EN: 0
; COMPUTE_PGM_RSRC2:TGID_Z_EN: 0
; COMPUTE_PGM_RSRC2:TIDIG_COMP_CNT: 0
	.section	.text._ZN9rocsparseL20bsrxmvn_17_32_kernelILj18EiiiaaiEEvT2_20rocsparse_direction_NS_24const_host_device_scalarIT0_EES1_PKS1_PKT1_SA_S7_PKT3_PKT4_S5_PT5_21rocsparse_index_base_b,"axG",@progbits,_ZN9rocsparseL20bsrxmvn_17_32_kernelILj18EiiiaaiEEvT2_20rocsparse_direction_NS_24const_host_device_scalarIT0_EES1_PKS1_PKT1_SA_S7_PKT3_PKT4_S5_PT5_21rocsparse_index_base_b,comdat
	.globl	_ZN9rocsparseL20bsrxmvn_17_32_kernelILj18EiiiaaiEEvT2_20rocsparse_direction_NS_24const_host_device_scalarIT0_EES1_PKS1_PKT1_SA_S7_PKT3_PKT4_S5_PT5_21rocsparse_index_base_b ; -- Begin function _ZN9rocsparseL20bsrxmvn_17_32_kernelILj18EiiiaaiEEvT2_20rocsparse_direction_NS_24const_host_device_scalarIT0_EES1_PKS1_PKT1_SA_S7_PKT3_PKT4_S5_PT5_21rocsparse_index_base_b
	.p2align	8
	.type	_ZN9rocsparseL20bsrxmvn_17_32_kernelILj18EiiiaaiEEvT2_20rocsparse_direction_NS_24const_host_device_scalarIT0_EES1_PKS1_PKT1_SA_S7_PKT3_PKT4_S5_PT5_21rocsparse_index_base_b,@function
_ZN9rocsparseL20bsrxmvn_17_32_kernelILj18EiiiaaiEEvT2_20rocsparse_direction_NS_24const_host_device_scalarIT0_EES1_PKS1_PKT1_SA_S7_PKT3_PKT4_S5_PT5_21rocsparse_index_base_b: ; @_ZN9rocsparseL20bsrxmvn_17_32_kernelILj18EiiiaaiEEvT2_20rocsparse_direction_NS_24const_host_device_scalarIT0_EES1_PKS1_PKT1_SA_S7_PKT3_PKT4_S5_PT5_21rocsparse_index_base_b
; %bb.0:
	s_clause 0x1
	s_load_b64 s[10:11], s[0:1], 0x58
	s_load_b64 s[6:7], s[0:1], 0x8
	s_mov_b32 s2, s15
	s_mov_b32 s8, -1
	s_waitcnt lgkmcnt(0)
	s_bitcmp1_b32 s11, 0
                                        ; implicit-def: $sgpr11
	s_cselect_b32 s3, -1, 0
	s_delay_alu instid0(SALU_CYCLE_1) | instskip(NEXT) | instid1(SALU_CYCLE_1)
	s_xor_b32 s3, s3, -1
	s_and_b32 vcc_lo, exec_lo, s3
	s_cbranch_vccnz .LBB193_4
; %bb.1:
	s_load_b64 s[4:5], s[0:1], 0x48
	s_and_not1_b32 vcc_lo, exec_lo, s8
	s_cbranch_vccz .LBB193_5
.LBB193_2:
	s_and_b32 vcc_lo, exec_lo, s3
	s_cbranch_vccz .LBB193_6
.LBB193_3:
	s_waitcnt lgkmcnt(0)
	s_load_b32 s12, s[4:5], 0x0
	s_cbranch_execz .LBB193_7
	s_branch .LBB193_8
.LBB193_4:
	s_load_b32 s11, s[6:7], 0x0
	s_load_b64 s[4:5], s[0:1], 0x48
	s_cbranch_execnz .LBB193_2
.LBB193_5:
	s_waitcnt lgkmcnt(0)
	s_mov_b32 s11, s6
	s_and_b32 vcc_lo, exec_lo, s3
	s_cbranch_vccnz .LBB193_3
.LBB193_6:
                                        ; implicit-def: $sgpr12
.LBB193_7:
	s_waitcnt lgkmcnt(0)
	s_mov_b32 s12, s4
.LBB193_8:
	s_waitcnt lgkmcnt(0)
	s_cmp_lg_u32 s11, 0
	s_cselect_b32 s3, -1, 0
	s_cmp_lg_u32 s12, 1
	s_cselect_b32 s4, -1, 0
	s_delay_alu instid0(SALU_CYCLE_1) | instskip(NEXT) | instid1(SALU_CYCLE_1)
	s_or_b32 s3, s3, s4
	s_and_not1_b32 vcc_lo, exec_lo, s3
	s_cbranch_vccnz .LBB193_46
; %bb.9:
	s_clause 0x1
	s_load_b128 s[4:7], s[0:1], 0x18
	s_load_b64 s[8:9], s[0:1], 0x28
	s_waitcnt lgkmcnt(0)
	s_cmp_eq_u64 s[4:5], 0
	s_cbranch_scc1 .LBB193_11
; %bb.10:
	s_ashr_i32 s3, s2, 31
	s_delay_alu instid0(SALU_CYCLE_1) | instskip(NEXT) | instid1(SALU_CYCLE_1)
	s_lshl_b64 s[2:3], s[2:3], 2
	s_add_u32 s2, s4, s2
	s_addc_u32 s3, s5, s3
	s_load_b32 s2, s[2:3], 0x0
	s_waitcnt lgkmcnt(0)
	s_sub_i32 s2, s2, s10
.LBB193_11:
	s_load_b32 s3, s[0:1], 0x4
	v_mul_u32_u24_e32 v1, 0xe39, v0
	v_mov_b32_e32 v6, 0
	s_delay_alu instid0(VALU_DEP_2) | instskip(NEXT) | instid1(VALU_DEP_1)
	v_lshrrev_b32_e32 v1, 16, v1
	v_mul_lo_u16 v2, v1, 18
	s_delay_alu instid0(VALU_DEP_1)
	v_sub_nc_u16 v7, v0, v2
	s_waitcnt lgkmcnt(0)
	s_cmp_eq_u32 s3, 1
	s_cselect_b32 vcc_lo, -1, 0
	s_cmp_lg_u32 s3, 1
	s_cselect_b32 s13, -1, 0
	s_ashr_i32 s3, s2, 31
	s_delay_alu instid0(SALU_CYCLE_1) | instskip(NEXT) | instid1(SALU_CYCLE_1)
	s_lshl_b64 s[4:5], s[2:3], 2
	s_add_u32 s6, s6, s4
	s_addc_u32 s7, s7, s5
	s_add_u32 s3, s6, 4
	s_addc_u32 s14, s7, 0
	;; [unrolled: 2-line block ×3, first 2 shown]
	s_cmp_eq_u64 s[8:9], 0
	s_load_b64 s[8:9], s[0:1], 0x50
	s_cselect_b32 s5, s14, s5
	s_cselect_b32 s4, s3, s4
	s_load_b32 s14, s[6:7], 0x0
	s_load_b32 s3, s[4:5], 0x0
	s_waitcnt lgkmcnt(0)
	s_cmp_ge_i32 s14, s3
	s_cbranch_scc1 .LBB193_16
; %bb.12:
	v_mul_lo_u16 v2, v1, 15
	s_clause 0x1
	s_load_b128 s[4:7], s[0:1], 0x30
	s_load_b64 s[0:1], s[0:1], 0x40
	v_dual_mov_b32 v6, 0 :: v_dual_and_b32 v3, 0xffff, v7
	v_lshrrev_b16 v2, 8, v2
	s_sub_i32 s14, s14, s10
	s_sub_i32 s3, s3, s10
	s_mul_i32 s16, s14, 0x144
	s_mul_hi_i32 s15, s14, 0x144
	v_mul_lo_u16 v2, v2, 18
	s_delay_alu instid0(VALU_DEP_1) | instskip(NEXT) | instid1(VALU_DEP_1)
	v_sub_nc_u16 v1, v1, v2
	v_and_b32_e32 v5, 0xff, v1
	v_and_b32_e32 v4, 0xffff, v0
	s_waitcnt lgkmcnt(0)
	s_add_u32 s6, s6, s16
	s_addc_u32 s7, s7, s15
	v_add_co_u32 v1, s6, s6, v0
	v_cndmask_b32_e32 v3, v3, v5, vcc_lo
	v_mul_u32_u24_e32 v4, 0x195, v4
	v_add_co_ci_u32_e64 v2, null, s7, 0, s6
	s_delay_alu instid0(VALU_DEP_2)
	v_lshrrev_b32_e32 v8, 17, v4
	s_set_inst_prefetch_distance 0x1
	s_branch .LBB193_14
	.p2align	6
.LBB193_13:                             ;   in Loop: Header=BB193_14 Depth=1
	s_or_b32 exec_lo, exec_lo, s6
	s_add_i32 s14, s14, 1
	s_delay_alu instid0(SALU_CYCLE_1)
	s_cmp_lt_i32 s14, s3
	s_cbranch_scc0 .LBB193_16
.LBB193_14:                             ; =>This Inner Loop Header: Depth=1
	s_delay_alu instid0(VALU_DEP_1) | instskip(SKIP_1) | instid1(VALU_DEP_1)
	v_add_nc_u32_e32 v4, s14, v8
	s_mov_b32 s6, exec_lo
	v_cmpx_gt_i32_e64 s3, v4
	s_cbranch_execz .LBB193_13
; %bb.15:                               ;   in Loop: Header=BB193_14 Depth=1
	v_ashrrev_i32_e32 v5, 31, v4
	s_delay_alu instid0(VALU_DEP_1) | instskip(NEXT) | instid1(VALU_DEP_1)
	v_lshlrev_b64 v[4:5], 2, v[4:5]
	v_add_co_u32 v4, vcc_lo, s4, v4
	s_delay_alu instid0(VALU_DEP_2) | instskip(SKIP_3) | instid1(VALU_DEP_1)
	v_add_co_ci_u32_e32 v5, vcc_lo, s5, v5, vcc_lo
	global_load_b32 v4, v[4:5], off
	s_waitcnt vmcnt(0)
	v_subrev_nc_u32_e32 v9, s10, v4
	v_mad_u64_u32 v[4:5], null, v9, 18, v[3:4]
	s_delay_alu instid0(VALU_DEP_1) | instskip(SKIP_1) | instid1(VALU_DEP_2)
	v_ashrrev_i32_e32 v5, 31, v4
	v_add_co_u32 v4, vcc_lo, s0, v4
	v_add_co_ci_u32_e32 v5, vcc_lo, s1, v5, vcc_lo
	global_load_i8 v9, v[1:2], off
	global_load_i8 v4, v[4:5], off
	v_add_co_u32 v1, vcc_lo, 0x144, v1
	v_add_co_ci_u32_e32 v2, vcc_lo, 0, v2, vcc_lo
	s_waitcnt vmcnt(0)
	v_mad_i32_i24 v6, v4, v9, v6
	s_branch .LBB193_13
.LBB193_16:
	s_set_inst_prefetch_distance 0x2
	v_lshlrev_b32_e32 v1, 2, v0
	s_and_b32 vcc_lo, exec_lo, s13
	ds_store_b32 v1, v6
	s_waitcnt lgkmcnt(0)
	s_barrier
	buffer_gl0_inv
	s_cbranch_vccz .LBB193_28
; %bb.17:
	v_cmp_gt_u16_e32 vcc_lo, 2, v7
	s_and_saveexec_b32 s0, vcc_lo
	s_cbranch_execz .LBB193_19
; %bb.18:
	ds_load_2addr_b32 v[2:3], v1 offset1:16
	s_waitcnt lgkmcnt(0)
	v_add_nc_u32_e32 v2, v2, v3
	ds_store_b32 v1, v2
.LBB193_19:
	s_or_b32 exec_lo, exec_lo, s0
	s_delay_alu instid0(SALU_CYCLE_1)
	s_mov_b32 s1, exec_lo
	s_waitcnt lgkmcnt(0)
	s_barrier
	buffer_gl0_inv
	v_cmpx_gt_u16_e32 8, v7
	s_cbranch_execz .LBB193_21
; %bb.20:
	ds_load_2addr_b32 v[2:3], v1 offset1:8
	s_waitcnt lgkmcnt(0)
	v_add_nc_u32_e32 v2, v2, v3
	ds_store_b32 v1, v2
.LBB193_21:
	s_or_b32 exec_lo, exec_lo, s1
	s_delay_alu instid0(SALU_CYCLE_1)
	s_mov_b32 s1, exec_lo
	s_waitcnt lgkmcnt(0)
	s_barrier
	buffer_gl0_inv
	v_cmpx_gt_u16_e32 4, v7
	s_cbranch_execz .LBB193_23
; %bb.22:
	ds_load_2addr_b32 v[2:3], v1 offset1:4
	s_waitcnt lgkmcnt(0)
	v_add_nc_u32_e32 v2, v2, v3
	ds_store_b32 v1, v2
.LBB193_23:
	s_or_b32 exec_lo, exec_lo, s1
	s_waitcnt lgkmcnt(0)
	s_barrier
	buffer_gl0_inv
	s_and_saveexec_b32 s0, vcc_lo
	s_cbranch_execz .LBB193_25
; %bb.24:
	ds_load_2addr_b32 v[2:3], v1 offset1:2
	s_waitcnt lgkmcnt(0)
	v_add_nc_u32_e32 v2, v2, v3
	ds_store_b32 v1, v2
.LBB193_25:
	s_or_b32 exec_lo, exec_lo, s0
	s_mov_b32 s0, 0
	s_mov_b32 s1, 0
	s_mov_b32 s3, exec_lo
	s_waitcnt lgkmcnt(0)
	s_barrier
	buffer_gl0_inv
                                        ; implicit-def: $vgpr2
                                        ; implicit-def: $vgpr3
	v_cmpx_gt_u32_e32 18, v0
	s_xor_b32 s3, exec_lo, s3
; %bb.26:
	v_mul_u32_u24_e32 v3, 18, v0
	s_mov_b32 s1, exec_lo
	s_delay_alu instid0(VALU_DEP_1)
	v_or_b32_e32 v2, 1, v3
	v_lshlrev_b32_e32 v3, 2, v3
; %bb.27:
	s_or_b32 exec_lo, exec_lo, s3
	s_delay_alu instid0(SALU_CYCLE_1)
	s_and_b32 vcc_lo, exec_lo, s0
	s_cbranch_vccnz .LBB193_29
	s_branch .LBB193_40
.LBB193_28:
	s_mov_b32 s1, 0
                                        ; implicit-def: $vgpr2
                                        ; implicit-def: $vgpr3
	s_cbranch_execz .LBB193_40
.LBB193_29:
	v_cmp_gt_u32_e32 vcc_lo, 36, v0
	s_and_saveexec_b32 s0, vcc_lo
	s_cbranch_execz .LBB193_31
; %bb.30:
	ds_load_b32 v2, v1 offset:1152
	ds_load_b32 v3, v1
	s_waitcnt lgkmcnt(0)
	v_add_nc_u32_e32 v2, v3, v2
	ds_store_b32 v1, v2
.LBB193_31:
	s_or_b32 exec_lo, exec_lo, s0
	s_delay_alu instid0(SALU_CYCLE_1)
	s_mov_b32 s3, exec_lo
	s_waitcnt lgkmcnt(0)
	s_barrier
	buffer_gl0_inv
	v_cmpx_gt_u32_e32 0x90, v0
	s_cbranch_execz .LBB193_33
; %bb.32:
	ds_load_2addr_b32 v[2:3], v1 offset1:144
	s_waitcnt lgkmcnt(0)
	v_add_nc_u32_e32 v2, v2, v3
	ds_store_b32 v1, v2
.LBB193_33:
	s_or_b32 exec_lo, exec_lo, s3
	s_delay_alu instid0(SALU_CYCLE_1)
	s_mov_b32 s3, exec_lo
	s_waitcnt lgkmcnt(0)
	s_barrier
	buffer_gl0_inv
	v_cmpx_gt_u32_e32 0x48, v0
	s_cbranch_execz .LBB193_35
; %bb.34:
	ds_load_2addr_b32 v[2:3], v1 offset1:72
	s_waitcnt lgkmcnt(0)
	v_add_nc_u32_e32 v2, v2, v3
	ds_store_b32 v1, v2
.LBB193_35:
	s_or_b32 exec_lo, exec_lo, s3
	s_waitcnt lgkmcnt(0)
	s_barrier
	buffer_gl0_inv
	s_and_saveexec_b32 s0, vcc_lo
	s_cbranch_execz .LBB193_37
; %bb.36:
	ds_load_2addr_b32 v[2:3], v1 offset1:36
	s_waitcnt lgkmcnt(0)
	v_add_nc_u32_e32 v2, v2, v3
	ds_store_b32 v1, v2
.LBB193_37:
	s_or_b32 exec_lo, exec_lo, s0
	s_delay_alu instid0(SALU_CYCLE_1)
	s_mov_b32 s0, exec_lo
	s_waitcnt lgkmcnt(0)
	buffer_gl0_inv
                                        ; implicit-def: $vgpr2
	v_cmpx_gt_u32_e32 18, v0
; %bb.38:
	v_add_nc_u32_e32 v2, 18, v0
	s_or_b32 s1, s1, exec_lo
                                        ; implicit-def: $vgpr6
; %bb.39:
	s_or_b32 exec_lo, exec_lo, s0
	v_mov_b32_e32 v3, v1
.LBB193_40:
	s_and_saveexec_b32 s0, s1
	s_cbranch_execz .LBB193_42
; %bb.41:
	v_lshlrev_b32_e32 v1, 2, v2
	ds_load_b32 v2, v3
	ds_load_b32 v1, v1
	s_waitcnt lgkmcnt(0)
	v_add_nc_u32_e32 v6, v1, v2
.LBB193_42:
	s_or_b32 exec_lo, exec_lo, s0
	s_delay_alu instid0(SALU_CYCLE_1)
	s_mov_b32 s0, exec_lo
	v_cmpx_gt_u32_e32 18, v0
	s_cbranch_execz .LBB193_46
; %bb.43:
	v_mul_lo_u32 v1, v6, s11
	s_cmp_eq_u32 s12, 0
	s_mov_b32 s0, 0
	s_cbranch_scc1 .LBB193_47
; %bb.44:
	s_delay_alu instid0(VALU_DEP_1) | instskip(SKIP_1) | instid1(VALU_DEP_1)
	v_mad_u64_u32 v[2:3], null, s2, 18, v[0:1]
	v_mov_b32_e32 v3, 0
	v_lshlrev_b64 v[2:3], 2, v[2:3]
	s_delay_alu instid0(VALU_DEP_1) | instskip(NEXT) | instid1(VALU_DEP_2)
	v_add_co_u32 v2, vcc_lo, s8, v2
	v_add_co_ci_u32_e32 v3, vcc_lo, s9, v3, vcc_lo
	global_load_b32 v6, v[2:3], off
	s_waitcnt vmcnt(0)
	v_mad_u64_u32 v[4:5], null, v6, s12, v[1:2]
	global_store_b32 v[2:3], v4, off
	s_and_not1_b32 vcc_lo, exec_lo, s0
	s_cbranch_vccnz .LBB193_46
.LBB193_45:
	s_delay_alu instid0(VALU_DEP_1) | instskip(SKIP_1) | instid1(VALU_DEP_1)
	v_mad_u64_u32 v[2:3], null, s2, 18, v[0:1]
	v_mov_b32_e32 v3, 0
	v_lshlrev_b64 v[2:3], 2, v[2:3]
	s_delay_alu instid0(VALU_DEP_1) | instskip(NEXT) | instid1(VALU_DEP_2)
	v_add_co_u32 v2, vcc_lo, s8, v2
	v_add_co_ci_u32_e32 v3, vcc_lo, s9, v3, vcc_lo
	global_store_b32 v[2:3], v1, off
.LBB193_46:
	s_nop 0
	s_sendmsg sendmsg(MSG_DEALLOC_VGPRS)
	s_endpgm
.LBB193_47:
	s_branch .LBB193_45
	.section	.rodata,"a",@progbits
	.p2align	6, 0x0
	.amdhsa_kernel _ZN9rocsparseL20bsrxmvn_17_32_kernelILj18EiiiaaiEEvT2_20rocsparse_direction_NS_24const_host_device_scalarIT0_EES1_PKS1_PKT1_SA_S7_PKT3_PKT4_S5_PT5_21rocsparse_index_base_b
		.amdhsa_group_segment_fixed_size 1296
		.amdhsa_private_segment_fixed_size 0
		.amdhsa_kernarg_size 96
		.amdhsa_user_sgpr_count 15
		.amdhsa_user_sgpr_dispatch_ptr 0
		.amdhsa_user_sgpr_queue_ptr 0
		.amdhsa_user_sgpr_kernarg_segment_ptr 1
		.amdhsa_user_sgpr_dispatch_id 0
		.amdhsa_user_sgpr_private_segment_size 0
		.amdhsa_wavefront_size32 1
		.amdhsa_uses_dynamic_stack 0
		.amdhsa_enable_private_segment 0
		.amdhsa_system_sgpr_workgroup_id_x 1
		.amdhsa_system_sgpr_workgroup_id_y 0
		.amdhsa_system_sgpr_workgroup_id_z 0
		.amdhsa_system_sgpr_workgroup_info 0
		.amdhsa_system_vgpr_workitem_id 0
		.amdhsa_next_free_vgpr 10
		.amdhsa_next_free_sgpr 17
		.amdhsa_reserve_vcc 1
		.amdhsa_float_round_mode_32 0
		.amdhsa_float_round_mode_16_64 0
		.amdhsa_float_denorm_mode_32 3
		.amdhsa_float_denorm_mode_16_64 3
		.amdhsa_dx10_clamp 1
		.amdhsa_ieee_mode 1
		.amdhsa_fp16_overflow 0
		.amdhsa_workgroup_processor_mode 1
		.amdhsa_memory_ordered 1
		.amdhsa_forward_progress 0
		.amdhsa_shared_vgpr_count 0
		.amdhsa_exception_fp_ieee_invalid_op 0
		.amdhsa_exception_fp_denorm_src 0
		.amdhsa_exception_fp_ieee_div_zero 0
		.amdhsa_exception_fp_ieee_overflow 0
		.amdhsa_exception_fp_ieee_underflow 0
		.amdhsa_exception_fp_ieee_inexact 0
		.amdhsa_exception_int_div_zero 0
	.end_amdhsa_kernel
	.section	.text._ZN9rocsparseL20bsrxmvn_17_32_kernelILj18EiiiaaiEEvT2_20rocsparse_direction_NS_24const_host_device_scalarIT0_EES1_PKS1_PKT1_SA_S7_PKT3_PKT4_S5_PT5_21rocsparse_index_base_b,"axG",@progbits,_ZN9rocsparseL20bsrxmvn_17_32_kernelILj18EiiiaaiEEvT2_20rocsparse_direction_NS_24const_host_device_scalarIT0_EES1_PKS1_PKT1_SA_S7_PKT3_PKT4_S5_PT5_21rocsparse_index_base_b,comdat
.Lfunc_end193:
	.size	_ZN9rocsparseL20bsrxmvn_17_32_kernelILj18EiiiaaiEEvT2_20rocsparse_direction_NS_24const_host_device_scalarIT0_EES1_PKS1_PKT1_SA_S7_PKT3_PKT4_S5_PT5_21rocsparse_index_base_b, .Lfunc_end193-_ZN9rocsparseL20bsrxmvn_17_32_kernelILj18EiiiaaiEEvT2_20rocsparse_direction_NS_24const_host_device_scalarIT0_EES1_PKS1_PKT1_SA_S7_PKT3_PKT4_S5_PT5_21rocsparse_index_base_b
                                        ; -- End function
	.section	.AMDGPU.csdata,"",@progbits
; Kernel info:
; codeLenInByte = 1552
; NumSgprs: 19
; NumVgprs: 10
; ScratchSize: 0
; MemoryBound: 0
; FloatMode: 240
; IeeeMode: 1
; LDSByteSize: 1296 bytes/workgroup (compile time only)
; SGPRBlocks: 2
; VGPRBlocks: 1
; NumSGPRsForWavesPerEU: 19
; NumVGPRsForWavesPerEU: 10
; Occupancy: 14
; WaveLimiterHint : 1
; COMPUTE_PGM_RSRC2:SCRATCH_EN: 0
; COMPUTE_PGM_RSRC2:USER_SGPR: 15
; COMPUTE_PGM_RSRC2:TRAP_HANDLER: 0
; COMPUTE_PGM_RSRC2:TGID_X_EN: 1
; COMPUTE_PGM_RSRC2:TGID_Y_EN: 0
; COMPUTE_PGM_RSRC2:TGID_Z_EN: 0
; COMPUTE_PGM_RSRC2:TIDIG_COMP_CNT: 0
	.section	.text._ZN9rocsparseL20bsrxmvn_17_32_kernelILj19EiiiaaiEEvT2_20rocsparse_direction_NS_24const_host_device_scalarIT0_EES1_PKS1_PKT1_SA_S7_PKT3_PKT4_S5_PT5_21rocsparse_index_base_b,"axG",@progbits,_ZN9rocsparseL20bsrxmvn_17_32_kernelILj19EiiiaaiEEvT2_20rocsparse_direction_NS_24const_host_device_scalarIT0_EES1_PKS1_PKT1_SA_S7_PKT3_PKT4_S5_PT5_21rocsparse_index_base_b,comdat
	.globl	_ZN9rocsparseL20bsrxmvn_17_32_kernelILj19EiiiaaiEEvT2_20rocsparse_direction_NS_24const_host_device_scalarIT0_EES1_PKS1_PKT1_SA_S7_PKT3_PKT4_S5_PT5_21rocsparse_index_base_b ; -- Begin function _ZN9rocsparseL20bsrxmvn_17_32_kernelILj19EiiiaaiEEvT2_20rocsparse_direction_NS_24const_host_device_scalarIT0_EES1_PKS1_PKT1_SA_S7_PKT3_PKT4_S5_PT5_21rocsparse_index_base_b
	.p2align	8
	.type	_ZN9rocsparseL20bsrxmvn_17_32_kernelILj19EiiiaaiEEvT2_20rocsparse_direction_NS_24const_host_device_scalarIT0_EES1_PKS1_PKT1_SA_S7_PKT3_PKT4_S5_PT5_21rocsparse_index_base_b,@function
_ZN9rocsparseL20bsrxmvn_17_32_kernelILj19EiiiaaiEEvT2_20rocsparse_direction_NS_24const_host_device_scalarIT0_EES1_PKS1_PKT1_SA_S7_PKT3_PKT4_S5_PT5_21rocsparse_index_base_b: ; @_ZN9rocsparseL20bsrxmvn_17_32_kernelILj19EiiiaaiEEvT2_20rocsparse_direction_NS_24const_host_device_scalarIT0_EES1_PKS1_PKT1_SA_S7_PKT3_PKT4_S5_PT5_21rocsparse_index_base_b
; %bb.0:
	s_clause 0x1
	s_load_b64 s[10:11], s[0:1], 0x58
	s_load_b64 s[6:7], s[0:1], 0x8
	s_mov_b32 s2, s15
	s_mov_b32 s8, -1
	s_waitcnt lgkmcnt(0)
	s_bitcmp1_b32 s11, 0
                                        ; implicit-def: $sgpr11
	s_cselect_b32 s3, -1, 0
	s_delay_alu instid0(SALU_CYCLE_1) | instskip(NEXT) | instid1(SALU_CYCLE_1)
	s_xor_b32 s3, s3, -1
	s_and_b32 vcc_lo, exec_lo, s3
	s_cbranch_vccnz .LBB194_4
; %bb.1:
	s_load_b64 s[4:5], s[0:1], 0x48
	s_and_not1_b32 vcc_lo, exec_lo, s8
	s_cbranch_vccz .LBB194_5
.LBB194_2:
	s_and_b32 vcc_lo, exec_lo, s3
	s_cbranch_vccz .LBB194_6
.LBB194_3:
	s_waitcnt lgkmcnt(0)
	s_load_b32 s12, s[4:5], 0x0
	s_cbranch_execz .LBB194_7
	s_branch .LBB194_8
.LBB194_4:
	s_load_b32 s11, s[6:7], 0x0
	s_load_b64 s[4:5], s[0:1], 0x48
	s_cbranch_execnz .LBB194_2
.LBB194_5:
	s_waitcnt lgkmcnt(0)
	s_mov_b32 s11, s6
	s_and_b32 vcc_lo, exec_lo, s3
	s_cbranch_vccnz .LBB194_3
.LBB194_6:
                                        ; implicit-def: $sgpr12
.LBB194_7:
	s_waitcnt lgkmcnt(0)
	s_mov_b32 s12, s4
.LBB194_8:
	s_waitcnt lgkmcnt(0)
	s_cmp_lg_u32 s11, 0
	s_cselect_b32 s3, -1, 0
	s_cmp_lg_u32 s12, 1
	s_cselect_b32 s4, -1, 0
	s_delay_alu instid0(SALU_CYCLE_1) | instskip(NEXT) | instid1(SALU_CYCLE_1)
	s_or_b32 s3, s3, s4
	s_and_not1_b32 vcc_lo, exec_lo, s3
	s_cbranch_vccnz .LBB194_46
; %bb.9:
	s_clause 0x1
	s_load_b128 s[4:7], s[0:1], 0x18
	s_load_b64 s[8:9], s[0:1], 0x28
	s_waitcnt lgkmcnt(0)
	s_cmp_eq_u64 s[4:5], 0
	s_cbranch_scc1 .LBB194_11
; %bb.10:
	s_ashr_i32 s3, s2, 31
	s_delay_alu instid0(SALU_CYCLE_1) | instskip(NEXT) | instid1(SALU_CYCLE_1)
	s_lshl_b64 s[2:3], s[2:3], 2
	s_add_u32 s2, s4, s2
	s_addc_u32 s3, s5, s3
	s_load_b32 s2, s[2:3], 0x0
	s_waitcnt lgkmcnt(0)
	s_sub_i32 s2, s2, s10
.LBB194_11:
	s_load_b32 s3, s[0:1], 0x4
	v_mul_u32_u24_e32 v1, 0xd7a, v0
	v_mov_b32_e32 v6, 0
	s_delay_alu instid0(VALU_DEP_2) | instskip(NEXT) | instid1(VALU_DEP_1)
	v_lshrrev_b32_e32 v1, 16, v1
	v_mul_lo_u16 v2, v1, 19
	s_delay_alu instid0(VALU_DEP_1)
	v_sub_nc_u16 v7, v0, v2
	s_waitcnt lgkmcnt(0)
	s_cmp_eq_u32 s3, 1
	s_cselect_b32 vcc_lo, -1, 0
	s_cmp_lg_u32 s3, 1
	s_cselect_b32 s13, -1, 0
	s_ashr_i32 s3, s2, 31
	s_delay_alu instid0(SALU_CYCLE_1) | instskip(NEXT) | instid1(SALU_CYCLE_1)
	s_lshl_b64 s[4:5], s[2:3], 2
	s_add_u32 s6, s6, s4
	s_addc_u32 s7, s7, s5
	s_add_u32 s3, s6, 4
	s_addc_u32 s14, s7, 0
	;; [unrolled: 2-line block ×3, first 2 shown]
	s_cmp_eq_u64 s[8:9], 0
	s_load_b64 s[8:9], s[0:1], 0x50
	s_cselect_b32 s5, s14, s5
	s_cselect_b32 s4, s3, s4
	s_load_b32 s14, s[6:7], 0x0
	s_load_b32 s3, s[4:5], 0x0
	s_waitcnt lgkmcnt(0)
	s_cmp_ge_i32 s14, s3
	s_cbranch_scc1 .LBB194_16
; %bb.12:
	v_mul_lo_u16 v2, v1, 14
	s_clause 0x1
	s_load_b128 s[4:7], s[0:1], 0x30
	s_load_b64 s[0:1], s[0:1], 0x40
	v_dual_mov_b32 v6, 0 :: v_dual_and_b32 v3, 0xffff, v7
	v_lshrrev_b16 v2, 8, v2
	s_sub_i32 s14, s14, s10
	s_sub_i32 s3, s3, s10
	s_mul_i32 s16, s14, 0x169
	s_mul_hi_i32 s15, s14, 0x169
	v_mul_lo_u16 v2, v2, 19
	s_delay_alu instid0(VALU_DEP_1) | instskip(NEXT) | instid1(VALU_DEP_1)
	v_sub_nc_u16 v1, v1, v2
	v_and_b32_e32 v5, 0xff, v1
	v_and_b32_e32 v4, 0xffff, v0
	s_waitcnt lgkmcnt(0)
	s_add_u32 s6, s6, s16
	s_addc_u32 s7, s7, s15
	v_add_co_u32 v1, s6, s6, v0
	v_cndmask_b32_e32 v3, v3, v5, vcc_lo
	v_mul_u32_u24_e32 v4, 0xb6, v4
	v_add_co_ci_u32_e64 v2, null, s7, 0, s6
	s_delay_alu instid0(VALU_DEP_2)
	v_lshrrev_b32_e32 v8, 16, v4
	s_set_inst_prefetch_distance 0x1
	s_branch .LBB194_14
	.p2align	6
.LBB194_13:                             ;   in Loop: Header=BB194_14 Depth=1
	s_or_b32 exec_lo, exec_lo, s6
	s_add_i32 s14, s14, 1
	s_delay_alu instid0(SALU_CYCLE_1)
	s_cmp_lt_i32 s14, s3
	s_cbranch_scc0 .LBB194_16
.LBB194_14:                             ; =>This Inner Loop Header: Depth=1
	s_delay_alu instid0(VALU_DEP_1) | instskip(SKIP_1) | instid1(VALU_DEP_1)
	v_add_nc_u32_e32 v4, s14, v8
	s_mov_b32 s6, exec_lo
	v_cmpx_gt_i32_e64 s3, v4
	s_cbranch_execz .LBB194_13
; %bb.15:                               ;   in Loop: Header=BB194_14 Depth=1
	v_ashrrev_i32_e32 v5, 31, v4
	s_delay_alu instid0(VALU_DEP_1) | instskip(NEXT) | instid1(VALU_DEP_1)
	v_lshlrev_b64 v[4:5], 2, v[4:5]
	v_add_co_u32 v4, vcc_lo, s4, v4
	s_delay_alu instid0(VALU_DEP_2) | instskip(SKIP_3) | instid1(VALU_DEP_1)
	v_add_co_ci_u32_e32 v5, vcc_lo, s5, v5, vcc_lo
	global_load_b32 v4, v[4:5], off
	s_waitcnt vmcnt(0)
	v_subrev_nc_u32_e32 v9, s10, v4
	v_mad_u64_u32 v[4:5], null, v9, 19, v[3:4]
	s_delay_alu instid0(VALU_DEP_1) | instskip(SKIP_1) | instid1(VALU_DEP_2)
	v_ashrrev_i32_e32 v5, 31, v4
	v_add_co_u32 v4, vcc_lo, s0, v4
	v_add_co_ci_u32_e32 v5, vcc_lo, s1, v5, vcc_lo
	global_load_i8 v9, v[1:2], off
	global_load_i8 v4, v[4:5], off
	v_add_co_u32 v1, vcc_lo, 0x169, v1
	v_add_co_ci_u32_e32 v2, vcc_lo, 0, v2, vcc_lo
	s_waitcnt vmcnt(0)
	v_mad_i32_i24 v6, v4, v9, v6
	s_branch .LBB194_13
.LBB194_16:
	s_set_inst_prefetch_distance 0x2
	v_lshlrev_b32_e32 v1, 2, v0
	s_and_b32 vcc_lo, exec_lo, s13
	ds_store_b32 v1, v6
	s_waitcnt lgkmcnt(0)
	s_barrier
	buffer_gl0_inv
	s_cbranch_vccz .LBB194_28
; %bb.17:
	s_mov_b32 s0, exec_lo
	v_cmpx_gt_u16_e32 3, v7
	s_cbranch_execz .LBB194_19
; %bb.18:
	ds_load_2addr_b32 v[2:3], v1 offset1:16
	s_waitcnt lgkmcnt(0)
	v_add_nc_u32_e32 v2, v2, v3
	ds_store_b32 v1, v2
.LBB194_19:
	s_or_b32 exec_lo, exec_lo, s0
	s_delay_alu instid0(SALU_CYCLE_1)
	s_mov_b32 s0, exec_lo
	s_waitcnt lgkmcnt(0)
	s_barrier
	buffer_gl0_inv
	v_cmpx_gt_u16_e32 8, v7
	s_cbranch_execz .LBB194_21
; %bb.20:
	ds_load_2addr_b32 v[2:3], v1 offset1:8
	s_waitcnt lgkmcnt(0)
	v_add_nc_u32_e32 v2, v2, v3
	ds_store_b32 v1, v2
.LBB194_21:
	s_or_b32 exec_lo, exec_lo, s0
	s_delay_alu instid0(SALU_CYCLE_1)
	s_mov_b32 s0, exec_lo
	s_waitcnt lgkmcnt(0)
	s_barrier
	buffer_gl0_inv
	;; [unrolled: 14-line block ×3, first 2 shown]
	v_cmpx_gt_u16_e32 2, v7
	s_cbranch_execz .LBB194_25
; %bb.24:
	ds_load_2addr_b32 v[2:3], v1 offset1:2
	s_waitcnt lgkmcnt(0)
	v_add_nc_u32_e32 v2, v2, v3
	ds_store_b32 v1, v2
.LBB194_25:
	s_or_b32 exec_lo, exec_lo, s0
	s_mov_b32 s1, 0
	s_mov_b32 s0, 0
	s_mov_b32 s3, exec_lo
	s_waitcnt lgkmcnt(0)
	s_barrier
	buffer_gl0_inv
                                        ; implicit-def: $vgpr2
                                        ; implicit-def: $vgpr3
	v_cmpx_gt_u32_e32 19, v0
	s_xor_b32 s3, exec_lo, s3
; %bb.26:
	v_mul_u32_u24_e32 v3, 19, v0
	v_mad_u32_u24 v2, v0, 19, 1
	s_mov_b32 s0, exec_lo
	s_delay_alu instid0(VALU_DEP_2)
	v_lshlrev_b32_e32 v3, 2, v3
; %bb.27:
	s_or_b32 exec_lo, exec_lo, s3
	s_delay_alu instid0(SALU_CYCLE_1)
	s_and_b32 vcc_lo, exec_lo, s1
	s_cbranch_vccnz .LBB194_29
	s_branch .LBB194_40
.LBB194_28:
	s_mov_b32 s0, 0
                                        ; implicit-def: $vgpr2
                                        ; implicit-def: $vgpr3
	s_cbranch_execz .LBB194_40
.LBB194_29:
	s_mov_b32 s1, exec_lo
	v_cmpx_gt_u32_e32 57, v0
	s_cbranch_execz .LBB194_31
; %bb.30:
	ds_load_b32 v2, v1 offset:1216
	ds_load_b32 v3, v1
	s_waitcnt lgkmcnt(0)
	v_add_nc_u32_e32 v2, v3, v2
	ds_store_b32 v1, v2
.LBB194_31:
	s_or_b32 exec_lo, exec_lo, s1
	s_delay_alu instid0(SALU_CYCLE_1)
	s_mov_b32 s1, exec_lo
	s_waitcnt lgkmcnt(0)
	s_barrier
	buffer_gl0_inv
	v_cmpx_gt_u32_e32 0x98, v0
	s_cbranch_execz .LBB194_33
; %bb.32:
	ds_load_2addr_b32 v[2:3], v1 offset1:152
	s_waitcnt lgkmcnt(0)
	v_add_nc_u32_e32 v2, v2, v3
	ds_store_b32 v1, v2
.LBB194_33:
	s_or_b32 exec_lo, exec_lo, s1
	s_delay_alu instid0(SALU_CYCLE_1)
	s_mov_b32 s1, exec_lo
	s_waitcnt lgkmcnt(0)
	s_barrier
	buffer_gl0_inv
	v_cmpx_gt_u32_e32 0x4c, v0
	s_cbranch_execz .LBB194_35
; %bb.34:
	ds_load_2addr_b32 v[2:3], v1 offset1:76
	s_waitcnt lgkmcnt(0)
	v_add_nc_u32_e32 v2, v2, v3
	ds_store_b32 v1, v2
.LBB194_35:
	;; [unrolled: 14-line block ×3, first 2 shown]
	s_or_b32 exec_lo, exec_lo, s1
	s_delay_alu instid0(SALU_CYCLE_1)
	s_mov_b32 s1, exec_lo
	s_waitcnt lgkmcnt(0)
	buffer_gl0_inv
                                        ; implicit-def: $vgpr2
	v_cmpx_gt_u32_e32 19, v0
; %bb.38:
	v_add_nc_u32_e32 v2, 19, v0
	s_or_b32 s0, s0, exec_lo
                                        ; implicit-def: $vgpr6
; %bb.39:
	s_or_b32 exec_lo, exec_lo, s1
	v_mov_b32_e32 v3, v1
.LBB194_40:
	s_and_saveexec_b32 s1, s0
	s_cbranch_execz .LBB194_42
; %bb.41:
	v_lshlrev_b32_e32 v1, 2, v2
	ds_load_b32 v2, v3
	ds_load_b32 v1, v1
	s_waitcnt lgkmcnt(0)
	v_add_nc_u32_e32 v6, v1, v2
.LBB194_42:
	s_or_b32 exec_lo, exec_lo, s1
	s_delay_alu instid0(SALU_CYCLE_1)
	s_mov_b32 s0, exec_lo
	v_cmpx_gt_u32_e32 19, v0
	s_cbranch_execz .LBB194_46
; %bb.43:
	v_mul_lo_u32 v1, v6, s11
	s_cmp_eq_u32 s12, 0
	s_mov_b32 s0, 0
	s_cbranch_scc1 .LBB194_47
; %bb.44:
	s_delay_alu instid0(VALU_DEP_1) | instskip(SKIP_1) | instid1(VALU_DEP_1)
	v_mad_u64_u32 v[2:3], null, s2, 19, v[0:1]
	v_mov_b32_e32 v3, 0
	v_lshlrev_b64 v[2:3], 2, v[2:3]
	s_delay_alu instid0(VALU_DEP_1) | instskip(NEXT) | instid1(VALU_DEP_2)
	v_add_co_u32 v2, vcc_lo, s8, v2
	v_add_co_ci_u32_e32 v3, vcc_lo, s9, v3, vcc_lo
	global_load_b32 v6, v[2:3], off
	s_waitcnt vmcnt(0)
	v_mad_u64_u32 v[4:5], null, v6, s12, v[1:2]
	global_store_b32 v[2:3], v4, off
	s_and_not1_b32 vcc_lo, exec_lo, s0
	s_cbranch_vccnz .LBB194_46
.LBB194_45:
	s_delay_alu instid0(VALU_DEP_1) | instskip(SKIP_1) | instid1(VALU_DEP_1)
	v_mad_u64_u32 v[2:3], null, s2, 19, v[0:1]
	v_mov_b32_e32 v3, 0
	v_lshlrev_b64 v[2:3], 2, v[2:3]
	s_delay_alu instid0(VALU_DEP_1) | instskip(NEXT) | instid1(VALU_DEP_2)
	v_add_co_u32 v2, vcc_lo, s8, v2
	v_add_co_ci_u32_e32 v3, vcc_lo, s9, v3, vcc_lo
	global_store_b32 v[2:3], v1, off
.LBB194_46:
	s_nop 0
	s_sendmsg sendmsg(MSG_DEALLOC_VGPRS)
	s_endpgm
.LBB194_47:
	s_branch .LBB194_45
	.section	.rodata,"a",@progbits
	.p2align	6, 0x0
	.amdhsa_kernel _ZN9rocsparseL20bsrxmvn_17_32_kernelILj19EiiiaaiEEvT2_20rocsparse_direction_NS_24const_host_device_scalarIT0_EES1_PKS1_PKT1_SA_S7_PKT3_PKT4_S5_PT5_21rocsparse_index_base_b
		.amdhsa_group_segment_fixed_size 1444
		.amdhsa_private_segment_fixed_size 0
		.amdhsa_kernarg_size 96
		.amdhsa_user_sgpr_count 15
		.amdhsa_user_sgpr_dispatch_ptr 0
		.amdhsa_user_sgpr_queue_ptr 0
		.amdhsa_user_sgpr_kernarg_segment_ptr 1
		.amdhsa_user_sgpr_dispatch_id 0
		.amdhsa_user_sgpr_private_segment_size 0
		.amdhsa_wavefront_size32 1
		.amdhsa_uses_dynamic_stack 0
		.amdhsa_enable_private_segment 0
		.amdhsa_system_sgpr_workgroup_id_x 1
		.amdhsa_system_sgpr_workgroup_id_y 0
		.amdhsa_system_sgpr_workgroup_id_z 0
		.amdhsa_system_sgpr_workgroup_info 0
		.amdhsa_system_vgpr_workitem_id 0
		.amdhsa_next_free_vgpr 10
		.amdhsa_next_free_sgpr 17
		.amdhsa_reserve_vcc 1
		.amdhsa_float_round_mode_32 0
		.amdhsa_float_round_mode_16_64 0
		.amdhsa_float_denorm_mode_32 3
		.amdhsa_float_denorm_mode_16_64 3
		.amdhsa_dx10_clamp 1
		.amdhsa_ieee_mode 1
		.amdhsa_fp16_overflow 0
		.amdhsa_workgroup_processor_mode 1
		.amdhsa_memory_ordered 1
		.amdhsa_forward_progress 0
		.amdhsa_shared_vgpr_count 0
		.amdhsa_exception_fp_ieee_invalid_op 0
		.amdhsa_exception_fp_denorm_src 0
		.amdhsa_exception_fp_ieee_div_zero 0
		.amdhsa_exception_fp_ieee_overflow 0
		.amdhsa_exception_fp_ieee_underflow 0
		.amdhsa_exception_fp_ieee_inexact 0
		.amdhsa_exception_int_div_zero 0
	.end_amdhsa_kernel
	.section	.text._ZN9rocsparseL20bsrxmvn_17_32_kernelILj19EiiiaaiEEvT2_20rocsparse_direction_NS_24const_host_device_scalarIT0_EES1_PKS1_PKT1_SA_S7_PKT3_PKT4_S5_PT5_21rocsparse_index_base_b,"axG",@progbits,_ZN9rocsparseL20bsrxmvn_17_32_kernelILj19EiiiaaiEEvT2_20rocsparse_direction_NS_24const_host_device_scalarIT0_EES1_PKS1_PKT1_SA_S7_PKT3_PKT4_S5_PT5_21rocsparse_index_base_b,comdat
.Lfunc_end194:
	.size	_ZN9rocsparseL20bsrxmvn_17_32_kernelILj19EiiiaaiEEvT2_20rocsparse_direction_NS_24const_host_device_scalarIT0_EES1_PKS1_PKT1_SA_S7_PKT3_PKT4_S5_PT5_21rocsparse_index_base_b, .Lfunc_end194-_ZN9rocsparseL20bsrxmvn_17_32_kernelILj19EiiiaaiEEvT2_20rocsparse_direction_NS_24const_host_device_scalarIT0_EES1_PKS1_PKT1_SA_S7_PKT3_PKT4_S5_PT5_21rocsparse_index_base_b
                                        ; -- End function
	.section	.AMDGPU.csdata,"",@progbits
; Kernel info:
; codeLenInByte = 1572
; NumSgprs: 19
; NumVgprs: 10
; ScratchSize: 0
; MemoryBound: 0
; FloatMode: 240
; IeeeMode: 1
; LDSByteSize: 1444 bytes/workgroup (compile time only)
; SGPRBlocks: 2
; VGPRBlocks: 1
; NumSGPRsForWavesPerEU: 19
; NumVGPRsForWavesPerEU: 10
; Occupancy: 15
; WaveLimiterHint : 1
; COMPUTE_PGM_RSRC2:SCRATCH_EN: 0
; COMPUTE_PGM_RSRC2:USER_SGPR: 15
; COMPUTE_PGM_RSRC2:TRAP_HANDLER: 0
; COMPUTE_PGM_RSRC2:TGID_X_EN: 1
; COMPUTE_PGM_RSRC2:TGID_Y_EN: 0
; COMPUTE_PGM_RSRC2:TGID_Z_EN: 0
; COMPUTE_PGM_RSRC2:TIDIG_COMP_CNT: 0
	.section	.text._ZN9rocsparseL20bsrxmvn_17_32_kernelILj20EiiiaaiEEvT2_20rocsparse_direction_NS_24const_host_device_scalarIT0_EES1_PKS1_PKT1_SA_S7_PKT3_PKT4_S5_PT5_21rocsparse_index_base_b,"axG",@progbits,_ZN9rocsparseL20bsrxmvn_17_32_kernelILj20EiiiaaiEEvT2_20rocsparse_direction_NS_24const_host_device_scalarIT0_EES1_PKS1_PKT1_SA_S7_PKT3_PKT4_S5_PT5_21rocsparse_index_base_b,comdat
	.globl	_ZN9rocsparseL20bsrxmvn_17_32_kernelILj20EiiiaaiEEvT2_20rocsparse_direction_NS_24const_host_device_scalarIT0_EES1_PKS1_PKT1_SA_S7_PKT3_PKT4_S5_PT5_21rocsparse_index_base_b ; -- Begin function _ZN9rocsparseL20bsrxmvn_17_32_kernelILj20EiiiaaiEEvT2_20rocsparse_direction_NS_24const_host_device_scalarIT0_EES1_PKS1_PKT1_SA_S7_PKT3_PKT4_S5_PT5_21rocsparse_index_base_b
	.p2align	8
	.type	_ZN9rocsparseL20bsrxmvn_17_32_kernelILj20EiiiaaiEEvT2_20rocsparse_direction_NS_24const_host_device_scalarIT0_EES1_PKS1_PKT1_SA_S7_PKT3_PKT4_S5_PT5_21rocsparse_index_base_b,@function
_ZN9rocsparseL20bsrxmvn_17_32_kernelILj20EiiiaaiEEvT2_20rocsparse_direction_NS_24const_host_device_scalarIT0_EES1_PKS1_PKT1_SA_S7_PKT3_PKT4_S5_PT5_21rocsparse_index_base_b: ; @_ZN9rocsparseL20bsrxmvn_17_32_kernelILj20EiiiaaiEEvT2_20rocsparse_direction_NS_24const_host_device_scalarIT0_EES1_PKS1_PKT1_SA_S7_PKT3_PKT4_S5_PT5_21rocsparse_index_base_b
; %bb.0:
	s_clause 0x1
	s_load_b64 s[10:11], s[0:1], 0x58
	s_load_b64 s[6:7], s[0:1], 0x8
	s_mov_b32 s2, s15
	s_mov_b32 s8, -1
	s_waitcnt lgkmcnt(0)
	s_bitcmp1_b32 s11, 0
                                        ; implicit-def: $sgpr11
	s_cselect_b32 s3, -1, 0
	s_delay_alu instid0(SALU_CYCLE_1) | instskip(NEXT) | instid1(SALU_CYCLE_1)
	s_xor_b32 s3, s3, -1
	s_and_b32 vcc_lo, exec_lo, s3
	s_cbranch_vccnz .LBB195_4
; %bb.1:
	s_load_b64 s[4:5], s[0:1], 0x48
	s_and_not1_b32 vcc_lo, exec_lo, s8
	s_cbranch_vccz .LBB195_5
.LBB195_2:
	s_and_b32 vcc_lo, exec_lo, s3
	s_cbranch_vccz .LBB195_6
.LBB195_3:
	s_waitcnt lgkmcnt(0)
	s_load_b32 s12, s[4:5], 0x0
	s_cbranch_execz .LBB195_7
	s_branch .LBB195_8
.LBB195_4:
	s_load_b32 s11, s[6:7], 0x0
	s_load_b64 s[4:5], s[0:1], 0x48
	s_cbranch_execnz .LBB195_2
.LBB195_5:
	s_waitcnt lgkmcnt(0)
	s_mov_b32 s11, s6
	s_and_b32 vcc_lo, exec_lo, s3
	s_cbranch_vccnz .LBB195_3
.LBB195_6:
                                        ; implicit-def: $sgpr12
.LBB195_7:
	s_waitcnt lgkmcnt(0)
	s_mov_b32 s12, s4
.LBB195_8:
	s_waitcnt lgkmcnt(0)
	s_cmp_lg_u32 s11, 0
	s_cselect_b32 s3, -1, 0
	s_cmp_lg_u32 s12, 1
	s_cselect_b32 s4, -1, 0
	s_delay_alu instid0(SALU_CYCLE_1) | instskip(NEXT) | instid1(SALU_CYCLE_1)
	s_or_b32 s3, s3, s4
	s_and_not1_b32 vcc_lo, exec_lo, s3
	s_cbranch_vccnz .LBB195_46
; %bb.9:
	s_clause 0x1
	s_load_b128 s[4:7], s[0:1], 0x18
	s_load_b64 s[8:9], s[0:1], 0x28
	s_waitcnt lgkmcnt(0)
	s_cmp_eq_u64 s[4:5], 0
	s_cbranch_scc1 .LBB195_11
; %bb.10:
	s_ashr_i32 s3, s2, 31
	s_delay_alu instid0(SALU_CYCLE_1) | instskip(NEXT) | instid1(SALU_CYCLE_1)
	s_lshl_b64 s[2:3], s[2:3], 2
	s_add_u32 s2, s4, s2
	s_addc_u32 s3, s5, s3
	s_load_b32 s2, s[2:3], 0x0
	s_waitcnt lgkmcnt(0)
	s_sub_i32 s2, s2, s10
.LBB195_11:
	s_load_b32 s3, s[0:1], 0x4
	v_mul_u32_u24_e32 v1, 0xccd, v0
	v_mov_b32_e32 v6, 0
	s_delay_alu instid0(VALU_DEP_2) | instskip(NEXT) | instid1(VALU_DEP_1)
	v_lshrrev_b32_e32 v1, 16, v1
	v_mul_lo_u16 v2, v1, 20
	s_delay_alu instid0(VALU_DEP_1)
	v_sub_nc_u16 v7, v0, v2
	s_waitcnt lgkmcnt(0)
	s_cmp_eq_u32 s3, 1
	s_cselect_b32 vcc_lo, -1, 0
	s_cmp_lg_u32 s3, 1
	s_cselect_b32 s13, -1, 0
	s_ashr_i32 s3, s2, 31
	s_delay_alu instid0(SALU_CYCLE_1) | instskip(NEXT) | instid1(SALU_CYCLE_1)
	s_lshl_b64 s[4:5], s[2:3], 2
	s_add_u32 s6, s6, s4
	s_addc_u32 s7, s7, s5
	s_add_u32 s3, s6, 4
	s_addc_u32 s14, s7, 0
	;; [unrolled: 2-line block ×3, first 2 shown]
	s_cmp_eq_u64 s[8:9], 0
	s_load_b64 s[8:9], s[0:1], 0x50
	s_cselect_b32 s5, s14, s5
	s_cselect_b32 s4, s3, s4
	s_load_b32 s14, s[6:7], 0x0
	s_load_b32 s3, s[4:5], 0x0
	s_waitcnt lgkmcnt(0)
	s_cmp_ge_i32 s14, s3
	s_cbranch_scc1 .LBB195_16
; %bb.12:
	v_mul_lo_u16 v2, v1, 13
	s_clause 0x1
	s_load_b128 s[4:7], s[0:1], 0x30
	s_load_b64 s[0:1], s[0:1], 0x40
	v_dual_mov_b32 v6, 0 :: v_dual_and_b32 v3, 0xffff, v7
	v_lshrrev_b16 v2, 8, v2
	s_sub_i32 s14, s14, s10
	s_sub_i32 s3, s3, s10
	s_mul_i32 s16, s14, 0x190
	s_mul_hi_i32 s15, s14, 0x190
	v_mul_lo_u16 v2, v2, 20
	s_delay_alu instid0(VALU_DEP_1) | instskip(NEXT) | instid1(VALU_DEP_1)
	v_sub_nc_u16 v1, v1, v2
	v_and_b32_e32 v5, 0xff, v1
	v_and_b32_e32 v4, 0xffff, v0
	s_waitcnt lgkmcnt(0)
	s_add_u32 s6, s6, s16
	s_addc_u32 s7, s7, s15
	v_add_co_u32 v1, s6, s6, v0
	v_cndmask_b32_e32 v3, v3, v5, vcc_lo
	v_mul_u32_u24_e32 v4, 0xa4, v4
	v_add_co_ci_u32_e64 v2, null, s7, 0, s6
	s_delay_alu instid0(VALU_DEP_2)
	v_lshrrev_b32_e32 v8, 16, v4
	s_set_inst_prefetch_distance 0x1
	s_branch .LBB195_14
	.p2align	6
.LBB195_13:                             ;   in Loop: Header=BB195_14 Depth=1
	s_or_b32 exec_lo, exec_lo, s6
	s_add_i32 s14, s14, 1
	s_delay_alu instid0(SALU_CYCLE_1)
	s_cmp_lt_i32 s14, s3
	s_cbranch_scc0 .LBB195_16
.LBB195_14:                             ; =>This Inner Loop Header: Depth=1
	s_delay_alu instid0(VALU_DEP_1) | instskip(SKIP_1) | instid1(VALU_DEP_1)
	v_add_nc_u32_e32 v4, s14, v8
	s_mov_b32 s6, exec_lo
	v_cmpx_gt_i32_e64 s3, v4
	s_cbranch_execz .LBB195_13
; %bb.15:                               ;   in Loop: Header=BB195_14 Depth=1
	v_ashrrev_i32_e32 v5, 31, v4
	s_delay_alu instid0(VALU_DEP_1) | instskip(NEXT) | instid1(VALU_DEP_1)
	v_lshlrev_b64 v[4:5], 2, v[4:5]
	v_add_co_u32 v4, vcc_lo, s4, v4
	s_delay_alu instid0(VALU_DEP_2) | instskip(SKIP_3) | instid1(VALU_DEP_1)
	v_add_co_ci_u32_e32 v5, vcc_lo, s5, v5, vcc_lo
	global_load_b32 v4, v[4:5], off
	s_waitcnt vmcnt(0)
	v_subrev_nc_u32_e32 v9, s10, v4
	v_mad_u64_u32 v[4:5], null, v9, 20, v[3:4]
	s_delay_alu instid0(VALU_DEP_1) | instskip(SKIP_1) | instid1(VALU_DEP_2)
	v_ashrrev_i32_e32 v5, 31, v4
	v_add_co_u32 v4, vcc_lo, s0, v4
	v_add_co_ci_u32_e32 v5, vcc_lo, s1, v5, vcc_lo
	global_load_i8 v9, v[1:2], off
	global_load_i8 v4, v[4:5], off
	v_add_co_u32 v1, vcc_lo, 0x190, v1
	v_add_co_ci_u32_e32 v2, vcc_lo, 0, v2, vcc_lo
	s_waitcnt vmcnt(0)
	v_mad_i32_i24 v6, v4, v9, v6
	s_branch .LBB195_13
.LBB195_16:
	s_set_inst_prefetch_distance 0x2
	v_lshlrev_b32_e32 v1, 2, v0
	s_and_b32 vcc_lo, exec_lo, s13
	ds_store_b32 v1, v6
	s_waitcnt lgkmcnt(0)
	s_barrier
	buffer_gl0_inv
	s_cbranch_vccz .LBB195_28
; %bb.17:
	v_cmp_gt_u16_e32 vcc_lo, 4, v7
	s_and_saveexec_b32 s0, vcc_lo
	s_cbranch_execz .LBB195_19
; %bb.18:
	ds_load_2addr_b32 v[2:3], v1 offset1:16
	s_waitcnt lgkmcnt(0)
	v_add_nc_u32_e32 v2, v2, v3
	ds_store_b32 v1, v2
.LBB195_19:
	s_or_b32 exec_lo, exec_lo, s0
	s_delay_alu instid0(SALU_CYCLE_1)
	s_mov_b32 s1, exec_lo
	s_waitcnt lgkmcnt(0)
	s_barrier
	buffer_gl0_inv
	v_cmpx_gt_u16_e32 8, v7
	s_cbranch_execz .LBB195_21
; %bb.20:
	ds_load_2addr_b32 v[2:3], v1 offset1:8
	s_waitcnt lgkmcnt(0)
	v_add_nc_u32_e32 v2, v2, v3
	ds_store_b32 v1, v2
.LBB195_21:
	s_or_b32 exec_lo, exec_lo, s1
	s_waitcnt lgkmcnt(0)
	s_barrier
	buffer_gl0_inv
	s_and_saveexec_b32 s0, vcc_lo
	s_cbranch_execz .LBB195_23
; %bb.22:
	ds_load_2addr_b32 v[2:3], v1 offset1:4
	s_waitcnt lgkmcnt(0)
	v_add_nc_u32_e32 v2, v2, v3
	ds_store_b32 v1, v2
.LBB195_23:
	s_or_b32 exec_lo, exec_lo, s0
	s_delay_alu instid0(SALU_CYCLE_1)
	s_mov_b32 s0, exec_lo
	s_waitcnt lgkmcnt(0)
	s_barrier
	buffer_gl0_inv
	v_cmpx_gt_u16_e32 2, v7
	s_cbranch_execz .LBB195_25
; %bb.24:
	ds_load_2addr_b32 v[2:3], v1 offset1:2
	s_waitcnt lgkmcnt(0)
	v_add_nc_u32_e32 v2, v2, v3
	ds_store_b32 v1, v2
.LBB195_25:
	s_or_b32 exec_lo, exec_lo, s0
	s_mov_b32 s0, 0
	s_mov_b32 s1, 0
	s_mov_b32 s3, exec_lo
	s_waitcnt lgkmcnt(0)
	s_barrier
	buffer_gl0_inv
                                        ; implicit-def: $vgpr2
                                        ; implicit-def: $vgpr3
	v_cmpx_gt_u32_e32 20, v0
	s_xor_b32 s3, exec_lo, s3
; %bb.26:
	v_mul_u32_u24_e32 v3, 20, v0
	s_mov_b32 s1, exec_lo
	s_delay_alu instid0(VALU_DEP_1)
	v_or_b32_e32 v2, 1, v3
	v_lshlrev_b32_e32 v3, 2, v3
; %bb.27:
	s_or_b32 exec_lo, exec_lo, s3
	s_delay_alu instid0(SALU_CYCLE_1)
	s_and_b32 vcc_lo, exec_lo, s0
	s_cbranch_vccnz .LBB195_29
	s_branch .LBB195_40
.LBB195_28:
	s_mov_b32 s1, 0
                                        ; implicit-def: $vgpr2
                                        ; implicit-def: $vgpr3
	s_cbranch_execz .LBB195_40
.LBB195_29:
	v_cmp_gt_u32_e32 vcc_lo, 0x50, v0
	s_and_saveexec_b32 s0, vcc_lo
	s_cbranch_execz .LBB195_31
; %bb.30:
	ds_load_2addr_stride64_b32 v[2:3], v1 offset1:5
	s_waitcnt lgkmcnt(0)
	v_add_nc_u32_e32 v2, v2, v3
	ds_store_b32 v1, v2
.LBB195_31:
	s_or_b32 exec_lo, exec_lo, s0
	s_delay_alu instid0(SALU_CYCLE_1)
	s_mov_b32 s3, exec_lo
	s_waitcnt lgkmcnt(0)
	s_barrier
	buffer_gl0_inv
	v_cmpx_gt_u32_e32 0xa0, v0
	s_cbranch_execz .LBB195_33
; %bb.32:
	ds_load_2addr_b32 v[2:3], v1 offset1:160
	s_waitcnt lgkmcnt(0)
	v_add_nc_u32_e32 v2, v2, v3
	ds_store_b32 v1, v2
.LBB195_33:
	s_or_b32 exec_lo, exec_lo, s3
	s_waitcnt lgkmcnt(0)
	s_barrier
	buffer_gl0_inv
	s_and_saveexec_b32 s0, vcc_lo
	s_cbranch_execz .LBB195_35
; %bb.34:
	ds_load_2addr_b32 v[2:3], v1 offset1:80
	s_waitcnt lgkmcnt(0)
	v_add_nc_u32_e32 v2, v2, v3
	ds_store_b32 v1, v2
.LBB195_35:
	s_or_b32 exec_lo, exec_lo, s0
	s_delay_alu instid0(SALU_CYCLE_1)
	s_mov_b32 s0, exec_lo
	s_waitcnt lgkmcnt(0)
	s_barrier
	buffer_gl0_inv
	v_cmpx_gt_u32_e32 40, v0
	s_cbranch_execz .LBB195_37
; %bb.36:
	ds_load_2addr_b32 v[2:3], v1 offset1:40
	s_waitcnt lgkmcnt(0)
	v_add_nc_u32_e32 v2, v2, v3
	ds_store_b32 v1, v2
.LBB195_37:
	s_or_b32 exec_lo, exec_lo, s0
	s_delay_alu instid0(SALU_CYCLE_1)
	s_mov_b32 s0, exec_lo
	s_waitcnt lgkmcnt(0)
	buffer_gl0_inv
                                        ; implicit-def: $vgpr2
	v_cmpx_gt_u32_e32 20, v0
; %bb.38:
	v_add_nc_u32_e32 v2, 20, v0
	s_or_b32 s1, s1, exec_lo
                                        ; implicit-def: $vgpr6
; %bb.39:
	s_or_b32 exec_lo, exec_lo, s0
	v_mov_b32_e32 v3, v1
.LBB195_40:
	s_and_saveexec_b32 s0, s1
	s_cbranch_execz .LBB195_42
; %bb.41:
	v_lshlrev_b32_e32 v1, 2, v2
	ds_load_b32 v2, v3
	ds_load_b32 v1, v1
	s_waitcnt lgkmcnt(0)
	v_add_nc_u32_e32 v6, v1, v2
.LBB195_42:
	s_or_b32 exec_lo, exec_lo, s0
	s_delay_alu instid0(SALU_CYCLE_1)
	s_mov_b32 s0, exec_lo
	v_cmpx_gt_u32_e32 20, v0
	s_cbranch_execz .LBB195_46
; %bb.43:
	v_mul_lo_u32 v1, v6, s11
	s_cmp_eq_u32 s12, 0
	s_mov_b32 s0, 0
	s_cbranch_scc1 .LBB195_47
; %bb.44:
	s_delay_alu instid0(VALU_DEP_1) | instskip(SKIP_1) | instid1(VALU_DEP_1)
	v_mad_u64_u32 v[2:3], null, s2, 20, v[0:1]
	v_mov_b32_e32 v3, 0
	v_lshlrev_b64 v[2:3], 2, v[2:3]
	s_delay_alu instid0(VALU_DEP_1) | instskip(NEXT) | instid1(VALU_DEP_2)
	v_add_co_u32 v2, vcc_lo, s8, v2
	v_add_co_ci_u32_e32 v3, vcc_lo, s9, v3, vcc_lo
	global_load_b32 v6, v[2:3], off
	s_waitcnt vmcnt(0)
	v_mad_u64_u32 v[4:5], null, v6, s12, v[1:2]
	global_store_b32 v[2:3], v4, off
	s_and_not1_b32 vcc_lo, exec_lo, s0
	s_cbranch_vccnz .LBB195_46
.LBB195_45:
	s_delay_alu instid0(VALU_DEP_1) | instskip(SKIP_1) | instid1(VALU_DEP_1)
	v_mad_u64_u32 v[2:3], null, s2, 20, v[0:1]
	v_mov_b32_e32 v3, 0
	v_lshlrev_b64 v[2:3], 2, v[2:3]
	s_delay_alu instid0(VALU_DEP_1) | instskip(NEXT) | instid1(VALU_DEP_2)
	v_add_co_u32 v2, vcc_lo, s8, v2
	v_add_co_ci_u32_e32 v3, vcc_lo, s9, v3, vcc_lo
	global_store_b32 v[2:3], v1, off
.LBB195_46:
	s_nop 0
	s_sendmsg sendmsg(MSG_DEALLOC_VGPRS)
	s_endpgm
.LBB195_47:
	s_branch .LBB195_45
	.section	.rodata,"a",@progbits
	.p2align	6, 0x0
	.amdhsa_kernel _ZN9rocsparseL20bsrxmvn_17_32_kernelILj20EiiiaaiEEvT2_20rocsparse_direction_NS_24const_host_device_scalarIT0_EES1_PKS1_PKT1_SA_S7_PKT3_PKT4_S5_PT5_21rocsparse_index_base_b
		.amdhsa_group_segment_fixed_size 1600
		.amdhsa_private_segment_fixed_size 0
		.amdhsa_kernarg_size 96
		.amdhsa_user_sgpr_count 15
		.amdhsa_user_sgpr_dispatch_ptr 0
		.amdhsa_user_sgpr_queue_ptr 0
		.amdhsa_user_sgpr_kernarg_segment_ptr 1
		.amdhsa_user_sgpr_dispatch_id 0
		.amdhsa_user_sgpr_private_segment_size 0
		.amdhsa_wavefront_size32 1
		.amdhsa_uses_dynamic_stack 0
		.amdhsa_enable_private_segment 0
		.amdhsa_system_sgpr_workgroup_id_x 1
		.amdhsa_system_sgpr_workgroup_id_y 0
		.amdhsa_system_sgpr_workgroup_id_z 0
		.amdhsa_system_sgpr_workgroup_info 0
		.amdhsa_system_vgpr_workitem_id 0
		.amdhsa_next_free_vgpr 10
		.amdhsa_next_free_sgpr 17
		.amdhsa_reserve_vcc 1
		.amdhsa_float_round_mode_32 0
		.amdhsa_float_round_mode_16_64 0
		.amdhsa_float_denorm_mode_32 3
		.amdhsa_float_denorm_mode_16_64 3
		.amdhsa_dx10_clamp 1
		.amdhsa_ieee_mode 1
		.amdhsa_fp16_overflow 0
		.amdhsa_workgroup_processor_mode 1
		.amdhsa_memory_ordered 1
		.amdhsa_forward_progress 0
		.amdhsa_shared_vgpr_count 0
		.amdhsa_exception_fp_ieee_invalid_op 0
		.amdhsa_exception_fp_denorm_src 0
		.amdhsa_exception_fp_ieee_div_zero 0
		.amdhsa_exception_fp_ieee_overflow 0
		.amdhsa_exception_fp_ieee_underflow 0
		.amdhsa_exception_fp_ieee_inexact 0
		.amdhsa_exception_int_div_zero 0
	.end_amdhsa_kernel
	.section	.text._ZN9rocsparseL20bsrxmvn_17_32_kernelILj20EiiiaaiEEvT2_20rocsparse_direction_NS_24const_host_device_scalarIT0_EES1_PKS1_PKT1_SA_S7_PKT3_PKT4_S5_PT5_21rocsparse_index_base_b,"axG",@progbits,_ZN9rocsparseL20bsrxmvn_17_32_kernelILj20EiiiaaiEEvT2_20rocsparse_direction_NS_24const_host_device_scalarIT0_EES1_PKS1_PKT1_SA_S7_PKT3_PKT4_S5_PT5_21rocsparse_index_base_b,comdat
.Lfunc_end195:
	.size	_ZN9rocsparseL20bsrxmvn_17_32_kernelILj20EiiiaaiEEvT2_20rocsparse_direction_NS_24const_host_device_scalarIT0_EES1_PKS1_PKT1_SA_S7_PKT3_PKT4_S5_PT5_21rocsparse_index_base_b, .Lfunc_end195-_ZN9rocsparseL20bsrxmvn_17_32_kernelILj20EiiiaaiEEvT2_20rocsparse_direction_NS_24const_host_device_scalarIT0_EES1_PKS1_PKT1_SA_S7_PKT3_PKT4_S5_PT5_21rocsparse_index_base_b
                                        ; -- End function
	.section	.AMDGPU.csdata,"",@progbits
; Kernel info:
; codeLenInByte = 1544
; NumSgprs: 19
; NumVgprs: 10
; ScratchSize: 0
; MemoryBound: 0
; FloatMode: 240
; IeeeMode: 1
; LDSByteSize: 1600 bytes/workgroup (compile time only)
; SGPRBlocks: 2
; VGPRBlocks: 1
; NumSGPRsForWavesPerEU: 19
; NumVGPRsForWavesPerEU: 10
; Occupancy: 13
; WaveLimiterHint : 1
; COMPUTE_PGM_RSRC2:SCRATCH_EN: 0
; COMPUTE_PGM_RSRC2:USER_SGPR: 15
; COMPUTE_PGM_RSRC2:TRAP_HANDLER: 0
; COMPUTE_PGM_RSRC2:TGID_X_EN: 1
; COMPUTE_PGM_RSRC2:TGID_Y_EN: 0
; COMPUTE_PGM_RSRC2:TGID_Z_EN: 0
; COMPUTE_PGM_RSRC2:TIDIG_COMP_CNT: 0
	.section	.text._ZN9rocsparseL20bsrxmvn_17_32_kernelILj21EiiiaaiEEvT2_20rocsparse_direction_NS_24const_host_device_scalarIT0_EES1_PKS1_PKT1_SA_S7_PKT3_PKT4_S5_PT5_21rocsparse_index_base_b,"axG",@progbits,_ZN9rocsparseL20bsrxmvn_17_32_kernelILj21EiiiaaiEEvT2_20rocsparse_direction_NS_24const_host_device_scalarIT0_EES1_PKS1_PKT1_SA_S7_PKT3_PKT4_S5_PT5_21rocsparse_index_base_b,comdat
	.globl	_ZN9rocsparseL20bsrxmvn_17_32_kernelILj21EiiiaaiEEvT2_20rocsparse_direction_NS_24const_host_device_scalarIT0_EES1_PKS1_PKT1_SA_S7_PKT3_PKT4_S5_PT5_21rocsparse_index_base_b ; -- Begin function _ZN9rocsparseL20bsrxmvn_17_32_kernelILj21EiiiaaiEEvT2_20rocsparse_direction_NS_24const_host_device_scalarIT0_EES1_PKS1_PKT1_SA_S7_PKT3_PKT4_S5_PT5_21rocsparse_index_base_b
	.p2align	8
	.type	_ZN9rocsparseL20bsrxmvn_17_32_kernelILj21EiiiaaiEEvT2_20rocsparse_direction_NS_24const_host_device_scalarIT0_EES1_PKS1_PKT1_SA_S7_PKT3_PKT4_S5_PT5_21rocsparse_index_base_b,@function
_ZN9rocsparseL20bsrxmvn_17_32_kernelILj21EiiiaaiEEvT2_20rocsparse_direction_NS_24const_host_device_scalarIT0_EES1_PKS1_PKT1_SA_S7_PKT3_PKT4_S5_PT5_21rocsparse_index_base_b: ; @_ZN9rocsparseL20bsrxmvn_17_32_kernelILj21EiiiaaiEEvT2_20rocsparse_direction_NS_24const_host_device_scalarIT0_EES1_PKS1_PKT1_SA_S7_PKT3_PKT4_S5_PT5_21rocsparse_index_base_b
; %bb.0:
	s_clause 0x1
	s_load_b64 s[10:11], s[0:1], 0x58
	s_load_b64 s[6:7], s[0:1], 0x8
	s_mov_b32 s2, s15
	s_mov_b32 s8, -1
	s_waitcnt lgkmcnt(0)
	s_bitcmp1_b32 s11, 0
                                        ; implicit-def: $sgpr11
	s_cselect_b32 s3, -1, 0
	s_delay_alu instid0(SALU_CYCLE_1) | instskip(NEXT) | instid1(SALU_CYCLE_1)
	s_xor_b32 s3, s3, -1
	s_and_b32 vcc_lo, exec_lo, s3
	s_cbranch_vccnz .LBB196_4
; %bb.1:
	s_load_b64 s[4:5], s[0:1], 0x48
	s_and_not1_b32 vcc_lo, exec_lo, s8
	s_cbranch_vccz .LBB196_5
.LBB196_2:
	s_and_b32 vcc_lo, exec_lo, s3
	s_cbranch_vccz .LBB196_6
.LBB196_3:
	s_waitcnt lgkmcnt(0)
	s_load_b32 s12, s[4:5], 0x0
	s_cbranch_execz .LBB196_7
	s_branch .LBB196_8
.LBB196_4:
	s_load_b32 s11, s[6:7], 0x0
	s_load_b64 s[4:5], s[0:1], 0x48
	s_cbranch_execnz .LBB196_2
.LBB196_5:
	s_waitcnt lgkmcnt(0)
	s_mov_b32 s11, s6
	s_and_b32 vcc_lo, exec_lo, s3
	s_cbranch_vccnz .LBB196_3
.LBB196_6:
                                        ; implicit-def: $sgpr12
.LBB196_7:
	s_waitcnt lgkmcnt(0)
	s_mov_b32 s12, s4
.LBB196_8:
	s_waitcnt lgkmcnt(0)
	s_cmp_lg_u32 s11, 0
	s_cselect_b32 s3, -1, 0
	s_cmp_lg_u32 s12, 1
	s_cselect_b32 s4, -1, 0
	s_delay_alu instid0(SALU_CYCLE_1) | instskip(NEXT) | instid1(SALU_CYCLE_1)
	s_or_b32 s3, s3, s4
	s_and_not1_b32 vcc_lo, exec_lo, s3
	s_cbranch_vccnz .LBB196_46
; %bb.9:
	s_clause 0x1
	s_load_b128 s[4:7], s[0:1], 0x18
	s_load_b64 s[8:9], s[0:1], 0x28
	s_waitcnt lgkmcnt(0)
	s_cmp_eq_u64 s[4:5], 0
	s_cbranch_scc1 .LBB196_11
; %bb.10:
	s_ashr_i32 s3, s2, 31
	s_delay_alu instid0(SALU_CYCLE_1) | instskip(NEXT) | instid1(SALU_CYCLE_1)
	s_lshl_b64 s[2:3], s[2:3], 2
	s_add_u32 s2, s4, s2
	s_addc_u32 s3, s5, s3
	s_load_b32 s2, s[2:3], 0x0
	s_waitcnt lgkmcnt(0)
	s_sub_i32 s2, s2, s10
.LBB196_11:
	s_load_b32 s3, s[0:1], 0x4
	v_mul_u32_u24_e32 v1, 0xc31, v0
	v_mov_b32_e32 v6, 0
	s_delay_alu instid0(VALU_DEP_2) | instskip(NEXT) | instid1(VALU_DEP_1)
	v_lshrrev_b32_e32 v1, 16, v1
	v_mul_lo_u16 v2, v1, 21
	s_delay_alu instid0(VALU_DEP_1)
	v_sub_nc_u16 v7, v0, v2
	s_waitcnt lgkmcnt(0)
	s_cmp_eq_u32 s3, 1
	s_cselect_b32 vcc_lo, -1, 0
	s_cmp_lg_u32 s3, 1
	s_cselect_b32 s13, -1, 0
	s_ashr_i32 s3, s2, 31
	s_delay_alu instid0(SALU_CYCLE_1) | instskip(NEXT) | instid1(SALU_CYCLE_1)
	s_lshl_b64 s[4:5], s[2:3], 2
	s_add_u32 s6, s6, s4
	s_addc_u32 s7, s7, s5
	s_add_u32 s3, s6, 4
	s_addc_u32 s14, s7, 0
	;; [unrolled: 2-line block ×3, first 2 shown]
	s_cmp_eq_u64 s[8:9], 0
	s_load_b64 s[8:9], s[0:1], 0x50
	s_cselect_b32 s5, s14, s5
	s_cselect_b32 s4, s3, s4
	s_load_b32 s14, s[6:7], 0x0
	s_load_b32 s3, s[4:5], 0x0
	s_waitcnt lgkmcnt(0)
	s_cmp_ge_i32 s14, s3
	s_cbranch_scc1 .LBB196_16
; %bb.12:
	v_mul_lo_u16 v2, v1, 25
	s_clause 0x1
	s_load_b128 s[4:7], s[0:1], 0x30
	s_load_b64 s[0:1], s[0:1], 0x40
	v_dual_mov_b32 v6, 0 :: v_dual_and_b32 v3, 0xffff, v7
	v_lshrrev_b16 v2, 9, v2
	s_sub_i32 s14, s14, s10
	s_sub_i32 s3, s3, s10
	s_mul_i32 s16, s14, 0x1b9
	s_mul_hi_i32 s15, s14, 0x1b9
	v_mul_lo_u16 v2, v2, 21
	s_delay_alu instid0(VALU_DEP_1) | instskip(NEXT) | instid1(VALU_DEP_1)
	v_sub_nc_u16 v1, v1, v2
	v_and_b32_e32 v5, 0xff, v1
	v_and_b32_e32 v4, 0xffff, v0
	s_waitcnt lgkmcnt(0)
	s_add_u32 s6, s6, s16
	s_addc_u32 s7, s7, s15
	v_add_co_u32 v1, s6, s6, v0
	v_cndmask_b32_e32 v3, v3, v5, vcc_lo
	v_mul_u32_u24_e32 v4, 0x253, v4
	v_add_co_ci_u32_e64 v2, null, s7, 0, s6
	s_delay_alu instid0(VALU_DEP_2)
	v_lshrrev_b32_e32 v8, 18, v4
	s_set_inst_prefetch_distance 0x1
	s_branch .LBB196_14
	.p2align	6
.LBB196_13:                             ;   in Loop: Header=BB196_14 Depth=1
	s_or_b32 exec_lo, exec_lo, s6
	s_add_i32 s14, s14, 1
	s_delay_alu instid0(SALU_CYCLE_1)
	s_cmp_lt_i32 s14, s3
	s_cbranch_scc0 .LBB196_16
.LBB196_14:                             ; =>This Inner Loop Header: Depth=1
	s_delay_alu instid0(VALU_DEP_1) | instskip(SKIP_1) | instid1(VALU_DEP_1)
	v_add_nc_u32_e32 v4, s14, v8
	s_mov_b32 s6, exec_lo
	v_cmpx_gt_i32_e64 s3, v4
	s_cbranch_execz .LBB196_13
; %bb.15:                               ;   in Loop: Header=BB196_14 Depth=1
	v_ashrrev_i32_e32 v5, 31, v4
	s_delay_alu instid0(VALU_DEP_1) | instskip(NEXT) | instid1(VALU_DEP_1)
	v_lshlrev_b64 v[4:5], 2, v[4:5]
	v_add_co_u32 v4, vcc_lo, s4, v4
	s_delay_alu instid0(VALU_DEP_2) | instskip(SKIP_3) | instid1(VALU_DEP_1)
	v_add_co_ci_u32_e32 v5, vcc_lo, s5, v5, vcc_lo
	global_load_b32 v4, v[4:5], off
	s_waitcnt vmcnt(0)
	v_subrev_nc_u32_e32 v9, s10, v4
	v_mad_u64_u32 v[4:5], null, v9, 21, v[3:4]
	s_delay_alu instid0(VALU_DEP_1) | instskip(SKIP_1) | instid1(VALU_DEP_2)
	v_ashrrev_i32_e32 v5, 31, v4
	v_add_co_u32 v4, vcc_lo, s0, v4
	v_add_co_ci_u32_e32 v5, vcc_lo, s1, v5, vcc_lo
	global_load_i8 v9, v[1:2], off
	global_load_i8 v4, v[4:5], off
	v_add_co_u32 v1, vcc_lo, 0x1b9, v1
	v_add_co_ci_u32_e32 v2, vcc_lo, 0, v2, vcc_lo
	s_waitcnt vmcnt(0)
	v_mad_i32_i24 v6, v4, v9, v6
	s_branch .LBB196_13
.LBB196_16:
	s_set_inst_prefetch_distance 0x2
	v_lshlrev_b32_e32 v1, 2, v0
	s_and_b32 vcc_lo, exec_lo, s13
	ds_store_b32 v1, v6
	s_waitcnt lgkmcnt(0)
	s_barrier
	buffer_gl0_inv
	s_cbranch_vccz .LBB196_28
; %bb.17:
	s_mov_b32 s0, exec_lo
	v_cmpx_gt_u16_e32 5, v7
	s_cbranch_execz .LBB196_19
; %bb.18:
	ds_load_2addr_b32 v[2:3], v1 offset1:16
	s_waitcnt lgkmcnt(0)
	v_add_nc_u32_e32 v2, v2, v3
	ds_store_b32 v1, v2
.LBB196_19:
	s_or_b32 exec_lo, exec_lo, s0
	s_delay_alu instid0(SALU_CYCLE_1)
	s_mov_b32 s0, exec_lo
	s_waitcnt lgkmcnt(0)
	s_barrier
	buffer_gl0_inv
	v_cmpx_gt_u16_e32 8, v7
	s_cbranch_execz .LBB196_21
; %bb.20:
	ds_load_2addr_b32 v[2:3], v1 offset1:8
	s_waitcnt lgkmcnt(0)
	v_add_nc_u32_e32 v2, v2, v3
	ds_store_b32 v1, v2
.LBB196_21:
	s_or_b32 exec_lo, exec_lo, s0
	s_delay_alu instid0(SALU_CYCLE_1)
	s_mov_b32 s0, exec_lo
	s_waitcnt lgkmcnt(0)
	s_barrier
	buffer_gl0_inv
	;; [unrolled: 14-line block ×3, first 2 shown]
	v_cmpx_gt_u16_e32 2, v7
	s_cbranch_execz .LBB196_25
; %bb.24:
	ds_load_2addr_b32 v[2:3], v1 offset1:2
	s_waitcnt lgkmcnt(0)
	v_add_nc_u32_e32 v2, v2, v3
	ds_store_b32 v1, v2
.LBB196_25:
	s_or_b32 exec_lo, exec_lo, s0
	s_mov_b32 s1, 0
	s_mov_b32 s0, 0
	s_mov_b32 s3, exec_lo
	s_waitcnt lgkmcnt(0)
	s_barrier
	buffer_gl0_inv
                                        ; implicit-def: $vgpr2
                                        ; implicit-def: $vgpr3
	v_cmpx_gt_u32_e32 21, v0
	s_xor_b32 s3, exec_lo, s3
; %bb.26:
	v_mul_u32_u24_e32 v3, 21, v0
	v_mad_u32_u24 v2, v0, 21, 1
	s_mov_b32 s0, exec_lo
	s_delay_alu instid0(VALU_DEP_2)
	v_lshlrev_b32_e32 v3, 2, v3
; %bb.27:
	s_or_b32 exec_lo, exec_lo, s3
	s_delay_alu instid0(SALU_CYCLE_1)
	s_and_b32 vcc_lo, exec_lo, s1
	s_cbranch_vccnz .LBB196_29
	s_branch .LBB196_40
.LBB196_28:
	s_mov_b32 s0, 0
                                        ; implicit-def: $vgpr2
                                        ; implicit-def: $vgpr3
	s_cbranch_execz .LBB196_40
.LBB196_29:
	s_mov_b32 s1, exec_lo
	v_cmpx_gt_u32_e32 0x69, v0
	s_cbranch_execz .LBB196_31
; %bb.30:
	ds_load_b32 v2, v1 offset:1344
	ds_load_b32 v3, v1
	s_waitcnt lgkmcnt(0)
	v_add_nc_u32_e32 v2, v3, v2
	ds_store_b32 v1, v2
.LBB196_31:
	s_or_b32 exec_lo, exec_lo, s1
	s_delay_alu instid0(SALU_CYCLE_1)
	s_mov_b32 s1, exec_lo
	s_waitcnt lgkmcnt(0)
	s_barrier
	buffer_gl0_inv
	v_cmpx_gt_u32_e32 0xa8, v0
	s_cbranch_execz .LBB196_33
; %bb.32:
	ds_load_2addr_b32 v[2:3], v1 offset1:168
	s_waitcnt lgkmcnt(0)
	v_add_nc_u32_e32 v2, v2, v3
	ds_store_b32 v1, v2
.LBB196_33:
	s_or_b32 exec_lo, exec_lo, s1
	s_delay_alu instid0(SALU_CYCLE_1)
	s_mov_b32 s1, exec_lo
	s_waitcnt lgkmcnt(0)
	s_barrier
	buffer_gl0_inv
	v_cmpx_gt_u32_e32 0x54, v0
	s_cbranch_execz .LBB196_35
; %bb.34:
	ds_load_2addr_b32 v[2:3], v1 offset1:84
	s_waitcnt lgkmcnt(0)
	v_add_nc_u32_e32 v2, v2, v3
	ds_store_b32 v1, v2
.LBB196_35:
	;; [unrolled: 14-line block ×3, first 2 shown]
	s_or_b32 exec_lo, exec_lo, s1
	s_delay_alu instid0(SALU_CYCLE_1)
	s_mov_b32 s1, exec_lo
	s_waitcnt lgkmcnt(0)
	buffer_gl0_inv
                                        ; implicit-def: $vgpr2
	v_cmpx_gt_u32_e32 21, v0
; %bb.38:
	v_add_nc_u32_e32 v2, 21, v0
	s_or_b32 s0, s0, exec_lo
                                        ; implicit-def: $vgpr6
; %bb.39:
	s_or_b32 exec_lo, exec_lo, s1
	v_mov_b32_e32 v3, v1
.LBB196_40:
	s_and_saveexec_b32 s1, s0
	s_cbranch_execz .LBB196_42
; %bb.41:
	v_lshlrev_b32_e32 v1, 2, v2
	ds_load_b32 v2, v3
	ds_load_b32 v1, v1
	s_waitcnt lgkmcnt(0)
	v_add_nc_u32_e32 v6, v1, v2
.LBB196_42:
	s_or_b32 exec_lo, exec_lo, s1
	s_delay_alu instid0(SALU_CYCLE_1)
	s_mov_b32 s0, exec_lo
	v_cmpx_gt_u32_e32 21, v0
	s_cbranch_execz .LBB196_46
; %bb.43:
	v_mul_lo_u32 v1, v6, s11
	s_cmp_eq_u32 s12, 0
	s_mov_b32 s0, 0
	s_cbranch_scc1 .LBB196_47
; %bb.44:
	s_delay_alu instid0(VALU_DEP_1) | instskip(SKIP_1) | instid1(VALU_DEP_1)
	v_mad_u64_u32 v[2:3], null, s2, 21, v[0:1]
	v_mov_b32_e32 v3, 0
	v_lshlrev_b64 v[2:3], 2, v[2:3]
	s_delay_alu instid0(VALU_DEP_1) | instskip(NEXT) | instid1(VALU_DEP_2)
	v_add_co_u32 v2, vcc_lo, s8, v2
	v_add_co_ci_u32_e32 v3, vcc_lo, s9, v3, vcc_lo
	global_load_b32 v6, v[2:3], off
	s_waitcnt vmcnt(0)
	v_mad_u64_u32 v[4:5], null, v6, s12, v[1:2]
	global_store_b32 v[2:3], v4, off
	s_and_not1_b32 vcc_lo, exec_lo, s0
	s_cbranch_vccnz .LBB196_46
.LBB196_45:
	s_delay_alu instid0(VALU_DEP_1) | instskip(SKIP_1) | instid1(VALU_DEP_1)
	v_mad_u64_u32 v[2:3], null, s2, 21, v[0:1]
	v_mov_b32_e32 v3, 0
	v_lshlrev_b64 v[2:3], 2, v[2:3]
	s_delay_alu instid0(VALU_DEP_1) | instskip(NEXT) | instid1(VALU_DEP_2)
	v_add_co_u32 v2, vcc_lo, s8, v2
	v_add_co_ci_u32_e32 v3, vcc_lo, s9, v3, vcc_lo
	global_store_b32 v[2:3], v1, off
.LBB196_46:
	s_nop 0
	s_sendmsg sendmsg(MSG_DEALLOC_VGPRS)
	s_endpgm
.LBB196_47:
	s_branch .LBB196_45
	.section	.rodata,"a",@progbits
	.p2align	6, 0x0
	.amdhsa_kernel _ZN9rocsparseL20bsrxmvn_17_32_kernelILj21EiiiaaiEEvT2_20rocsparse_direction_NS_24const_host_device_scalarIT0_EES1_PKS1_PKT1_SA_S7_PKT3_PKT4_S5_PT5_21rocsparse_index_base_b
		.amdhsa_group_segment_fixed_size 1764
		.amdhsa_private_segment_fixed_size 0
		.amdhsa_kernarg_size 96
		.amdhsa_user_sgpr_count 15
		.amdhsa_user_sgpr_dispatch_ptr 0
		.amdhsa_user_sgpr_queue_ptr 0
		.amdhsa_user_sgpr_kernarg_segment_ptr 1
		.amdhsa_user_sgpr_dispatch_id 0
		.amdhsa_user_sgpr_private_segment_size 0
		.amdhsa_wavefront_size32 1
		.amdhsa_uses_dynamic_stack 0
		.amdhsa_enable_private_segment 0
		.amdhsa_system_sgpr_workgroup_id_x 1
		.amdhsa_system_sgpr_workgroup_id_y 0
		.amdhsa_system_sgpr_workgroup_id_z 0
		.amdhsa_system_sgpr_workgroup_info 0
		.amdhsa_system_vgpr_workitem_id 0
		.amdhsa_next_free_vgpr 10
		.amdhsa_next_free_sgpr 17
		.amdhsa_reserve_vcc 1
		.amdhsa_float_round_mode_32 0
		.amdhsa_float_round_mode_16_64 0
		.amdhsa_float_denorm_mode_32 3
		.amdhsa_float_denorm_mode_16_64 3
		.amdhsa_dx10_clamp 1
		.amdhsa_ieee_mode 1
		.amdhsa_fp16_overflow 0
		.amdhsa_workgroup_processor_mode 1
		.amdhsa_memory_ordered 1
		.amdhsa_forward_progress 0
		.amdhsa_shared_vgpr_count 0
		.amdhsa_exception_fp_ieee_invalid_op 0
		.amdhsa_exception_fp_denorm_src 0
		.amdhsa_exception_fp_ieee_div_zero 0
		.amdhsa_exception_fp_ieee_overflow 0
		.amdhsa_exception_fp_ieee_underflow 0
		.amdhsa_exception_fp_ieee_inexact 0
		.amdhsa_exception_int_div_zero 0
	.end_amdhsa_kernel
	.section	.text._ZN9rocsparseL20bsrxmvn_17_32_kernelILj21EiiiaaiEEvT2_20rocsparse_direction_NS_24const_host_device_scalarIT0_EES1_PKS1_PKT1_SA_S7_PKT3_PKT4_S5_PT5_21rocsparse_index_base_b,"axG",@progbits,_ZN9rocsparseL20bsrxmvn_17_32_kernelILj21EiiiaaiEEvT2_20rocsparse_direction_NS_24const_host_device_scalarIT0_EES1_PKS1_PKT1_SA_S7_PKT3_PKT4_S5_PT5_21rocsparse_index_base_b,comdat
.Lfunc_end196:
	.size	_ZN9rocsparseL20bsrxmvn_17_32_kernelILj21EiiiaaiEEvT2_20rocsparse_direction_NS_24const_host_device_scalarIT0_EES1_PKS1_PKT1_SA_S7_PKT3_PKT4_S5_PT5_21rocsparse_index_base_b, .Lfunc_end196-_ZN9rocsparseL20bsrxmvn_17_32_kernelILj21EiiiaaiEEvT2_20rocsparse_direction_NS_24const_host_device_scalarIT0_EES1_PKS1_PKT1_SA_S7_PKT3_PKT4_S5_PT5_21rocsparse_index_base_b
                                        ; -- End function
	.section	.AMDGPU.csdata,"",@progbits
; Kernel info:
; codeLenInByte = 1576
; NumSgprs: 19
; NumVgprs: 10
; ScratchSize: 0
; MemoryBound: 0
; FloatMode: 240
; IeeeMode: 1
; LDSByteSize: 1764 bytes/workgroup (compile time only)
; SGPRBlocks: 2
; VGPRBlocks: 1
; NumSGPRsForWavesPerEU: 19
; NumVGPRsForWavesPerEU: 10
; Occupancy: 14
; WaveLimiterHint : 1
; COMPUTE_PGM_RSRC2:SCRATCH_EN: 0
; COMPUTE_PGM_RSRC2:USER_SGPR: 15
; COMPUTE_PGM_RSRC2:TRAP_HANDLER: 0
; COMPUTE_PGM_RSRC2:TGID_X_EN: 1
; COMPUTE_PGM_RSRC2:TGID_Y_EN: 0
; COMPUTE_PGM_RSRC2:TGID_Z_EN: 0
; COMPUTE_PGM_RSRC2:TIDIG_COMP_CNT: 0
	.section	.text._ZN9rocsparseL20bsrxmvn_17_32_kernelILj22EiiiaaiEEvT2_20rocsparse_direction_NS_24const_host_device_scalarIT0_EES1_PKS1_PKT1_SA_S7_PKT3_PKT4_S5_PT5_21rocsparse_index_base_b,"axG",@progbits,_ZN9rocsparseL20bsrxmvn_17_32_kernelILj22EiiiaaiEEvT2_20rocsparse_direction_NS_24const_host_device_scalarIT0_EES1_PKS1_PKT1_SA_S7_PKT3_PKT4_S5_PT5_21rocsparse_index_base_b,comdat
	.globl	_ZN9rocsparseL20bsrxmvn_17_32_kernelILj22EiiiaaiEEvT2_20rocsparse_direction_NS_24const_host_device_scalarIT0_EES1_PKS1_PKT1_SA_S7_PKT3_PKT4_S5_PT5_21rocsparse_index_base_b ; -- Begin function _ZN9rocsparseL20bsrxmvn_17_32_kernelILj22EiiiaaiEEvT2_20rocsparse_direction_NS_24const_host_device_scalarIT0_EES1_PKS1_PKT1_SA_S7_PKT3_PKT4_S5_PT5_21rocsparse_index_base_b
	.p2align	8
	.type	_ZN9rocsparseL20bsrxmvn_17_32_kernelILj22EiiiaaiEEvT2_20rocsparse_direction_NS_24const_host_device_scalarIT0_EES1_PKS1_PKT1_SA_S7_PKT3_PKT4_S5_PT5_21rocsparse_index_base_b,@function
_ZN9rocsparseL20bsrxmvn_17_32_kernelILj22EiiiaaiEEvT2_20rocsparse_direction_NS_24const_host_device_scalarIT0_EES1_PKS1_PKT1_SA_S7_PKT3_PKT4_S5_PT5_21rocsparse_index_base_b: ; @_ZN9rocsparseL20bsrxmvn_17_32_kernelILj22EiiiaaiEEvT2_20rocsparse_direction_NS_24const_host_device_scalarIT0_EES1_PKS1_PKT1_SA_S7_PKT3_PKT4_S5_PT5_21rocsparse_index_base_b
; %bb.0:
	s_clause 0x1
	s_load_b64 s[10:11], s[0:1], 0x58
	s_load_b64 s[6:7], s[0:1], 0x8
	s_mov_b32 s2, s15
	s_mov_b32 s8, -1
	s_waitcnt lgkmcnt(0)
	s_bitcmp1_b32 s11, 0
                                        ; implicit-def: $sgpr11
	s_cselect_b32 s3, -1, 0
	s_delay_alu instid0(SALU_CYCLE_1) | instskip(NEXT) | instid1(SALU_CYCLE_1)
	s_xor_b32 s3, s3, -1
	s_and_b32 vcc_lo, exec_lo, s3
	s_cbranch_vccnz .LBB197_4
; %bb.1:
	s_load_b64 s[4:5], s[0:1], 0x48
	s_and_not1_b32 vcc_lo, exec_lo, s8
	s_cbranch_vccz .LBB197_5
.LBB197_2:
	s_and_b32 vcc_lo, exec_lo, s3
	s_cbranch_vccz .LBB197_6
.LBB197_3:
	s_waitcnt lgkmcnt(0)
	s_load_b32 s12, s[4:5], 0x0
	s_cbranch_execz .LBB197_7
	s_branch .LBB197_8
.LBB197_4:
	s_load_b32 s11, s[6:7], 0x0
	s_load_b64 s[4:5], s[0:1], 0x48
	s_cbranch_execnz .LBB197_2
.LBB197_5:
	s_waitcnt lgkmcnt(0)
	s_mov_b32 s11, s6
	s_and_b32 vcc_lo, exec_lo, s3
	s_cbranch_vccnz .LBB197_3
.LBB197_6:
                                        ; implicit-def: $sgpr12
.LBB197_7:
	s_waitcnt lgkmcnt(0)
	s_mov_b32 s12, s4
.LBB197_8:
	s_waitcnt lgkmcnt(0)
	s_cmp_lg_u32 s11, 0
	s_cselect_b32 s3, -1, 0
	s_cmp_lg_u32 s12, 1
	s_cselect_b32 s4, -1, 0
	s_delay_alu instid0(SALU_CYCLE_1) | instskip(NEXT) | instid1(SALU_CYCLE_1)
	s_or_b32 s3, s3, s4
	s_and_not1_b32 vcc_lo, exec_lo, s3
	s_cbranch_vccnz .LBB197_46
; %bb.9:
	s_clause 0x1
	s_load_b128 s[4:7], s[0:1], 0x18
	s_load_b64 s[8:9], s[0:1], 0x28
	s_waitcnt lgkmcnt(0)
	s_cmp_eq_u64 s[4:5], 0
	s_cbranch_scc1 .LBB197_11
; %bb.10:
	s_ashr_i32 s3, s2, 31
	s_delay_alu instid0(SALU_CYCLE_1) | instskip(NEXT) | instid1(SALU_CYCLE_1)
	s_lshl_b64 s[2:3], s[2:3], 2
	s_add_u32 s2, s4, s2
	s_addc_u32 s3, s5, s3
	s_load_b32 s2, s[2:3], 0x0
	s_waitcnt lgkmcnt(0)
	s_sub_i32 s2, s2, s10
.LBB197_11:
	s_load_b32 s3, s[0:1], 0x4
	v_mul_u32_u24_e32 v1, 0xba3, v0
	v_mov_b32_e32 v6, 0
	s_delay_alu instid0(VALU_DEP_2) | instskip(NEXT) | instid1(VALU_DEP_1)
	v_lshrrev_b32_e32 v1, 16, v1
	v_mul_lo_u16 v2, v1, 22
	s_delay_alu instid0(VALU_DEP_1)
	v_sub_nc_u16 v7, v0, v2
	s_waitcnt lgkmcnt(0)
	s_cmp_eq_u32 s3, 1
	s_cselect_b32 vcc_lo, -1, 0
	s_cmp_lg_u32 s3, 1
	s_cselect_b32 s13, -1, 0
	s_ashr_i32 s3, s2, 31
	s_delay_alu instid0(SALU_CYCLE_1) | instskip(NEXT) | instid1(SALU_CYCLE_1)
	s_lshl_b64 s[4:5], s[2:3], 2
	s_add_u32 s6, s6, s4
	s_addc_u32 s7, s7, s5
	s_add_u32 s3, s6, 4
	s_addc_u32 s14, s7, 0
	s_add_u32 s4, s8, s4
	s_addc_u32 s5, s9, s5
	s_cmp_eq_u64 s[8:9], 0
	s_load_b64 s[8:9], s[0:1], 0x50
	s_cselect_b32 s5, s14, s5
	s_cselect_b32 s4, s3, s4
	s_load_b32 s14, s[6:7], 0x0
	s_load_b32 s3, s[4:5], 0x0
	s_waitcnt lgkmcnt(0)
	s_cmp_ge_i32 s14, s3
	s_cbranch_scc1 .LBB197_16
; %bb.12:
	v_mul_lo_u16 v2, v1, 12
	s_clause 0x1
	s_load_b128 s[4:7], s[0:1], 0x30
	s_load_b64 s[0:1], s[0:1], 0x40
	v_dual_mov_b32 v6, 0 :: v_dual_and_b32 v3, 0xffff, v7
	v_lshrrev_b16 v2, 8, v2
	s_sub_i32 s14, s14, s10
	s_sub_i32 s3, s3, s10
	s_mul_i32 s16, s14, 0x1e4
	s_mul_hi_i32 s15, s14, 0x1e4
	v_mul_lo_u16 v2, v2, 22
	s_delay_alu instid0(VALU_DEP_1) | instskip(NEXT) | instid1(VALU_DEP_1)
	v_sub_nc_u16 v1, v1, v2
	v_and_b32_e32 v5, 0xff, v1
	v_and_b32_e32 v4, 0xffff, v0
	s_waitcnt lgkmcnt(0)
	s_add_u32 s6, s6, s16
	s_addc_u32 s7, s7, s15
	v_add_co_u32 v1, s6, s6, v0
	v_cndmask_b32_e32 v3, v3, v5, vcc_lo
	v_mul_u32_u24_e32 v4, 0x10f, v4
	v_add_co_ci_u32_e64 v2, null, s7, 0, s6
	s_delay_alu instid0(VALU_DEP_2)
	v_lshrrev_b32_e32 v8, 17, v4
	s_set_inst_prefetch_distance 0x1
	s_branch .LBB197_14
	.p2align	6
.LBB197_13:                             ;   in Loop: Header=BB197_14 Depth=1
	s_or_b32 exec_lo, exec_lo, s6
	s_add_i32 s14, s14, 1
	s_delay_alu instid0(SALU_CYCLE_1)
	s_cmp_lt_i32 s14, s3
	s_cbranch_scc0 .LBB197_16
.LBB197_14:                             ; =>This Inner Loop Header: Depth=1
	s_delay_alu instid0(VALU_DEP_1) | instskip(SKIP_1) | instid1(VALU_DEP_1)
	v_add_nc_u32_e32 v4, s14, v8
	s_mov_b32 s6, exec_lo
	v_cmpx_gt_i32_e64 s3, v4
	s_cbranch_execz .LBB197_13
; %bb.15:                               ;   in Loop: Header=BB197_14 Depth=1
	v_ashrrev_i32_e32 v5, 31, v4
	s_delay_alu instid0(VALU_DEP_1) | instskip(NEXT) | instid1(VALU_DEP_1)
	v_lshlrev_b64 v[4:5], 2, v[4:5]
	v_add_co_u32 v4, vcc_lo, s4, v4
	s_delay_alu instid0(VALU_DEP_2) | instskip(SKIP_3) | instid1(VALU_DEP_1)
	v_add_co_ci_u32_e32 v5, vcc_lo, s5, v5, vcc_lo
	global_load_b32 v4, v[4:5], off
	s_waitcnt vmcnt(0)
	v_subrev_nc_u32_e32 v9, s10, v4
	v_mad_u64_u32 v[4:5], null, v9, 22, v[3:4]
	s_delay_alu instid0(VALU_DEP_1) | instskip(SKIP_1) | instid1(VALU_DEP_2)
	v_ashrrev_i32_e32 v5, 31, v4
	v_add_co_u32 v4, vcc_lo, s0, v4
	v_add_co_ci_u32_e32 v5, vcc_lo, s1, v5, vcc_lo
	global_load_i8 v9, v[1:2], off
	global_load_i8 v4, v[4:5], off
	v_add_co_u32 v1, vcc_lo, 0x1e4, v1
	v_add_co_ci_u32_e32 v2, vcc_lo, 0, v2, vcc_lo
	s_waitcnt vmcnt(0)
	v_mad_i32_i24 v6, v4, v9, v6
	s_branch .LBB197_13
.LBB197_16:
	s_set_inst_prefetch_distance 0x2
	v_lshlrev_b32_e32 v1, 2, v0
	s_and_b32 vcc_lo, exec_lo, s13
	ds_store_b32 v1, v6
	s_waitcnt lgkmcnt(0)
	s_barrier
	buffer_gl0_inv
	s_cbranch_vccz .LBB197_28
; %bb.17:
	s_mov_b32 s0, exec_lo
	v_cmpx_gt_u16_e32 6, v7
	s_cbranch_execz .LBB197_19
; %bb.18:
	ds_load_2addr_b32 v[2:3], v1 offset1:16
	s_waitcnt lgkmcnt(0)
	v_add_nc_u32_e32 v2, v2, v3
	ds_store_b32 v1, v2
.LBB197_19:
	s_or_b32 exec_lo, exec_lo, s0
	s_delay_alu instid0(SALU_CYCLE_1)
	s_mov_b32 s0, exec_lo
	s_waitcnt lgkmcnt(0)
	s_barrier
	buffer_gl0_inv
	v_cmpx_gt_u16_e32 8, v7
	s_cbranch_execz .LBB197_21
; %bb.20:
	ds_load_2addr_b32 v[2:3], v1 offset1:8
	s_waitcnt lgkmcnt(0)
	v_add_nc_u32_e32 v2, v2, v3
	ds_store_b32 v1, v2
.LBB197_21:
	s_or_b32 exec_lo, exec_lo, s0
	s_delay_alu instid0(SALU_CYCLE_1)
	s_mov_b32 s0, exec_lo
	s_waitcnt lgkmcnt(0)
	s_barrier
	buffer_gl0_inv
	;; [unrolled: 14-line block ×3, first 2 shown]
	v_cmpx_gt_u16_e32 2, v7
	s_cbranch_execz .LBB197_25
; %bb.24:
	ds_load_2addr_b32 v[2:3], v1 offset1:2
	s_waitcnt lgkmcnt(0)
	v_add_nc_u32_e32 v2, v2, v3
	ds_store_b32 v1, v2
.LBB197_25:
	s_or_b32 exec_lo, exec_lo, s0
	s_mov_b32 s1, 0
	s_mov_b32 s0, 0
	s_mov_b32 s3, exec_lo
	s_waitcnt lgkmcnt(0)
	s_barrier
	buffer_gl0_inv
                                        ; implicit-def: $vgpr2
                                        ; implicit-def: $vgpr3
	v_cmpx_gt_u32_e32 22, v0
	s_xor_b32 s3, exec_lo, s3
; %bb.26:
	v_mul_u32_u24_e32 v3, 22, v0
	s_mov_b32 s0, exec_lo
	s_delay_alu instid0(VALU_DEP_1)
	v_or_b32_e32 v2, 1, v3
	v_lshlrev_b32_e32 v3, 2, v3
; %bb.27:
	s_or_b32 exec_lo, exec_lo, s3
	s_delay_alu instid0(SALU_CYCLE_1)
	s_and_b32 vcc_lo, exec_lo, s1
	s_cbranch_vccnz .LBB197_29
	s_branch .LBB197_40
.LBB197_28:
	s_mov_b32 s0, 0
                                        ; implicit-def: $vgpr2
                                        ; implicit-def: $vgpr3
	s_cbranch_execz .LBB197_40
.LBB197_29:
	s_mov_b32 s1, exec_lo
	v_cmpx_gt_u32_e32 0x84, v0
	s_cbranch_execz .LBB197_31
; %bb.30:
	ds_load_b32 v2, v1 offset:1408
	ds_load_b32 v3, v1
	s_waitcnt lgkmcnt(0)
	v_add_nc_u32_e32 v2, v3, v2
	ds_store_b32 v1, v2
.LBB197_31:
	s_or_b32 exec_lo, exec_lo, s1
	s_delay_alu instid0(SALU_CYCLE_1)
	s_mov_b32 s1, exec_lo
	s_waitcnt lgkmcnt(0)
	s_barrier
	buffer_gl0_inv
	v_cmpx_gt_u32_e32 0xb0, v0
	s_cbranch_execz .LBB197_33
; %bb.32:
	ds_load_2addr_b32 v[2:3], v1 offset1:176
	s_waitcnt lgkmcnt(0)
	v_add_nc_u32_e32 v2, v2, v3
	ds_store_b32 v1, v2
.LBB197_33:
	s_or_b32 exec_lo, exec_lo, s1
	s_delay_alu instid0(SALU_CYCLE_1)
	s_mov_b32 s1, exec_lo
	s_waitcnt lgkmcnt(0)
	s_barrier
	buffer_gl0_inv
	v_cmpx_gt_u32_e32 0x58, v0
	s_cbranch_execz .LBB197_35
; %bb.34:
	ds_load_2addr_b32 v[2:3], v1 offset1:88
	s_waitcnt lgkmcnt(0)
	v_add_nc_u32_e32 v2, v2, v3
	ds_store_b32 v1, v2
.LBB197_35:
	;; [unrolled: 14-line block ×3, first 2 shown]
	s_or_b32 exec_lo, exec_lo, s1
	s_delay_alu instid0(SALU_CYCLE_1)
	s_mov_b32 s1, exec_lo
	s_waitcnt lgkmcnt(0)
	buffer_gl0_inv
                                        ; implicit-def: $vgpr2
	v_cmpx_gt_u32_e32 22, v0
; %bb.38:
	v_add_nc_u32_e32 v2, 22, v0
	s_or_b32 s0, s0, exec_lo
                                        ; implicit-def: $vgpr6
; %bb.39:
	s_or_b32 exec_lo, exec_lo, s1
	v_mov_b32_e32 v3, v1
.LBB197_40:
	s_and_saveexec_b32 s1, s0
	s_cbranch_execz .LBB197_42
; %bb.41:
	v_lshlrev_b32_e32 v1, 2, v2
	ds_load_b32 v2, v3
	ds_load_b32 v1, v1
	s_waitcnt lgkmcnt(0)
	v_add_nc_u32_e32 v6, v1, v2
.LBB197_42:
	s_or_b32 exec_lo, exec_lo, s1
	s_delay_alu instid0(SALU_CYCLE_1)
	s_mov_b32 s0, exec_lo
	v_cmpx_gt_u32_e32 22, v0
	s_cbranch_execz .LBB197_46
; %bb.43:
	v_mul_lo_u32 v1, v6, s11
	s_cmp_eq_u32 s12, 0
	s_mov_b32 s0, 0
	s_cbranch_scc1 .LBB197_47
; %bb.44:
	s_delay_alu instid0(VALU_DEP_1) | instskip(SKIP_1) | instid1(VALU_DEP_1)
	v_mad_u64_u32 v[2:3], null, s2, 22, v[0:1]
	v_mov_b32_e32 v3, 0
	v_lshlrev_b64 v[2:3], 2, v[2:3]
	s_delay_alu instid0(VALU_DEP_1) | instskip(NEXT) | instid1(VALU_DEP_2)
	v_add_co_u32 v2, vcc_lo, s8, v2
	v_add_co_ci_u32_e32 v3, vcc_lo, s9, v3, vcc_lo
	global_load_b32 v6, v[2:3], off
	s_waitcnt vmcnt(0)
	v_mad_u64_u32 v[4:5], null, v6, s12, v[1:2]
	global_store_b32 v[2:3], v4, off
	s_and_not1_b32 vcc_lo, exec_lo, s0
	s_cbranch_vccnz .LBB197_46
.LBB197_45:
	s_delay_alu instid0(VALU_DEP_1) | instskip(SKIP_1) | instid1(VALU_DEP_1)
	v_mad_u64_u32 v[2:3], null, s2, 22, v[0:1]
	v_mov_b32_e32 v3, 0
	v_lshlrev_b64 v[2:3], 2, v[2:3]
	s_delay_alu instid0(VALU_DEP_1) | instskip(NEXT) | instid1(VALU_DEP_2)
	v_add_co_u32 v2, vcc_lo, s8, v2
	v_add_co_ci_u32_e32 v3, vcc_lo, s9, v3, vcc_lo
	global_store_b32 v[2:3], v1, off
.LBB197_46:
	s_nop 0
	s_sendmsg sendmsg(MSG_DEALLOC_VGPRS)
	s_endpgm
.LBB197_47:
	s_branch .LBB197_45
	.section	.rodata,"a",@progbits
	.p2align	6, 0x0
	.amdhsa_kernel _ZN9rocsparseL20bsrxmvn_17_32_kernelILj22EiiiaaiEEvT2_20rocsparse_direction_NS_24const_host_device_scalarIT0_EES1_PKS1_PKT1_SA_S7_PKT3_PKT4_S5_PT5_21rocsparse_index_base_b
		.amdhsa_group_segment_fixed_size 1936
		.amdhsa_private_segment_fixed_size 0
		.amdhsa_kernarg_size 96
		.amdhsa_user_sgpr_count 15
		.amdhsa_user_sgpr_dispatch_ptr 0
		.amdhsa_user_sgpr_queue_ptr 0
		.amdhsa_user_sgpr_kernarg_segment_ptr 1
		.amdhsa_user_sgpr_dispatch_id 0
		.amdhsa_user_sgpr_private_segment_size 0
		.amdhsa_wavefront_size32 1
		.amdhsa_uses_dynamic_stack 0
		.amdhsa_enable_private_segment 0
		.amdhsa_system_sgpr_workgroup_id_x 1
		.amdhsa_system_sgpr_workgroup_id_y 0
		.amdhsa_system_sgpr_workgroup_id_z 0
		.amdhsa_system_sgpr_workgroup_info 0
		.amdhsa_system_vgpr_workitem_id 0
		.amdhsa_next_free_vgpr 10
		.amdhsa_next_free_sgpr 17
		.amdhsa_reserve_vcc 1
		.amdhsa_float_round_mode_32 0
		.amdhsa_float_round_mode_16_64 0
		.amdhsa_float_denorm_mode_32 3
		.amdhsa_float_denorm_mode_16_64 3
		.amdhsa_dx10_clamp 1
		.amdhsa_ieee_mode 1
		.amdhsa_fp16_overflow 0
		.amdhsa_workgroup_processor_mode 1
		.amdhsa_memory_ordered 1
		.amdhsa_forward_progress 0
		.amdhsa_shared_vgpr_count 0
		.amdhsa_exception_fp_ieee_invalid_op 0
		.amdhsa_exception_fp_denorm_src 0
		.amdhsa_exception_fp_ieee_div_zero 0
		.amdhsa_exception_fp_ieee_overflow 0
		.amdhsa_exception_fp_ieee_underflow 0
		.amdhsa_exception_fp_ieee_inexact 0
		.amdhsa_exception_int_div_zero 0
	.end_amdhsa_kernel
	.section	.text._ZN9rocsparseL20bsrxmvn_17_32_kernelILj22EiiiaaiEEvT2_20rocsparse_direction_NS_24const_host_device_scalarIT0_EES1_PKS1_PKT1_SA_S7_PKT3_PKT4_S5_PT5_21rocsparse_index_base_b,"axG",@progbits,_ZN9rocsparseL20bsrxmvn_17_32_kernelILj22EiiiaaiEEvT2_20rocsparse_direction_NS_24const_host_device_scalarIT0_EES1_PKS1_PKT1_SA_S7_PKT3_PKT4_S5_PT5_21rocsparse_index_base_b,comdat
.Lfunc_end197:
	.size	_ZN9rocsparseL20bsrxmvn_17_32_kernelILj22EiiiaaiEEvT2_20rocsparse_direction_NS_24const_host_device_scalarIT0_EES1_PKS1_PKT1_SA_S7_PKT3_PKT4_S5_PT5_21rocsparse_index_base_b, .Lfunc_end197-_ZN9rocsparseL20bsrxmvn_17_32_kernelILj22EiiiaaiEEvT2_20rocsparse_direction_NS_24const_host_device_scalarIT0_EES1_PKS1_PKT1_SA_S7_PKT3_PKT4_S5_PT5_21rocsparse_index_base_b
                                        ; -- End function
	.section	.AMDGPU.csdata,"",@progbits
; Kernel info:
; codeLenInByte = 1572
; NumSgprs: 19
; NumVgprs: 10
; ScratchSize: 0
; MemoryBound: 0
; FloatMode: 240
; IeeeMode: 1
; LDSByteSize: 1936 bytes/workgroup (compile time only)
; SGPRBlocks: 2
; VGPRBlocks: 1
; NumSGPRsForWavesPerEU: 19
; NumVGPRsForWavesPerEU: 10
; Occupancy: 16
; WaveLimiterHint : 1
; COMPUTE_PGM_RSRC2:SCRATCH_EN: 0
; COMPUTE_PGM_RSRC2:USER_SGPR: 15
; COMPUTE_PGM_RSRC2:TRAP_HANDLER: 0
; COMPUTE_PGM_RSRC2:TGID_X_EN: 1
; COMPUTE_PGM_RSRC2:TGID_Y_EN: 0
; COMPUTE_PGM_RSRC2:TGID_Z_EN: 0
; COMPUTE_PGM_RSRC2:TIDIG_COMP_CNT: 0
	.section	.text._ZN9rocsparseL20bsrxmvn_17_32_kernelILj23EiiiaaiEEvT2_20rocsparse_direction_NS_24const_host_device_scalarIT0_EES1_PKS1_PKT1_SA_S7_PKT3_PKT4_S5_PT5_21rocsparse_index_base_b,"axG",@progbits,_ZN9rocsparseL20bsrxmvn_17_32_kernelILj23EiiiaaiEEvT2_20rocsparse_direction_NS_24const_host_device_scalarIT0_EES1_PKS1_PKT1_SA_S7_PKT3_PKT4_S5_PT5_21rocsparse_index_base_b,comdat
	.globl	_ZN9rocsparseL20bsrxmvn_17_32_kernelILj23EiiiaaiEEvT2_20rocsparse_direction_NS_24const_host_device_scalarIT0_EES1_PKS1_PKT1_SA_S7_PKT3_PKT4_S5_PT5_21rocsparse_index_base_b ; -- Begin function _ZN9rocsparseL20bsrxmvn_17_32_kernelILj23EiiiaaiEEvT2_20rocsparse_direction_NS_24const_host_device_scalarIT0_EES1_PKS1_PKT1_SA_S7_PKT3_PKT4_S5_PT5_21rocsparse_index_base_b
	.p2align	8
	.type	_ZN9rocsparseL20bsrxmvn_17_32_kernelILj23EiiiaaiEEvT2_20rocsparse_direction_NS_24const_host_device_scalarIT0_EES1_PKS1_PKT1_SA_S7_PKT3_PKT4_S5_PT5_21rocsparse_index_base_b,@function
_ZN9rocsparseL20bsrxmvn_17_32_kernelILj23EiiiaaiEEvT2_20rocsparse_direction_NS_24const_host_device_scalarIT0_EES1_PKS1_PKT1_SA_S7_PKT3_PKT4_S5_PT5_21rocsparse_index_base_b: ; @_ZN9rocsparseL20bsrxmvn_17_32_kernelILj23EiiiaaiEEvT2_20rocsparse_direction_NS_24const_host_device_scalarIT0_EES1_PKS1_PKT1_SA_S7_PKT3_PKT4_S5_PT5_21rocsparse_index_base_b
; %bb.0:
	s_clause 0x1
	s_load_b64 s[10:11], s[0:1], 0x58
	s_load_b64 s[6:7], s[0:1], 0x8
	s_mov_b32 s2, s15
	s_mov_b32 s8, -1
	s_waitcnt lgkmcnt(0)
	s_bitcmp1_b32 s11, 0
                                        ; implicit-def: $sgpr11
	s_cselect_b32 s3, -1, 0
	s_delay_alu instid0(SALU_CYCLE_1) | instskip(NEXT) | instid1(SALU_CYCLE_1)
	s_xor_b32 s3, s3, -1
	s_and_b32 vcc_lo, exec_lo, s3
	s_cbranch_vccnz .LBB198_4
; %bb.1:
	s_load_b64 s[4:5], s[0:1], 0x48
	s_and_not1_b32 vcc_lo, exec_lo, s8
	s_cbranch_vccz .LBB198_5
.LBB198_2:
	s_and_b32 vcc_lo, exec_lo, s3
	s_cbranch_vccz .LBB198_6
.LBB198_3:
	s_waitcnt lgkmcnt(0)
	s_load_b32 s14, s[4:5], 0x0
	s_cbranch_execz .LBB198_7
	s_branch .LBB198_8
.LBB198_4:
	s_load_b32 s11, s[6:7], 0x0
	s_load_b64 s[4:5], s[0:1], 0x48
	s_cbranch_execnz .LBB198_2
.LBB198_5:
	s_waitcnt lgkmcnt(0)
	s_mov_b32 s11, s6
	s_and_b32 vcc_lo, exec_lo, s3
	s_cbranch_vccnz .LBB198_3
.LBB198_6:
                                        ; implicit-def: $sgpr14
.LBB198_7:
	s_waitcnt lgkmcnt(0)
	s_mov_b32 s14, s4
.LBB198_8:
	s_waitcnt lgkmcnt(0)
	s_cmp_lg_u32 s11, 0
	s_cselect_b32 s3, -1, 0
	s_cmp_lg_u32 s14, 1
	s_cselect_b32 s4, -1, 0
	s_delay_alu instid0(SALU_CYCLE_1) | instskip(NEXT) | instid1(SALU_CYCLE_1)
	s_or_b32 s3, s3, s4
	s_and_not1_b32 vcc_lo, exec_lo, s3
	s_cbranch_vccnz .LBB198_46
; %bb.9:
	s_clause 0x1
	s_load_b128 s[4:7], s[0:1], 0x18
	s_load_b64 s[8:9], s[0:1], 0x28
	s_waitcnt lgkmcnt(0)
	s_cmp_eq_u64 s[4:5], 0
	s_cbranch_scc1 .LBB198_11
; %bb.10:
	s_ashr_i32 s3, s2, 31
	s_delay_alu instid0(SALU_CYCLE_1) | instskip(NEXT) | instid1(SALU_CYCLE_1)
	s_lshl_b64 s[2:3], s[2:3], 2
	s_add_u32 s2, s4, s2
	s_addc_u32 s3, s5, s3
	s_load_b32 s2, s[2:3], 0x0
	s_waitcnt lgkmcnt(0)
	s_sub_i32 s2, s2, s10
.LBB198_11:
	s_load_b32 s3, s[0:1], 0x4
	v_mul_u32_u24_e32 v1, 0xb22, v0
	v_mov_b32_e32 v6, 0
	s_delay_alu instid0(VALU_DEP_2) | instskip(NEXT) | instid1(VALU_DEP_1)
	v_lshrrev_b32_e32 v1, 16, v1
	v_mul_lo_u16 v2, v1, 23
	s_delay_alu instid0(VALU_DEP_1)
	v_sub_nc_u16 v7, v0, v2
	s_waitcnt lgkmcnt(0)
	s_cmp_eq_u32 s3, 1
	s_cselect_b32 vcc_lo, -1, 0
	s_cmp_lg_u32 s3, 1
	s_cselect_b32 s15, -1, 0
	s_ashr_i32 s3, s2, 31
	s_delay_alu instid0(SALU_CYCLE_1) | instskip(NEXT) | instid1(SALU_CYCLE_1)
	s_lshl_b64 s[4:5], s[2:3], 2
	s_add_u32 s6, s6, s4
	s_addc_u32 s7, s7, s5
	s_add_u32 s3, s6, 4
	s_addc_u32 s12, s7, 0
	;; [unrolled: 2-line block ×3, first 2 shown]
	s_cmp_eq_u64 s[8:9], 0
	s_load_b64 s[8:9], s[0:1], 0x50
	s_cselect_b32 s5, s12, s5
	s_cselect_b32 s4, s3, s4
	s_load_b32 s3, s[6:7], 0x0
	s_load_b32 s16, s[4:5], 0x0
	s_waitcnt lgkmcnt(0)
	s_cmp_ge_i32 s3, s16
	s_cbranch_scc1 .LBB198_16
; %bb.12:
	s_clause 0x1
	s_load_b128 s[4:7], s[0:1], 0x30
	s_load_b64 s[12:13], s[0:1], 0x40
	v_dual_mov_b32 v6, 0 :: v_dual_and_b32 v1, 0xffff, v1
	v_cmp_gt_u32_e64 s0, 0x211, v0
	v_and_b32_e32 v3, 0xffff, v7
	s_sub_i32 s1, s16, s10
	s_delay_alu instid0(VALU_DEP_3) | instskip(NEXT) | instid1(VALU_DEP_1)
	v_subrev_nc_u32_e32 v2, 23, v1
	v_cndmask_b32_e64 v1, v2, v1, s0
	s_sub_i32 s0, s3, s10
	s_delay_alu instid0(SALU_CYCLE_1) | instskip(SKIP_1) | instid1(VALU_DEP_1)
	s_mul_i32 s16, s0, 0x211
	s_mul_hi_i32 s3, s0, 0x211
	v_cndmask_b32_e32 v1, v3, v1, vcc_lo
	v_cmp_lt_u32_e32 vcc_lo, 0x210, v0
	s_waitcnt lgkmcnt(0)
	s_add_u32 s6, s6, s16
	s_addc_u32 s3, s7, s3
	v_add_co_u32 v2, s6, s6, v0
	s_delay_alu instid0(VALU_DEP_1)
	v_add_co_ci_u32_e64 v3, null, s3, 0, s6
	v_cndmask_b32_e64 v8, 0, 1, vcc_lo
	s_set_inst_prefetch_distance 0x1
	s_branch .LBB198_14
	.p2align	6
.LBB198_13:                             ;   in Loop: Header=BB198_14 Depth=1
	s_or_b32 exec_lo, exec_lo, s3
	s_add_i32 s0, s0, 1
	s_delay_alu instid0(SALU_CYCLE_1)
	s_cmp_lt_i32 s0, s1
	s_cbranch_scc0 .LBB198_16
.LBB198_14:                             ; =>This Inner Loop Header: Depth=1
	s_delay_alu instid0(VALU_DEP_1) | instskip(SKIP_1) | instid1(VALU_DEP_1)
	v_add_nc_u32_e32 v4, s0, v8
	s_mov_b32 s3, exec_lo
	v_cmpx_gt_i32_e64 s1, v4
	s_cbranch_execz .LBB198_13
; %bb.15:                               ;   in Loop: Header=BB198_14 Depth=1
	v_ashrrev_i32_e32 v5, 31, v4
	s_delay_alu instid0(VALU_DEP_1) | instskip(NEXT) | instid1(VALU_DEP_1)
	v_lshlrev_b64 v[4:5], 2, v[4:5]
	v_add_co_u32 v4, vcc_lo, s4, v4
	s_delay_alu instid0(VALU_DEP_2) | instskip(SKIP_3) | instid1(VALU_DEP_1)
	v_add_co_ci_u32_e32 v5, vcc_lo, s5, v5, vcc_lo
	global_load_b32 v4, v[4:5], off
	s_waitcnt vmcnt(0)
	v_subrev_nc_u32_e32 v9, s10, v4
	v_mad_u64_u32 v[4:5], null, v9, 23, v[1:2]
	s_delay_alu instid0(VALU_DEP_1) | instskip(SKIP_1) | instid1(VALU_DEP_2)
	v_ashrrev_i32_e32 v5, 31, v4
	v_add_co_u32 v4, vcc_lo, s12, v4
	v_add_co_ci_u32_e32 v5, vcc_lo, s13, v5, vcc_lo
	global_load_i8 v9, v[2:3], off
	global_load_i8 v4, v[4:5], off
	v_add_co_u32 v2, vcc_lo, 0x211, v2
	v_add_co_ci_u32_e32 v3, vcc_lo, 0, v3, vcc_lo
	s_waitcnt vmcnt(0)
	v_mad_i32_i24 v6, v4, v9, v6
	s_branch .LBB198_13
.LBB198_16:
	s_set_inst_prefetch_distance 0x2
	v_lshlrev_b32_e32 v1, 2, v0
	s_and_b32 vcc_lo, exec_lo, s15
	ds_store_b32 v1, v6
	s_waitcnt lgkmcnt(0)
	s_barrier
	buffer_gl0_inv
	s_cbranch_vccz .LBB198_28
; %bb.17:
	s_mov_b32 s0, exec_lo
	v_cmpx_gt_u16_e32 7, v7
	s_cbranch_execz .LBB198_19
; %bb.18:
	ds_load_2addr_b32 v[2:3], v1 offset1:16
	s_waitcnt lgkmcnt(0)
	v_add_nc_u32_e32 v2, v2, v3
	ds_store_b32 v1, v2
.LBB198_19:
	s_or_b32 exec_lo, exec_lo, s0
	s_delay_alu instid0(SALU_CYCLE_1)
	s_mov_b32 s0, exec_lo
	s_waitcnt lgkmcnt(0)
	s_barrier
	buffer_gl0_inv
	v_cmpx_gt_u16_e32 8, v7
	s_cbranch_execz .LBB198_21
; %bb.20:
	ds_load_2addr_b32 v[2:3], v1 offset1:8
	s_waitcnt lgkmcnt(0)
	v_add_nc_u32_e32 v2, v2, v3
	ds_store_b32 v1, v2
.LBB198_21:
	s_or_b32 exec_lo, exec_lo, s0
	s_delay_alu instid0(SALU_CYCLE_1)
	s_mov_b32 s0, exec_lo
	s_waitcnt lgkmcnt(0)
	s_barrier
	buffer_gl0_inv
	;; [unrolled: 14-line block ×3, first 2 shown]
	v_cmpx_gt_u16_e32 2, v7
	s_cbranch_execz .LBB198_25
; %bb.24:
	ds_load_2addr_b32 v[2:3], v1 offset1:2
	s_waitcnt lgkmcnt(0)
	v_add_nc_u32_e32 v2, v2, v3
	ds_store_b32 v1, v2
.LBB198_25:
	s_or_b32 exec_lo, exec_lo, s0
	s_mov_b32 s1, 0
	s_mov_b32 s0, 0
	s_mov_b32 s3, exec_lo
	s_waitcnt lgkmcnt(0)
	s_barrier
	buffer_gl0_inv
                                        ; implicit-def: $vgpr2
                                        ; implicit-def: $vgpr3
	v_cmpx_gt_u32_e32 23, v0
	s_xor_b32 s3, exec_lo, s3
; %bb.26:
	v_mul_u32_u24_e32 v3, 23, v0
	v_mad_u32_u24 v2, v0, 23, 1
	s_mov_b32 s0, exec_lo
	s_delay_alu instid0(VALU_DEP_2)
	v_lshlrev_b32_e32 v3, 2, v3
; %bb.27:
	s_or_b32 exec_lo, exec_lo, s3
	s_delay_alu instid0(SALU_CYCLE_1)
	s_and_b32 vcc_lo, exec_lo, s1
	s_cbranch_vccnz .LBB198_29
	s_branch .LBB198_40
.LBB198_28:
	s_mov_b32 s0, 0
                                        ; implicit-def: $vgpr2
                                        ; implicit-def: $vgpr3
	s_cbranch_execz .LBB198_40
.LBB198_29:
	s_mov_b32 s1, exec_lo
	v_cmpx_gt_u32_e32 0xa1, v0
	s_cbranch_execz .LBB198_31
; %bb.30:
	ds_load_b32 v2, v1 offset:1472
	ds_load_b32 v3, v1
	s_waitcnt lgkmcnt(0)
	v_add_nc_u32_e32 v2, v3, v2
	ds_store_b32 v1, v2
.LBB198_31:
	s_or_b32 exec_lo, exec_lo, s1
	s_delay_alu instid0(SALU_CYCLE_1)
	s_mov_b32 s1, exec_lo
	s_waitcnt lgkmcnt(0)
	s_barrier
	buffer_gl0_inv
	v_cmpx_gt_u32_e32 0xb8, v0
	s_cbranch_execz .LBB198_33
; %bb.32:
	ds_load_2addr_b32 v[2:3], v1 offset1:184
	s_waitcnt lgkmcnt(0)
	v_add_nc_u32_e32 v2, v2, v3
	ds_store_b32 v1, v2
.LBB198_33:
	s_or_b32 exec_lo, exec_lo, s1
	s_delay_alu instid0(SALU_CYCLE_1)
	s_mov_b32 s1, exec_lo
	s_waitcnt lgkmcnt(0)
	s_barrier
	buffer_gl0_inv
	v_cmpx_gt_u32_e32 0x5c, v0
	s_cbranch_execz .LBB198_35
; %bb.34:
	ds_load_2addr_b32 v[2:3], v1 offset1:92
	s_waitcnt lgkmcnt(0)
	v_add_nc_u32_e32 v2, v2, v3
	ds_store_b32 v1, v2
.LBB198_35:
	;; [unrolled: 14-line block ×3, first 2 shown]
	s_or_b32 exec_lo, exec_lo, s1
	s_delay_alu instid0(SALU_CYCLE_1)
	s_mov_b32 s1, exec_lo
	s_waitcnt lgkmcnt(0)
	buffer_gl0_inv
                                        ; implicit-def: $vgpr2
	v_cmpx_gt_u32_e32 23, v0
; %bb.38:
	v_add_nc_u32_e32 v2, 23, v0
	s_or_b32 s0, s0, exec_lo
                                        ; implicit-def: $vgpr6
; %bb.39:
	s_or_b32 exec_lo, exec_lo, s1
	v_mov_b32_e32 v3, v1
.LBB198_40:
	s_and_saveexec_b32 s1, s0
	s_cbranch_execz .LBB198_42
; %bb.41:
	v_lshlrev_b32_e32 v1, 2, v2
	ds_load_b32 v2, v3
	ds_load_b32 v1, v1
	s_waitcnt lgkmcnt(0)
	v_add_nc_u32_e32 v6, v1, v2
.LBB198_42:
	s_or_b32 exec_lo, exec_lo, s1
	s_delay_alu instid0(SALU_CYCLE_1)
	s_mov_b32 s0, exec_lo
	v_cmpx_gt_u32_e32 23, v0
	s_cbranch_execz .LBB198_46
; %bb.43:
	v_mul_lo_u32 v1, v6, s11
	s_cmp_eq_u32 s14, 0
	s_mov_b32 s0, 0
	s_cbranch_scc1 .LBB198_47
; %bb.44:
	s_delay_alu instid0(VALU_DEP_1) | instskip(SKIP_1) | instid1(VALU_DEP_1)
	v_mad_u64_u32 v[2:3], null, s2, 23, v[0:1]
	v_mov_b32_e32 v3, 0
	v_lshlrev_b64 v[2:3], 2, v[2:3]
	s_delay_alu instid0(VALU_DEP_1) | instskip(NEXT) | instid1(VALU_DEP_2)
	v_add_co_u32 v2, vcc_lo, s8, v2
	v_add_co_ci_u32_e32 v3, vcc_lo, s9, v3, vcc_lo
	global_load_b32 v6, v[2:3], off
	s_waitcnt vmcnt(0)
	v_mad_u64_u32 v[4:5], null, v6, s14, v[1:2]
	global_store_b32 v[2:3], v4, off
	s_and_not1_b32 vcc_lo, exec_lo, s0
	s_cbranch_vccnz .LBB198_46
.LBB198_45:
	s_delay_alu instid0(VALU_DEP_1) | instskip(SKIP_1) | instid1(VALU_DEP_1)
	v_mad_u64_u32 v[2:3], null, s2, 23, v[0:1]
	v_mov_b32_e32 v3, 0
	v_lshlrev_b64 v[2:3], 2, v[2:3]
	s_delay_alu instid0(VALU_DEP_1) | instskip(NEXT) | instid1(VALU_DEP_2)
	v_add_co_u32 v2, vcc_lo, s8, v2
	v_add_co_ci_u32_e32 v3, vcc_lo, s9, v3, vcc_lo
	global_store_b32 v[2:3], v1, off
.LBB198_46:
	s_nop 0
	s_sendmsg sendmsg(MSG_DEALLOC_VGPRS)
	s_endpgm
.LBB198_47:
	s_branch .LBB198_45
	.section	.rodata,"a",@progbits
	.p2align	6, 0x0
	.amdhsa_kernel _ZN9rocsparseL20bsrxmvn_17_32_kernelILj23EiiiaaiEEvT2_20rocsparse_direction_NS_24const_host_device_scalarIT0_EES1_PKS1_PKT1_SA_S7_PKT3_PKT4_S5_PT5_21rocsparse_index_base_b
		.amdhsa_group_segment_fixed_size 2116
		.amdhsa_private_segment_fixed_size 0
		.amdhsa_kernarg_size 96
		.amdhsa_user_sgpr_count 15
		.amdhsa_user_sgpr_dispatch_ptr 0
		.amdhsa_user_sgpr_queue_ptr 0
		.amdhsa_user_sgpr_kernarg_segment_ptr 1
		.amdhsa_user_sgpr_dispatch_id 0
		.amdhsa_user_sgpr_private_segment_size 0
		.amdhsa_wavefront_size32 1
		.amdhsa_uses_dynamic_stack 0
		.amdhsa_enable_private_segment 0
		.amdhsa_system_sgpr_workgroup_id_x 1
		.amdhsa_system_sgpr_workgroup_id_y 0
		.amdhsa_system_sgpr_workgroup_id_z 0
		.amdhsa_system_sgpr_workgroup_info 0
		.amdhsa_system_vgpr_workitem_id 0
		.amdhsa_next_free_vgpr 10
		.amdhsa_next_free_sgpr 17
		.amdhsa_reserve_vcc 1
		.amdhsa_float_round_mode_32 0
		.amdhsa_float_round_mode_16_64 0
		.amdhsa_float_denorm_mode_32 3
		.amdhsa_float_denorm_mode_16_64 3
		.amdhsa_dx10_clamp 1
		.amdhsa_ieee_mode 1
		.amdhsa_fp16_overflow 0
		.amdhsa_workgroup_processor_mode 1
		.amdhsa_memory_ordered 1
		.amdhsa_forward_progress 0
		.amdhsa_shared_vgpr_count 0
		.amdhsa_exception_fp_ieee_invalid_op 0
		.amdhsa_exception_fp_denorm_src 0
		.amdhsa_exception_fp_ieee_div_zero 0
		.amdhsa_exception_fp_ieee_overflow 0
		.amdhsa_exception_fp_ieee_underflow 0
		.amdhsa_exception_fp_ieee_inexact 0
		.amdhsa_exception_int_div_zero 0
	.end_amdhsa_kernel
	.section	.text._ZN9rocsparseL20bsrxmvn_17_32_kernelILj23EiiiaaiEEvT2_20rocsparse_direction_NS_24const_host_device_scalarIT0_EES1_PKS1_PKT1_SA_S7_PKT3_PKT4_S5_PT5_21rocsparse_index_base_b,"axG",@progbits,_ZN9rocsparseL20bsrxmvn_17_32_kernelILj23EiiiaaiEEvT2_20rocsparse_direction_NS_24const_host_device_scalarIT0_EES1_PKS1_PKT1_SA_S7_PKT3_PKT4_S5_PT5_21rocsparse_index_base_b,comdat
.Lfunc_end198:
	.size	_ZN9rocsparseL20bsrxmvn_17_32_kernelILj23EiiiaaiEEvT2_20rocsparse_direction_NS_24const_host_device_scalarIT0_EES1_PKS1_PKT1_SA_S7_PKT3_PKT4_S5_PT5_21rocsparse_index_base_b, .Lfunc_end198-_ZN9rocsparseL20bsrxmvn_17_32_kernelILj23EiiiaaiEEvT2_20rocsparse_direction_NS_24const_host_device_scalarIT0_EES1_PKS1_PKT1_SA_S7_PKT3_PKT4_S5_PT5_21rocsparse_index_base_b
                                        ; -- End function
	.section	.AMDGPU.csdata,"",@progbits
; Kernel info:
; codeLenInByte = 1568
; NumSgprs: 19
; NumVgprs: 10
; ScratchSize: 0
; MemoryBound: 0
; FloatMode: 240
; IeeeMode: 1
; LDSByteSize: 2116 bytes/workgroup (compile time only)
; SGPRBlocks: 2
; VGPRBlocks: 1
; NumSGPRsForWavesPerEU: 19
; NumVGPRsForWavesPerEU: 10
; Occupancy: 13
; WaveLimiterHint : 1
; COMPUTE_PGM_RSRC2:SCRATCH_EN: 0
; COMPUTE_PGM_RSRC2:USER_SGPR: 15
; COMPUTE_PGM_RSRC2:TRAP_HANDLER: 0
; COMPUTE_PGM_RSRC2:TGID_X_EN: 1
; COMPUTE_PGM_RSRC2:TGID_Y_EN: 0
; COMPUTE_PGM_RSRC2:TGID_Z_EN: 0
; COMPUTE_PGM_RSRC2:TIDIG_COMP_CNT: 0
	.section	.text._ZN9rocsparseL20bsrxmvn_17_32_kernelILj24EiiiaaiEEvT2_20rocsparse_direction_NS_24const_host_device_scalarIT0_EES1_PKS1_PKT1_SA_S7_PKT3_PKT4_S5_PT5_21rocsparse_index_base_b,"axG",@progbits,_ZN9rocsparseL20bsrxmvn_17_32_kernelILj24EiiiaaiEEvT2_20rocsparse_direction_NS_24const_host_device_scalarIT0_EES1_PKS1_PKT1_SA_S7_PKT3_PKT4_S5_PT5_21rocsparse_index_base_b,comdat
	.globl	_ZN9rocsparseL20bsrxmvn_17_32_kernelILj24EiiiaaiEEvT2_20rocsparse_direction_NS_24const_host_device_scalarIT0_EES1_PKS1_PKT1_SA_S7_PKT3_PKT4_S5_PT5_21rocsparse_index_base_b ; -- Begin function _ZN9rocsparseL20bsrxmvn_17_32_kernelILj24EiiiaaiEEvT2_20rocsparse_direction_NS_24const_host_device_scalarIT0_EES1_PKS1_PKT1_SA_S7_PKT3_PKT4_S5_PT5_21rocsparse_index_base_b
	.p2align	8
	.type	_ZN9rocsparseL20bsrxmvn_17_32_kernelILj24EiiiaaiEEvT2_20rocsparse_direction_NS_24const_host_device_scalarIT0_EES1_PKS1_PKT1_SA_S7_PKT3_PKT4_S5_PT5_21rocsparse_index_base_b,@function
_ZN9rocsparseL20bsrxmvn_17_32_kernelILj24EiiiaaiEEvT2_20rocsparse_direction_NS_24const_host_device_scalarIT0_EES1_PKS1_PKT1_SA_S7_PKT3_PKT4_S5_PT5_21rocsparse_index_base_b: ; @_ZN9rocsparseL20bsrxmvn_17_32_kernelILj24EiiiaaiEEvT2_20rocsparse_direction_NS_24const_host_device_scalarIT0_EES1_PKS1_PKT1_SA_S7_PKT3_PKT4_S5_PT5_21rocsparse_index_base_b
; %bb.0:
	s_clause 0x1
	s_load_b64 s[10:11], s[0:1], 0x58
	s_load_b64 s[6:7], s[0:1], 0x8
	s_mov_b32 s2, s15
	s_mov_b32 s8, -1
	s_waitcnt lgkmcnt(0)
	s_bitcmp1_b32 s11, 0
                                        ; implicit-def: $sgpr11
	s_cselect_b32 s3, -1, 0
	s_delay_alu instid0(SALU_CYCLE_1) | instskip(NEXT) | instid1(SALU_CYCLE_1)
	s_xor_b32 s3, s3, -1
	s_and_b32 vcc_lo, exec_lo, s3
	s_cbranch_vccnz .LBB199_4
; %bb.1:
	s_load_b64 s[4:5], s[0:1], 0x48
	s_and_not1_b32 vcc_lo, exec_lo, s8
	s_cbranch_vccz .LBB199_5
.LBB199_2:
	s_and_b32 vcc_lo, exec_lo, s3
	s_cbranch_vccz .LBB199_6
.LBB199_3:
	s_waitcnt lgkmcnt(0)
	s_load_b32 s14, s[4:5], 0x0
	s_cbranch_execz .LBB199_7
	s_branch .LBB199_8
.LBB199_4:
	s_load_b32 s11, s[6:7], 0x0
	s_load_b64 s[4:5], s[0:1], 0x48
	s_cbranch_execnz .LBB199_2
.LBB199_5:
	s_waitcnt lgkmcnt(0)
	s_mov_b32 s11, s6
	s_and_b32 vcc_lo, exec_lo, s3
	s_cbranch_vccnz .LBB199_3
.LBB199_6:
                                        ; implicit-def: $sgpr14
.LBB199_7:
	s_waitcnt lgkmcnt(0)
	s_mov_b32 s14, s4
.LBB199_8:
	s_waitcnt lgkmcnt(0)
	s_cmp_lg_u32 s11, 0
	s_cselect_b32 s3, -1, 0
	s_cmp_lg_u32 s14, 1
	s_cselect_b32 s4, -1, 0
	s_delay_alu instid0(SALU_CYCLE_1) | instskip(NEXT) | instid1(SALU_CYCLE_1)
	s_or_b32 s3, s3, s4
	s_and_not1_b32 vcc_lo, exec_lo, s3
	s_cbranch_vccnz .LBB199_46
; %bb.9:
	s_clause 0x1
	s_load_b128 s[4:7], s[0:1], 0x18
	s_load_b64 s[8:9], s[0:1], 0x28
	s_waitcnt lgkmcnt(0)
	s_cmp_eq_u64 s[4:5], 0
	s_cbranch_scc1 .LBB199_11
; %bb.10:
	s_ashr_i32 s3, s2, 31
	s_delay_alu instid0(SALU_CYCLE_1) | instskip(NEXT) | instid1(SALU_CYCLE_1)
	s_lshl_b64 s[2:3], s[2:3], 2
	s_add_u32 s2, s4, s2
	s_addc_u32 s3, s5, s3
	s_load_b32 s2, s[2:3], 0x0
	s_waitcnt lgkmcnt(0)
	s_sub_i32 s2, s2, s10
.LBB199_11:
	s_load_b32 s3, s[0:1], 0x4
	v_mul_u32_u24_e32 v1, 0xaab, v0
	v_mov_b32_e32 v6, 0
	s_delay_alu instid0(VALU_DEP_2) | instskip(NEXT) | instid1(VALU_DEP_1)
	v_lshrrev_b32_e32 v1, 16, v1
	v_mul_lo_u16 v2, v1, 24
	s_delay_alu instid0(VALU_DEP_1)
	v_sub_nc_u16 v7, v0, v2
	s_waitcnt lgkmcnt(0)
	s_cmp_eq_u32 s3, 1
	s_cselect_b32 vcc_lo, -1, 0
	s_cmp_lg_u32 s3, 1
	s_cselect_b32 s15, -1, 0
	s_ashr_i32 s3, s2, 31
	s_delay_alu instid0(SALU_CYCLE_1) | instskip(NEXT) | instid1(SALU_CYCLE_1)
	s_lshl_b64 s[4:5], s[2:3], 2
	s_add_u32 s6, s6, s4
	s_addc_u32 s7, s7, s5
	s_add_u32 s3, s6, 4
	s_addc_u32 s12, s7, 0
	;; [unrolled: 2-line block ×3, first 2 shown]
	s_cmp_eq_u64 s[8:9], 0
	s_load_b64 s[8:9], s[0:1], 0x50
	s_cselect_b32 s5, s12, s5
	s_cselect_b32 s4, s3, s4
	s_load_b32 s3, s[6:7], 0x0
	s_load_b32 s16, s[4:5], 0x0
	s_waitcnt lgkmcnt(0)
	s_cmp_ge_i32 s3, s16
	s_cbranch_scc1 .LBB199_16
; %bb.12:
	s_clause 0x1
	s_load_b128 s[4:7], s[0:1], 0x30
	s_load_b64 s[12:13], s[0:1], 0x40
	v_dual_mov_b32 v6, 0 :: v_dual_and_b32 v1, 0xffff, v1
	v_cmp_gt_u32_e64 s0, 0x240, v0
	v_and_b32_e32 v3, 0xffff, v7
	s_sub_i32 s1, s16, s10
	s_delay_alu instid0(VALU_DEP_3) | instskip(NEXT) | instid1(VALU_DEP_1)
	v_subrev_nc_u32_e32 v2, 24, v1
	v_cndmask_b32_e64 v1, v2, v1, s0
	s_sub_i32 s0, s3, s10
	s_delay_alu instid0(SALU_CYCLE_1) | instskip(SKIP_1) | instid1(VALU_DEP_1)
	s_mul_i32 s16, s0, 0x240
	s_mul_hi_i32 s3, s0, 0x240
	v_cndmask_b32_e32 v1, v3, v1, vcc_lo
	v_cmp_lt_u32_e32 vcc_lo, 0x23f, v0
	s_waitcnt lgkmcnt(0)
	s_add_u32 s6, s6, s16
	s_addc_u32 s3, s7, s3
	v_add_co_u32 v2, s6, s6, v0
	s_delay_alu instid0(VALU_DEP_1)
	v_add_co_ci_u32_e64 v3, null, s3, 0, s6
	v_cndmask_b32_e64 v8, 0, 1, vcc_lo
	s_set_inst_prefetch_distance 0x1
	s_branch .LBB199_14
	.p2align	6
.LBB199_13:                             ;   in Loop: Header=BB199_14 Depth=1
	s_or_b32 exec_lo, exec_lo, s3
	s_add_i32 s0, s0, 1
	s_delay_alu instid0(SALU_CYCLE_1)
	s_cmp_lt_i32 s0, s1
	s_cbranch_scc0 .LBB199_16
.LBB199_14:                             ; =>This Inner Loop Header: Depth=1
	s_delay_alu instid0(VALU_DEP_1) | instskip(SKIP_1) | instid1(VALU_DEP_1)
	v_add_nc_u32_e32 v4, s0, v8
	s_mov_b32 s3, exec_lo
	v_cmpx_gt_i32_e64 s1, v4
	s_cbranch_execz .LBB199_13
; %bb.15:                               ;   in Loop: Header=BB199_14 Depth=1
	v_ashrrev_i32_e32 v5, 31, v4
	s_delay_alu instid0(VALU_DEP_1) | instskip(NEXT) | instid1(VALU_DEP_1)
	v_lshlrev_b64 v[4:5], 2, v[4:5]
	v_add_co_u32 v4, vcc_lo, s4, v4
	s_delay_alu instid0(VALU_DEP_2) | instskip(SKIP_3) | instid1(VALU_DEP_1)
	v_add_co_ci_u32_e32 v5, vcc_lo, s5, v5, vcc_lo
	global_load_b32 v4, v[4:5], off
	s_waitcnt vmcnt(0)
	v_subrev_nc_u32_e32 v9, s10, v4
	v_mad_u64_u32 v[4:5], null, v9, 24, v[1:2]
	s_delay_alu instid0(VALU_DEP_1) | instskip(SKIP_1) | instid1(VALU_DEP_2)
	v_ashrrev_i32_e32 v5, 31, v4
	v_add_co_u32 v4, vcc_lo, s12, v4
	v_add_co_ci_u32_e32 v5, vcc_lo, s13, v5, vcc_lo
	global_load_i8 v9, v[2:3], off
	global_load_i8 v4, v[4:5], off
	v_add_co_u32 v2, vcc_lo, 0x240, v2
	v_add_co_ci_u32_e32 v3, vcc_lo, 0, v3, vcc_lo
	s_waitcnt vmcnt(0)
	v_mad_i32_i24 v6, v4, v9, v6
	s_branch .LBB199_13
.LBB199_16:
	s_set_inst_prefetch_distance 0x2
	v_lshlrev_b32_e32 v1, 2, v0
	s_and_b32 vcc_lo, exec_lo, s15
	ds_store_b32 v1, v6
	s_waitcnt lgkmcnt(0)
	s_barrier
	buffer_gl0_inv
	s_cbranch_vccz .LBB199_28
; %bb.17:
	v_cmp_gt_u16_e32 vcc_lo, 8, v7
	s_and_saveexec_b32 s0, vcc_lo
	s_cbranch_execz .LBB199_19
; %bb.18:
	ds_load_2addr_b32 v[2:3], v1 offset1:16
	s_waitcnt lgkmcnt(0)
	v_add_nc_u32_e32 v2, v2, v3
	ds_store_b32 v1, v2
.LBB199_19:
	s_or_b32 exec_lo, exec_lo, s0
	s_waitcnt lgkmcnt(0)
	s_barrier
	buffer_gl0_inv
	s_and_saveexec_b32 s0, vcc_lo
	s_cbranch_execz .LBB199_21
; %bb.20:
	ds_load_2addr_b32 v[2:3], v1 offset1:8
	s_waitcnt lgkmcnt(0)
	v_add_nc_u32_e32 v2, v2, v3
	ds_store_b32 v1, v2
.LBB199_21:
	s_or_b32 exec_lo, exec_lo, s0
	s_delay_alu instid0(SALU_CYCLE_1)
	s_mov_b32 s0, exec_lo
	s_waitcnt lgkmcnt(0)
	s_barrier
	buffer_gl0_inv
	v_cmpx_gt_u16_e32 4, v7
	s_cbranch_execz .LBB199_23
; %bb.22:
	ds_load_2addr_b32 v[2:3], v1 offset1:4
	s_waitcnt lgkmcnt(0)
	v_add_nc_u32_e32 v2, v2, v3
	ds_store_b32 v1, v2
.LBB199_23:
	s_or_b32 exec_lo, exec_lo, s0
	s_delay_alu instid0(SALU_CYCLE_1)
	s_mov_b32 s0, exec_lo
	s_waitcnt lgkmcnt(0)
	s_barrier
	buffer_gl0_inv
	v_cmpx_gt_u16_e32 2, v7
	s_cbranch_execz .LBB199_25
; %bb.24:
	ds_load_2addr_b32 v[2:3], v1 offset1:2
	s_waitcnt lgkmcnt(0)
	v_add_nc_u32_e32 v2, v2, v3
	ds_store_b32 v1, v2
.LBB199_25:
	s_or_b32 exec_lo, exec_lo, s0
	s_mov_b32 s1, 0
	s_mov_b32 s0, 0
	s_mov_b32 s3, exec_lo
	s_waitcnt lgkmcnt(0)
	s_barrier
	buffer_gl0_inv
                                        ; implicit-def: $vgpr2
                                        ; implicit-def: $vgpr3
	v_cmpx_gt_u32_e32 24, v0
	s_xor_b32 s3, exec_lo, s3
; %bb.26:
	v_mul_u32_u24_e32 v3, 24, v0
	s_mov_b32 s0, exec_lo
	s_delay_alu instid0(VALU_DEP_1)
	v_or_b32_e32 v2, 1, v3
	v_lshlrev_b32_e32 v3, 2, v3
; %bb.27:
	s_or_b32 exec_lo, exec_lo, s3
	s_delay_alu instid0(SALU_CYCLE_1)
	s_and_b32 vcc_lo, exec_lo, s1
	s_cbranch_vccnz .LBB199_29
	s_branch .LBB199_40
.LBB199_28:
	s_mov_b32 s0, 0
                                        ; implicit-def: $vgpr2
                                        ; implicit-def: $vgpr3
	s_cbranch_execz .LBB199_40
.LBB199_29:
	v_cmp_gt_u32_e32 vcc_lo, 0xc0, v0
	s_and_saveexec_b32 s1, vcc_lo
	s_cbranch_execz .LBB199_31
; %bb.30:
	ds_load_2addr_stride64_b32 v[2:3], v1 offset1:6
	s_waitcnt lgkmcnt(0)
	v_add_nc_u32_e32 v2, v2, v3
	ds_store_b32 v1, v2
.LBB199_31:
	s_or_b32 exec_lo, exec_lo, s1
	s_waitcnt lgkmcnt(0)
	s_barrier
	buffer_gl0_inv
	s_and_saveexec_b32 s1, vcc_lo
	s_cbranch_execz .LBB199_33
; %bb.32:
	ds_load_2addr_stride64_b32 v[2:3], v1 offset1:3
	s_waitcnt lgkmcnt(0)
	v_add_nc_u32_e32 v2, v2, v3
	ds_store_b32 v1, v2
.LBB199_33:
	s_or_b32 exec_lo, exec_lo, s1
	s_delay_alu instid0(SALU_CYCLE_1)
	s_mov_b32 s1, exec_lo
	s_waitcnt lgkmcnt(0)
	s_barrier
	buffer_gl0_inv
	v_cmpx_gt_u32_e32 0x60, v0
	s_cbranch_execz .LBB199_35
; %bb.34:
	ds_load_2addr_b32 v[2:3], v1 offset1:96
	s_waitcnt lgkmcnt(0)
	v_add_nc_u32_e32 v2, v2, v3
	ds_store_b32 v1, v2
.LBB199_35:
	s_or_b32 exec_lo, exec_lo, s1
	s_delay_alu instid0(SALU_CYCLE_1)
	s_mov_b32 s1, exec_lo
	s_waitcnt lgkmcnt(0)
	s_barrier
	buffer_gl0_inv
	v_cmpx_gt_u32_e32 48, v0
	s_cbranch_execz .LBB199_37
; %bb.36:
	ds_load_2addr_b32 v[2:3], v1 offset1:48
	s_waitcnt lgkmcnt(0)
	v_add_nc_u32_e32 v2, v2, v3
	ds_store_b32 v1, v2
.LBB199_37:
	s_or_b32 exec_lo, exec_lo, s1
	s_delay_alu instid0(SALU_CYCLE_1)
	s_mov_b32 s1, exec_lo
	s_waitcnt lgkmcnt(0)
	buffer_gl0_inv
                                        ; implicit-def: $vgpr2
	v_cmpx_gt_u32_e32 24, v0
; %bb.38:
	v_add_nc_u32_e32 v2, 24, v0
	s_or_b32 s0, s0, exec_lo
                                        ; implicit-def: $vgpr6
; %bb.39:
	s_or_b32 exec_lo, exec_lo, s1
	v_mov_b32_e32 v3, v1
.LBB199_40:
	s_and_saveexec_b32 s1, s0
	s_cbranch_execz .LBB199_42
; %bb.41:
	v_lshlrev_b32_e32 v1, 2, v2
	ds_load_b32 v2, v3
	ds_load_b32 v1, v1
	s_waitcnt lgkmcnt(0)
	v_add_nc_u32_e32 v6, v1, v2
.LBB199_42:
	s_or_b32 exec_lo, exec_lo, s1
	s_delay_alu instid0(SALU_CYCLE_1)
	s_mov_b32 s0, exec_lo
	v_cmpx_gt_u32_e32 24, v0
	s_cbranch_execz .LBB199_46
; %bb.43:
	v_mul_lo_u32 v1, v6, s11
	s_cmp_eq_u32 s14, 0
	s_mov_b32 s0, 0
	s_cbranch_scc1 .LBB199_47
; %bb.44:
	s_delay_alu instid0(VALU_DEP_1) | instskip(SKIP_1) | instid1(VALU_DEP_1)
	v_mad_u64_u32 v[2:3], null, s2, 24, v[0:1]
	v_mov_b32_e32 v3, 0
	v_lshlrev_b64 v[2:3], 2, v[2:3]
	s_delay_alu instid0(VALU_DEP_1) | instskip(NEXT) | instid1(VALU_DEP_2)
	v_add_co_u32 v2, vcc_lo, s8, v2
	v_add_co_ci_u32_e32 v3, vcc_lo, s9, v3, vcc_lo
	global_load_b32 v6, v[2:3], off
	s_waitcnt vmcnt(0)
	v_mad_u64_u32 v[4:5], null, v6, s14, v[1:2]
	global_store_b32 v[2:3], v4, off
	s_and_not1_b32 vcc_lo, exec_lo, s0
	s_cbranch_vccnz .LBB199_46
.LBB199_45:
	s_delay_alu instid0(VALU_DEP_1) | instskip(SKIP_1) | instid1(VALU_DEP_1)
	v_mad_u64_u32 v[2:3], null, s2, 24, v[0:1]
	v_mov_b32_e32 v3, 0
	v_lshlrev_b64 v[2:3], 2, v[2:3]
	s_delay_alu instid0(VALU_DEP_1) | instskip(NEXT) | instid1(VALU_DEP_2)
	v_add_co_u32 v2, vcc_lo, s8, v2
	v_add_co_ci_u32_e32 v3, vcc_lo, s9, v3, vcc_lo
	global_store_b32 v[2:3], v1, off
.LBB199_46:
	s_nop 0
	s_sendmsg sendmsg(MSG_DEALLOC_VGPRS)
	s_endpgm
.LBB199_47:
	s_branch .LBB199_45
	.section	.rodata,"a",@progbits
	.p2align	6, 0x0
	.amdhsa_kernel _ZN9rocsparseL20bsrxmvn_17_32_kernelILj24EiiiaaiEEvT2_20rocsparse_direction_NS_24const_host_device_scalarIT0_EES1_PKS1_PKT1_SA_S7_PKT3_PKT4_S5_PT5_21rocsparse_index_base_b
		.amdhsa_group_segment_fixed_size 2304
		.amdhsa_private_segment_fixed_size 0
		.amdhsa_kernarg_size 96
		.amdhsa_user_sgpr_count 15
		.amdhsa_user_sgpr_dispatch_ptr 0
		.amdhsa_user_sgpr_queue_ptr 0
		.amdhsa_user_sgpr_kernarg_segment_ptr 1
		.amdhsa_user_sgpr_dispatch_id 0
		.amdhsa_user_sgpr_private_segment_size 0
		.amdhsa_wavefront_size32 1
		.amdhsa_uses_dynamic_stack 0
		.amdhsa_enable_private_segment 0
		.amdhsa_system_sgpr_workgroup_id_x 1
		.amdhsa_system_sgpr_workgroup_id_y 0
		.amdhsa_system_sgpr_workgroup_id_z 0
		.amdhsa_system_sgpr_workgroup_info 0
		.amdhsa_system_vgpr_workitem_id 0
		.amdhsa_next_free_vgpr 10
		.amdhsa_next_free_sgpr 17
		.amdhsa_reserve_vcc 1
		.amdhsa_float_round_mode_32 0
		.amdhsa_float_round_mode_16_64 0
		.amdhsa_float_denorm_mode_32 3
		.amdhsa_float_denorm_mode_16_64 3
		.amdhsa_dx10_clamp 1
		.amdhsa_ieee_mode 1
		.amdhsa_fp16_overflow 0
		.amdhsa_workgroup_processor_mode 1
		.amdhsa_memory_ordered 1
		.amdhsa_forward_progress 0
		.amdhsa_shared_vgpr_count 0
		.amdhsa_exception_fp_ieee_invalid_op 0
		.amdhsa_exception_fp_denorm_src 0
		.amdhsa_exception_fp_ieee_div_zero 0
		.amdhsa_exception_fp_ieee_overflow 0
		.amdhsa_exception_fp_ieee_underflow 0
		.amdhsa_exception_fp_ieee_inexact 0
		.amdhsa_exception_int_div_zero 0
	.end_amdhsa_kernel
	.section	.text._ZN9rocsparseL20bsrxmvn_17_32_kernelILj24EiiiaaiEEvT2_20rocsparse_direction_NS_24const_host_device_scalarIT0_EES1_PKS1_PKT1_SA_S7_PKT3_PKT4_S5_PT5_21rocsparse_index_base_b,"axG",@progbits,_ZN9rocsparseL20bsrxmvn_17_32_kernelILj24EiiiaaiEEvT2_20rocsparse_direction_NS_24const_host_device_scalarIT0_EES1_PKS1_PKT1_SA_S7_PKT3_PKT4_S5_PT5_21rocsparse_index_base_b,comdat
.Lfunc_end199:
	.size	_ZN9rocsparseL20bsrxmvn_17_32_kernelILj24EiiiaaiEEvT2_20rocsparse_direction_NS_24const_host_device_scalarIT0_EES1_PKS1_PKT1_SA_S7_PKT3_PKT4_S5_PT5_21rocsparse_index_base_b, .Lfunc_end199-_ZN9rocsparseL20bsrxmvn_17_32_kernelILj24EiiiaaiEEvT2_20rocsparse_direction_NS_24const_host_device_scalarIT0_EES1_PKS1_PKT1_SA_S7_PKT3_PKT4_S5_PT5_21rocsparse_index_base_b
                                        ; -- End function
	.section	.AMDGPU.csdata,"",@progbits
; Kernel info:
; codeLenInByte = 1536
; NumSgprs: 19
; NumVgprs: 10
; ScratchSize: 0
; MemoryBound: 0
; FloatMode: 240
; IeeeMode: 1
; LDSByteSize: 2304 bytes/workgroup (compile time only)
; SGPRBlocks: 2
; VGPRBlocks: 1
; NumSGPRsForWavesPerEU: 19
; NumVGPRsForWavesPerEU: 10
; Occupancy: 14
; WaveLimiterHint : 1
; COMPUTE_PGM_RSRC2:SCRATCH_EN: 0
; COMPUTE_PGM_RSRC2:USER_SGPR: 15
; COMPUTE_PGM_RSRC2:TRAP_HANDLER: 0
; COMPUTE_PGM_RSRC2:TGID_X_EN: 1
; COMPUTE_PGM_RSRC2:TGID_Y_EN: 0
; COMPUTE_PGM_RSRC2:TGID_Z_EN: 0
; COMPUTE_PGM_RSRC2:TIDIG_COMP_CNT: 0
	.section	.text._ZN9rocsparseL20bsrxmvn_17_32_kernelILj25EiiiaaiEEvT2_20rocsparse_direction_NS_24const_host_device_scalarIT0_EES1_PKS1_PKT1_SA_S7_PKT3_PKT4_S5_PT5_21rocsparse_index_base_b,"axG",@progbits,_ZN9rocsparseL20bsrxmvn_17_32_kernelILj25EiiiaaiEEvT2_20rocsparse_direction_NS_24const_host_device_scalarIT0_EES1_PKS1_PKT1_SA_S7_PKT3_PKT4_S5_PT5_21rocsparse_index_base_b,comdat
	.globl	_ZN9rocsparseL20bsrxmvn_17_32_kernelILj25EiiiaaiEEvT2_20rocsparse_direction_NS_24const_host_device_scalarIT0_EES1_PKS1_PKT1_SA_S7_PKT3_PKT4_S5_PT5_21rocsparse_index_base_b ; -- Begin function _ZN9rocsparseL20bsrxmvn_17_32_kernelILj25EiiiaaiEEvT2_20rocsparse_direction_NS_24const_host_device_scalarIT0_EES1_PKS1_PKT1_SA_S7_PKT3_PKT4_S5_PT5_21rocsparse_index_base_b
	.p2align	8
	.type	_ZN9rocsparseL20bsrxmvn_17_32_kernelILj25EiiiaaiEEvT2_20rocsparse_direction_NS_24const_host_device_scalarIT0_EES1_PKS1_PKT1_SA_S7_PKT3_PKT4_S5_PT5_21rocsparse_index_base_b,@function
_ZN9rocsparseL20bsrxmvn_17_32_kernelILj25EiiiaaiEEvT2_20rocsparse_direction_NS_24const_host_device_scalarIT0_EES1_PKS1_PKT1_SA_S7_PKT3_PKT4_S5_PT5_21rocsparse_index_base_b: ; @_ZN9rocsparseL20bsrxmvn_17_32_kernelILj25EiiiaaiEEvT2_20rocsparse_direction_NS_24const_host_device_scalarIT0_EES1_PKS1_PKT1_SA_S7_PKT3_PKT4_S5_PT5_21rocsparse_index_base_b
; %bb.0:
	s_clause 0x1
	s_load_b64 s[10:11], s[0:1], 0x58
	s_load_b64 s[6:7], s[0:1], 0x8
	s_mov_b32 s2, s15
	s_mov_b32 s8, -1
	s_waitcnt lgkmcnt(0)
	s_bitcmp1_b32 s11, 0
                                        ; implicit-def: $sgpr11
	s_cselect_b32 s3, -1, 0
	s_delay_alu instid0(SALU_CYCLE_1) | instskip(NEXT) | instid1(SALU_CYCLE_1)
	s_xor_b32 s3, s3, -1
	s_and_b32 vcc_lo, exec_lo, s3
	s_cbranch_vccnz .LBB200_4
; %bb.1:
	s_load_b64 s[4:5], s[0:1], 0x48
	s_and_not1_b32 vcc_lo, exec_lo, s8
	s_cbranch_vccz .LBB200_5
.LBB200_2:
	s_and_b32 vcc_lo, exec_lo, s3
	s_cbranch_vccz .LBB200_6
.LBB200_3:
	s_waitcnt lgkmcnt(0)
	s_load_b32 s14, s[4:5], 0x0
	s_cbranch_execz .LBB200_7
	s_branch .LBB200_8
.LBB200_4:
	s_load_b32 s11, s[6:7], 0x0
	s_load_b64 s[4:5], s[0:1], 0x48
	s_cbranch_execnz .LBB200_2
.LBB200_5:
	s_waitcnt lgkmcnt(0)
	s_mov_b32 s11, s6
	s_and_b32 vcc_lo, exec_lo, s3
	s_cbranch_vccnz .LBB200_3
.LBB200_6:
                                        ; implicit-def: $sgpr14
.LBB200_7:
	s_waitcnt lgkmcnt(0)
	s_mov_b32 s14, s4
.LBB200_8:
	s_waitcnt lgkmcnt(0)
	s_cmp_lg_u32 s11, 0
	s_cselect_b32 s3, -1, 0
	s_cmp_lg_u32 s14, 1
	s_cselect_b32 s4, -1, 0
	s_delay_alu instid0(SALU_CYCLE_1) | instskip(NEXT) | instid1(SALU_CYCLE_1)
	s_or_b32 s3, s3, s4
	s_and_not1_b32 vcc_lo, exec_lo, s3
	s_cbranch_vccnz .LBB200_46
; %bb.9:
	s_clause 0x1
	s_load_b128 s[4:7], s[0:1], 0x18
	s_load_b64 s[8:9], s[0:1], 0x28
	s_waitcnt lgkmcnt(0)
	s_cmp_eq_u64 s[4:5], 0
	s_cbranch_scc1 .LBB200_11
; %bb.10:
	s_ashr_i32 s3, s2, 31
	s_delay_alu instid0(SALU_CYCLE_1) | instskip(NEXT) | instid1(SALU_CYCLE_1)
	s_lshl_b64 s[2:3], s[2:3], 2
	s_add_u32 s2, s4, s2
	s_addc_u32 s3, s5, s3
	s_load_b32 s2, s[2:3], 0x0
	s_waitcnt lgkmcnt(0)
	s_sub_i32 s2, s2, s10
.LBB200_11:
	s_load_b32 s3, s[0:1], 0x4
	v_mul_u32_u24_e32 v1, 0xa3e, v0
	v_mov_b32_e32 v6, 0
	s_delay_alu instid0(VALU_DEP_2) | instskip(NEXT) | instid1(VALU_DEP_1)
	v_lshrrev_b32_e32 v1, 16, v1
	v_mul_lo_u16 v2, v1, 25
	s_delay_alu instid0(VALU_DEP_1)
	v_sub_nc_u16 v7, v0, v2
	s_waitcnt lgkmcnt(0)
	s_cmp_eq_u32 s3, 1
	s_cselect_b32 vcc_lo, -1, 0
	s_cmp_lg_u32 s3, 1
	s_cselect_b32 s15, -1, 0
	s_ashr_i32 s3, s2, 31
	s_delay_alu instid0(SALU_CYCLE_1) | instskip(NEXT) | instid1(SALU_CYCLE_1)
	s_lshl_b64 s[4:5], s[2:3], 2
	s_add_u32 s6, s6, s4
	s_addc_u32 s7, s7, s5
	s_add_u32 s3, s6, 4
	s_addc_u32 s12, s7, 0
	;; [unrolled: 2-line block ×3, first 2 shown]
	s_cmp_eq_u64 s[8:9], 0
	s_load_b64 s[8:9], s[0:1], 0x50
	s_cselect_b32 s5, s12, s5
	s_cselect_b32 s4, s3, s4
	s_load_b32 s3, s[6:7], 0x0
	s_load_b32 s16, s[4:5], 0x0
	s_waitcnt lgkmcnt(0)
	s_cmp_ge_i32 s3, s16
	s_cbranch_scc1 .LBB200_16
; %bb.12:
	s_clause 0x1
	s_load_b128 s[4:7], s[0:1], 0x30
	s_load_b64 s[12:13], s[0:1], 0x40
	v_dual_mov_b32 v6, 0 :: v_dual_and_b32 v1, 0xffff, v1
	v_cmp_gt_u32_e64 s0, 0x271, v0
	v_and_b32_e32 v3, 0xffff, v7
	s_sub_i32 s1, s16, s10
	s_delay_alu instid0(VALU_DEP_3) | instskip(NEXT) | instid1(VALU_DEP_1)
	v_subrev_nc_u32_e32 v2, 25, v1
	v_cndmask_b32_e64 v1, v2, v1, s0
	s_sub_i32 s0, s3, s10
	s_delay_alu instid0(SALU_CYCLE_1) | instskip(SKIP_1) | instid1(VALU_DEP_1)
	s_mul_i32 s16, s0, 0x271
	s_mul_hi_i32 s3, s0, 0x271
	v_cndmask_b32_e32 v1, v3, v1, vcc_lo
	v_cmp_lt_u32_e32 vcc_lo, 0x270, v0
	s_waitcnt lgkmcnt(0)
	s_add_u32 s6, s6, s16
	s_addc_u32 s3, s7, s3
	v_add_co_u32 v2, s6, s6, v0
	s_delay_alu instid0(VALU_DEP_1)
	v_add_co_ci_u32_e64 v3, null, s3, 0, s6
	v_cndmask_b32_e64 v8, 0, 1, vcc_lo
	s_set_inst_prefetch_distance 0x1
	s_branch .LBB200_14
	.p2align	6
.LBB200_13:                             ;   in Loop: Header=BB200_14 Depth=1
	s_or_b32 exec_lo, exec_lo, s3
	s_add_i32 s0, s0, 1
	s_delay_alu instid0(SALU_CYCLE_1)
	s_cmp_lt_i32 s0, s1
	s_cbranch_scc0 .LBB200_16
.LBB200_14:                             ; =>This Inner Loop Header: Depth=1
	s_delay_alu instid0(VALU_DEP_1) | instskip(SKIP_1) | instid1(VALU_DEP_1)
	v_add_nc_u32_e32 v4, s0, v8
	s_mov_b32 s3, exec_lo
	v_cmpx_gt_i32_e64 s1, v4
	s_cbranch_execz .LBB200_13
; %bb.15:                               ;   in Loop: Header=BB200_14 Depth=1
	v_ashrrev_i32_e32 v5, 31, v4
	s_delay_alu instid0(VALU_DEP_1) | instskip(NEXT) | instid1(VALU_DEP_1)
	v_lshlrev_b64 v[4:5], 2, v[4:5]
	v_add_co_u32 v4, vcc_lo, s4, v4
	s_delay_alu instid0(VALU_DEP_2) | instskip(SKIP_3) | instid1(VALU_DEP_1)
	v_add_co_ci_u32_e32 v5, vcc_lo, s5, v5, vcc_lo
	global_load_b32 v4, v[4:5], off
	s_waitcnt vmcnt(0)
	v_subrev_nc_u32_e32 v9, s10, v4
	v_mad_u64_u32 v[4:5], null, v9, 25, v[1:2]
	s_delay_alu instid0(VALU_DEP_1) | instskip(SKIP_1) | instid1(VALU_DEP_2)
	v_ashrrev_i32_e32 v5, 31, v4
	v_add_co_u32 v4, vcc_lo, s12, v4
	v_add_co_ci_u32_e32 v5, vcc_lo, s13, v5, vcc_lo
	global_load_i8 v9, v[2:3], off
	global_load_i8 v4, v[4:5], off
	v_add_co_u32 v2, vcc_lo, 0x271, v2
	v_add_co_ci_u32_e32 v3, vcc_lo, 0, v3, vcc_lo
	s_waitcnt vmcnt(0)
	v_mad_i32_i24 v6, v4, v9, v6
	s_branch .LBB200_13
.LBB200_16:
	s_set_inst_prefetch_distance 0x2
	v_lshlrev_b32_e32 v1, 2, v0
	s_and_b32 vcc_lo, exec_lo, s15
	ds_store_b32 v1, v6
	s_waitcnt lgkmcnt(0)
	s_barrier
	buffer_gl0_inv
	s_cbranch_vccz .LBB200_28
; %bb.17:
	s_mov_b32 s0, exec_lo
	v_cmpx_gt_u16_e32 9, v7
	s_cbranch_execz .LBB200_19
; %bb.18:
	ds_load_2addr_b32 v[2:3], v1 offset1:16
	s_waitcnt lgkmcnt(0)
	v_add_nc_u32_e32 v2, v2, v3
	ds_store_b32 v1, v2
.LBB200_19:
	s_or_b32 exec_lo, exec_lo, s0
	s_delay_alu instid0(SALU_CYCLE_1)
	s_mov_b32 s0, exec_lo
	s_waitcnt lgkmcnt(0)
	s_barrier
	buffer_gl0_inv
	v_cmpx_gt_u16_e32 8, v7
	s_cbranch_execz .LBB200_21
; %bb.20:
	ds_load_2addr_b32 v[2:3], v1 offset1:8
	s_waitcnt lgkmcnt(0)
	v_add_nc_u32_e32 v2, v2, v3
	ds_store_b32 v1, v2
.LBB200_21:
	s_or_b32 exec_lo, exec_lo, s0
	s_delay_alu instid0(SALU_CYCLE_1)
	s_mov_b32 s0, exec_lo
	s_waitcnt lgkmcnt(0)
	s_barrier
	buffer_gl0_inv
	;; [unrolled: 14-line block ×3, first 2 shown]
	v_cmpx_gt_u16_e32 2, v7
	s_cbranch_execz .LBB200_25
; %bb.24:
	ds_load_2addr_b32 v[2:3], v1 offset1:2
	s_waitcnt lgkmcnt(0)
	v_add_nc_u32_e32 v2, v2, v3
	ds_store_b32 v1, v2
.LBB200_25:
	s_or_b32 exec_lo, exec_lo, s0
	s_mov_b32 s1, 0
	s_mov_b32 s0, 0
	s_mov_b32 s3, exec_lo
	s_waitcnt lgkmcnt(0)
	s_barrier
	buffer_gl0_inv
                                        ; implicit-def: $vgpr2
                                        ; implicit-def: $vgpr3
	v_cmpx_gt_u32_e32 25, v0
	s_xor_b32 s3, exec_lo, s3
; %bb.26:
	v_mul_u32_u24_e32 v3, 25, v0
	v_mad_u32_u24 v2, v0, 25, 1
	s_mov_b32 s0, exec_lo
	s_delay_alu instid0(VALU_DEP_2)
	v_lshlrev_b32_e32 v3, 2, v3
; %bb.27:
	s_or_b32 exec_lo, exec_lo, s3
	s_delay_alu instid0(SALU_CYCLE_1)
	s_and_b32 vcc_lo, exec_lo, s1
	s_cbranch_vccnz .LBB200_29
	s_branch .LBB200_40
.LBB200_28:
	s_mov_b32 s0, 0
                                        ; implicit-def: $vgpr2
                                        ; implicit-def: $vgpr3
	s_cbranch_execz .LBB200_40
.LBB200_29:
	s_mov_b32 s1, exec_lo
	v_cmpx_gt_u32_e32 0xe1, v0
	s_cbranch_execz .LBB200_31
; %bb.30:
	ds_load_b32 v2, v1 offset:1600
	ds_load_b32 v3, v1
	s_waitcnt lgkmcnt(0)
	v_add_nc_u32_e32 v2, v3, v2
	ds_store_b32 v1, v2
.LBB200_31:
	s_or_b32 exec_lo, exec_lo, s1
	s_delay_alu instid0(SALU_CYCLE_1)
	s_mov_b32 s1, exec_lo
	s_waitcnt lgkmcnt(0)
	s_barrier
	buffer_gl0_inv
	v_cmpx_gt_u32_e32 0xc8, v0
	s_cbranch_execz .LBB200_33
; %bb.32:
	ds_load_2addr_b32 v[2:3], v1 offset1:200
	s_waitcnt lgkmcnt(0)
	v_add_nc_u32_e32 v2, v2, v3
	ds_store_b32 v1, v2
.LBB200_33:
	s_or_b32 exec_lo, exec_lo, s1
	s_delay_alu instid0(SALU_CYCLE_1)
	s_mov_b32 s1, exec_lo
	s_waitcnt lgkmcnt(0)
	s_barrier
	buffer_gl0_inv
	v_cmpx_gt_u32_e32 0x64, v0
	s_cbranch_execz .LBB200_35
; %bb.34:
	ds_load_2addr_b32 v[2:3], v1 offset1:100
	s_waitcnt lgkmcnt(0)
	v_add_nc_u32_e32 v2, v2, v3
	ds_store_b32 v1, v2
.LBB200_35:
	s_or_b32 exec_lo, exec_lo, s1
	s_delay_alu instid0(SALU_CYCLE_1)
	s_mov_b32 s1, exec_lo
	s_waitcnt lgkmcnt(0)
	s_barrier
	buffer_gl0_inv
	v_cmpx_gt_u32_e32 50, v0
	s_cbranch_execz .LBB200_37
; %bb.36:
	ds_load_2addr_b32 v[2:3], v1 offset1:50
	s_waitcnt lgkmcnt(0)
	v_add_nc_u32_e32 v2, v2, v3
	ds_store_b32 v1, v2
.LBB200_37:
	s_or_b32 exec_lo, exec_lo, s1
	s_delay_alu instid0(SALU_CYCLE_1)
	s_mov_b32 s1, exec_lo
	s_waitcnt lgkmcnt(0)
	buffer_gl0_inv
                                        ; implicit-def: $vgpr2
	v_cmpx_gt_u32_e32 25, v0
; %bb.38:
	v_add_nc_u32_e32 v2, 25, v0
	s_or_b32 s0, s0, exec_lo
                                        ; implicit-def: $vgpr6
; %bb.39:
	s_or_b32 exec_lo, exec_lo, s1
	v_mov_b32_e32 v3, v1
.LBB200_40:
	s_and_saveexec_b32 s1, s0
	s_cbranch_execz .LBB200_42
; %bb.41:
	v_lshlrev_b32_e32 v1, 2, v2
	ds_load_b32 v2, v3
	ds_load_b32 v1, v1
	s_waitcnt lgkmcnt(0)
	v_add_nc_u32_e32 v6, v1, v2
.LBB200_42:
	s_or_b32 exec_lo, exec_lo, s1
	s_delay_alu instid0(SALU_CYCLE_1)
	s_mov_b32 s0, exec_lo
	v_cmpx_gt_u32_e32 25, v0
	s_cbranch_execz .LBB200_46
; %bb.43:
	v_mul_lo_u32 v1, v6, s11
	s_cmp_eq_u32 s14, 0
	s_mov_b32 s0, 0
	s_cbranch_scc1 .LBB200_47
; %bb.44:
	s_delay_alu instid0(VALU_DEP_1) | instskip(SKIP_1) | instid1(VALU_DEP_1)
	v_mad_u64_u32 v[2:3], null, s2, 25, v[0:1]
	v_mov_b32_e32 v3, 0
	v_lshlrev_b64 v[2:3], 2, v[2:3]
	s_delay_alu instid0(VALU_DEP_1) | instskip(NEXT) | instid1(VALU_DEP_2)
	v_add_co_u32 v2, vcc_lo, s8, v2
	v_add_co_ci_u32_e32 v3, vcc_lo, s9, v3, vcc_lo
	global_load_b32 v6, v[2:3], off
	s_waitcnt vmcnt(0)
	v_mad_u64_u32 v[4:5], null, v6, s14, v[1:2]
	global_store_b32 v[2:3], v4, off
	s_and_not1_b32 vcc_lo, exec_lo, s0
	s_cbranch_vccnz .LBB200_46
.LBB200_45:
	s_delay_alu instid0(VALU_DEP_1) | instskip(SKIP_1) | instid1(VALU_DEP_1)
	v_mad_u64_u32 v[2:3], null, s2, 25, v[0:1]
	v_mov_b32_e32 v3, 0
	v_lshlrev_b64 v[2:3], 2, v[2:3]
	s_delay_alu instid0(VALU_DEP_1) | instskip(NEXT) | instid1(VALU_DEP_2)
	v_add_co_u32 v2, vcc_lo, s8, v2
	v_add_co_ci_u32_e32 v3, vcc_lo, s9, v3, vcc_lo
	global_store_b32 v[2:3], v1, off
.LBB200_46:
	s_nop 0
	s_sendmsg sendmsg(MSG_DEALLOC_VGPRS)
	s_endpgm
.LBB200_47:
	s_branch .LBB200_45
	.section	.rodata,"a",@progbits
	.p2align	6, 0x0
	.amdhsa_kernel _ZN9rocsparseL20bsrxmvn_17_32_kernelILj25EiiiaaiEEvT2_20rocsparse_direction_NS_24const_host_device_scalarIT0_EES1_PKS1_PKT1_SA_S7_PKT3_PKT4_S5_PT5_21rocsparse_index_base_b
		.amdhsa_group_segment_fixed_size 2500
		.amdhsa_private_segment_fixed_size 0
		.amdhsa_kernarg_size 96
		.amdhsa_user_sgpr_count 15
		.amdhsa_user_sgpr_dispatch_ptr 0
		.amdhsa_user_sgpr_queue_ptr 0
		.amdhsa_user_sgpr_kernarg_segment_ptr 1
		.amdhsa_user_sgpr_dispatch_id 0
		.amdhsa_user_sgpr_private_segment_size 0
		.amdhsa_wavefront_size32 1
		.amdhsa_uses_dynamic_stack 0
		.amdhsa_enable_private_segment 0
		.amdhsa_system_sgpr_workgroup_id_x 1
		.amdhsa_system_sgpr_workgroup_id_y 0
		.amdhsa_system_sgpr_workgroup_id_z 0
		.amdhsa_system_sgpr_workgroup_info 0
		.amdhsa_system_vgpr_workitem_id 0
		.amdhsa_next_free_vgpr 10
		.amdhsa_next_free_sgpr 17
		.amdhsa_reserve_vcc 1
		.amdhsa_float_round_mode_32 0
		.amdhsa_float_round_mode_16_64 0
		.amdhsa_float_denorm_mode_32 3
		.amdhsa_float_denorm_mode_16_64 3
		.amdhsa_dx10_clamp 1
		.amdhsa_ieee_mode 1
		.amdhsa_fp16_overflow 0
		.amdhsa_workgroup_processor_mode 1
		.amdhsa_memory_ordered 1
		.amdhsa_forward_progress 0
		.amdhsa_shared_vgpr_count 0
		.amdhsa_exception_fp_ieee_invalid_op 0
		.amdhsa_exception_fp_denorm_src 0
		.amdhsa_exception_fp_ieee_div_zero 0
		.amdhsa_exception_fp_ieee_overflow 0
		.amdhsa_exception_fp_ieee_underflow 0
		.amdhsa_exception_fp_ieee_inexact 0
		.amdhsa_exception_int_div_zero 0
	.end_amdhsa_kernel
	.section	.text._ZN9rocsparseL20bsrxmvn_17_32_kernelILj25EiiiaaiEEvT2_20rocsparse_direction_NS_24const_host_device_scalarIT0_EES1_PKS1_PKT1_SA_S7_PKT3_PKT4_S5_PT5_21rocsparse_index_base_b,"axG",@progbits,_ZN9rocsparseL20bsrxmvn_17_32_kernelILj25EiiiaaiEEvT2_20rocsparse_direction_NS_24const_host_device_scalarIT0_EES1_PKS1_PKT1_SA_S7_PKT3_PKT4_S5_PT5_21rocsparse_index_base_b,comdat
.Lfunc_end200:
	.size	_ZN9rocsparseL20bsrxmvn_17_32_kernelILj25EiiiaaiEEvT2_20rocsparse_direction_NS_24const_host_device_scalarIT0_EES1_PKS1_PKT1_SA_S7_PKT3_PKT4_S5_PT5_21rocsparse_index_base_b, .Lfunc_end200-_ZN9rocsparseL20bsrxmvn_17_32_kernelILj25EiiiaaiEEvT2_20rocsparse_direction_NS_24const_host_device_scalarIT0_EES1_PKS1_PKT1_SA_S7_PKT3_PKT4_S5_PT5_21rocsparse_index_base_b
                                        ; -- End function
	.section	.AMDGPU.csdata,"",@progbits
; Kernel info:
; codeLenInByte = 1568
; NumSgprs: 19
; NumVgprs: 10
; ScratchSize: 0
; MemoryBound: 0
; FloatMode: 240
; IeeeMode: 1
; LDSByteSize: 2500 bytes/workgroup (compile time only)
; SGPRBlocks: 2
; VGPRBlocks: 1
; NumSGPRsForWavesPerEU: 19
; NumVGPRsForWavesPerEU: 10
; Occupancy: 15
; WaveLimiterHint : 1
; COMPUTE_PGM_RSRC2:SCRATCH_EN: 0
; COMPUTE_PGM_RSRC2:USER_SGPR: 15
; COMPUTE_PGM_RSRC2:TRAP_HANDLER: 0
; COMPUTE_PGM_RSRC2:TGID_X_EN: 1
; COMPUTE_PGM_RSRC2:TGID_Y_EN: 0
; COMPUTE_PGM_RSRC2:TGID_Z_EN: 0
; COMPUTE_PGM_RSRC2:TIDIG_COMP_CNT: 0
	.section	.text._ZN9rocsparseL20bsrxmvn_17_32_kernelILj26EiiiaaiEEvT2_20rocsparse_direction_NS_24const_host_device_scalarIT0_EES1_PKS1_PKT1_SA_S7_PKT3_PKT4_S5_PT5_21rocsparse_index_base_b,"axG",@progbits,_ZN9rocsparseL20bsrxmvn_17_32_kernelILj26EiiiaaiEEvT2_20rocsparse_direction_NS_24const_host_device_scalarIT0_EES1_PKS1_PKT1_SA_S7_PKT3_PKT4_S5_PT5_21rocsparse_index_base_b,comdat
	.globl	_ZN9rocsparseL20bsrxmvn_17_32_kernelILj26EiiiaaiEEvT2_20rocsparse_direction_NS_24const_host_device_scalarIT0_EES1_PKS1_PKT1_SA_S7_PKT3_PKT4_S5_PT5_21rocsparse_index_base_b ; -- Begin function _ZN9rocsparseL20bsrxmvn_17_32_kernelILj26EiiiaaiEEvT2_20rocsparse_direction_NS_24const_host_device_scalarIT0_EES1_PKS1_PKT1_SA_S7_PKT3_PKT4_S5_PT5_21rocsparse_index_base_b
	.p2align	8
	.type	_ZN9rocsparseL20bsrxmvn_17_32_kernelILj26EiiiaaiEEvT2_20rocsparse_direction_NS_24const_host_device_scalarIT0_EES1_PKS1_PKT1_SA_S7_PKT3_PKT4_S5_PT5_21rocsparse_index_base_b,@function
_ZN9rocsparseL20bsrxmvn_17_32_kernelILj26EiiiaaiEEvT2_20rocsparse_direction_NS_24const_host_device_scalarIT0_EES1_PKS1_PKT1_SA_S7_PKT3_PKT4_S5_PT5_21rocsparse_index_base_b: ; @_ZN9rocsparseL20bsrxmvn_17_32_kernelILj26EiiiaaiEEvT2_20rocsparse_direction_NS_24const_host_device_scalarIT0_EES1_PKS1_PKT1_SA_S7_PKT3_PKT4_S5_PT5_21rocsparse_index_base_b
; %bb.0:
	s_clause 0x1
	s_load_b64 s[10:11], s[0:1], 0x58
	s_load_b64 s[6:7], s[0:1], 0x8
	s_mov_b32 s2, s15
	s_mov_b32 s8, -1
	s_waitcnt lgkmcnt(0)
	s_bitcmp1_b32 s11, 0
                                        ; implicit-def: $sgpr11
	s_cselect_b32 s3, -1, 0
	s_delay_alu instid0(SALU_CYCLE_1) | instskip(NEXT) | instid1(SALU_CYCLE_1)
	s_xor_b32 s3, s3, -1
	s_and_b32 vcc_lo, exec_lo, s3
	s_cbranch_vccnz .LBB201_4
; %bb.1:
	s_load_b64 s[4:5], s[0:1], 0x48
	s_and_not1_b32 vcc_lo, exec_lo, s8
	s_cbranch_vccz .LBB201_5
.LBB201_2:
	s_and_b32 vcc_lo, exec_lo, s3
	s_cbranch_vccz .LBB201_6
.LBB201_3:
	s_waitcnt lgkmcnt(0)
	s_load_b32 s14, s[4:5], 0x0
	s_cbranch_execz .LBB201_7
	s_branch .LBB201_8
.LBB201_4:
	s_load_b32 s11, s[6:7], 0x0
	s_load_b64 s[4:5], s[0:1], 0x48
	s_cbranch_execnz .LBB201_2
.LBB201_5:
	s_waitcnt lgkmcnt(0)
	s_mov_b32 s11, s6
	s_and_b32 vcc_lo, exec_lo, s3
	s_cbranch_vccnz .LBB201_3
.LBB201_6:
                                        ; implicit-def: $sgpr14
.LBB201_7:
	s_waitcnt lgkmcnt(0)
	s_mov_b32 s14, s4
.LBB201_8:
	s_waitcnt lgkmcnt(0)
	s_cmp_lg_u32 s11, 0
	s_cselect_b32 s3, -1, 0
	s_cmp_lg_u32 s14, 1
	s_cselect_b32 s4, -1, 0
	s_delay_alu instid0(SALU_CYCLE_1) | instskip(NEXT) | instid1(SALU_CYCLE_1)
	s_or_b32 s3, s3, s4
	s_and_not1_b32 vcc_lo, exec_lo, s3
	s_cbranch_vccnz .LBB201_46
; %bb.9:
	s_clause 0x1
	s_load_b128 s[4:7], s[0:1], 0x18
	s_load_b64 s[8:9], s[0:1], 0x28
	s_waitcnt lgkmcnt(0)
	s_cmp_eq_u64 s[4:5], 0
	s_cbranch_scc1 .LBB201_11
; %bb.10:
	s_ashr_i32 s3, s2, 31
	s_delay_alu instid0(SALU_CYCLE_1) | instskip(NEXT) | instid1(SALU_CYCLE_1)
	s_lshl_b64 s[2:3], s[2:3], 2
	s_add_u32 s2, s4, s2
	s_addc_u32 s3, s5, s3
	s_load_b32 s2, s[2:3], 0x0
	s_waitcnt lgkmcnt(0)
	s_sub_i32 s2, s2, s10
.LBB201_11:
	s_load_b32 s3, s[0:1], 0x4
	v_mul_u32_u24_e32 v1, 0x9d9, v0
	v_mov_b32_e32 v6, 0
	s_delay_alu instid0(VALU_DEP_2) | instskip(NEXT) | instid1(VALU_DEP_1)
	v_lshrrev_b32_e32 v1, 16, v1
	v_mul_lo_u16 v2, v1, 26
	s_delay_alu instid0(VALU_DEP_1)
	v_sub_nc_u16 v7, v0, v2
	s_waitcnt lgkmcnt(0)
	s_cmp_eq_u32 s3, 1
	s_cselect_b32 vcc_lo, -1, 0
	s_cmp_lg_u32 s3, 1
	s_cselect_b32 s15, -1, 0
	s_ashr_i32 s3, s2, 31
	s_delay_alu instid0(SALU_CYCLE_1) | instskip(NEXT) | instid1(SALU_CYCLE_1)
	s_lshl_b64 s[4:5], s[2:3], 2
	s_add_u32 s6, s6, s4
	s_addc_u32 s7, s7, s5
	s_add_u32 s3, s6, 4
	s_addc_u32 s12, s7, 0
	;; [unrolled: 2-line block ×3, first 2 shown]
	s_cmp_eq_u64 s[8:9], 0
	s_load_b64 s[8:9], s[0:1], 0x50
	s_cselect_b32 s5, s12, s5
	s_cselect_b32 s4, s3, s4
	s_load_b32 s3, s[6:7], 0x0
	s_load_b32 s16, s[4:5], 0x0
	s_waitcnt lgkmcnt(0)
	s_cmp_ge_i32 s3, s16
	s_cbranch_scc1 .LBB201_16
; %bb.12:
	s_clause 0x1
	s_load_b128 s[4:7], s[0:1], 0x30
	s_load_b64 s[12:13], s[0:1], 0x40
	v_dual_mov_b32 v6, 0 :: v_dual_and_b32 v1, 0xffff, v1
	v_cmp_gt_u32_e64 s0, 0x2a4, v0
	v_and_b32_e32 v3, 0xffff, v7
	s_sub_i32 s1, s16, s10
	s_delay_alu instid0(VALU_DEP_3) | instskip(NEXT) | instid1(VALU_DEP_1)
	v_subrev_nc_u32_e32 v2, 26, v1
	v_cndmask_b32_e64 v1, v2, v1, s0
	s_sub_i32 s0, s3, s10
	s_delay_alu instid0(SALU_CYCLE_1) | instskip(SKIP_1) | instid1(VALU_DEP_1)
	s_mul_i32 s16, s0, 0x2a4
	s_mul_hi_i32 s3, s0, 0x2a4
	v_cndmask_b32_e32 v1, v3, v1, vcc_lo
	v_cmp_lt_u32_e32 vcc_lo, 0x2a3, v0
	s_waitcnt lgkmcnt(0)
	s_add_u32 s6, s6, s16
	s_addc_u32 s3, s7, s3
	v_add_co_u32 v2, s6, s6, v0
	s_delay_alu instid0(VALU_DEP_1)
	v_add_co_ci_u32_e64 v3, null, s3, 0, s6
	v_cndmask_b32_e64 v8, 0, 1, vcc_lo
	s_set_inst_prefetch_distance 0x1
	s_branch .LBB201_14
	.p2align	6
.LBB201_13:                             ;   in Loop: Header=BB201_14 Depth=1
	s_or_b32 exec_lo, exec_lo, s3
	s_add_i32 s0, s0, 1
	s_delay_alu instid0(SALU_CYCLE_1)
	s_cmp_lt_i32 s0, s1
	s_cbranch_scc0 .LBB201_16
.LBB201_14:                             ; =>This Inner Loop Header: Depth=1
	s_delay_alu instid0(VALU_DEP_1) | instskip(SKIP_1) | instid1(VALU_DEP_1)
	v_add_nc_u32_e32 v4, s0, v8
	s_mov_b32 s3, exec_lo
	v_cmpx_gt_i32_e64 s1, v4
	s_cbranch_execz .LBB201_13
; %bb.15:                               ;   in Loop: Header=BB201_14 Depth=1
	v_ashrrev_i32_e32 v5, 31, v4
	s_delay_alu instid0(VALU_DEP_1) | instskip(NEXT) | instid1(VALU_DEP_1)
	v_lshlrev_b64 v[4:5], 2, v[4:5]
	v_add_co_u32 v4, vcc_lo, s4, v4
	s_delay_alu instid0(VALU_DEP_2) | instskip(SKIP_3) | instid1(VALU_DEP_1)
	v_add_co_ci_u32_e32 v5, vcc_lo, s5, v5, vcc_lo
	global_load_b32 v4, v[4:5], off
	s_waitcnt vmcnt(0)
	v_subrev_nc_u32_e32 v9, s10, v4
	v_mad_u64_u32 v[4:5], null, v9, 26, v[1:2]
	s_delay_alu instid0(VALU_DEP_1) | instskip(SKIP_1) | instid1(VALU_DEP_2)
	v_ashrrev_i32_e32 v5, 31, v4
	v_add_co_u32 v4, vcc_lo, s12, v4
	v_add_co_ci_u32_e32 v5, vcc_lo, s13, v5, vcc_lo
	global_load_i8 v9, v[2:3], off
	global_load_i8 v4, v[4:5], off
	v_add_co_u32 v2, vcc_lo, 0x2a4, v2
	v_add_co_ci_u32_e32 v3, vcc_lo, 0, v3, vcc_lo
	s_waitcnt vmcnt(0)
	v_mad_i32_i24 v6, v4, v9, v6
	s_branch .LBB201_13
.LBB201_16:
	s_set_inst_prefetch_distance 0x2
	v_lshlrev_b32_e32 v1, 2, v0
	s_and_b32 vcc_lo, exec_lo, s15
	ds_store_b32 v1, v6
	s_waitcnt lgkmcnt(0)
	s_barrier
	buffer_gl0_inv
	s_cbranch_vccz .LBB201_28
; %bb.17:
	s_mov_b32 s0, exec_lo
	v_cmpx_gt_u16_e32 10, v7
	s_cbranch_execz .LBB201_19
; %bb.18:
	ds_load_2addr_b32 v[2:3], v1 offset1:16
	s_waitcnt lgkmcnt(0)
	v_add_nc_u32_e32 v2, v2, v3
	ds_store_b32 v1, v2
.LBB201_19:
	s_or_b32 exec_lo, exec_lo, s0
	s_delay_alu instid0(SALU_CYCLE_1)
	s_mov_b32 s0, exec_lo
	s_waitcnt lgkmcnt(0)
	s_barrier
	buffer_gl0_inv
	v_cmpx_gt_u16_e32 8, v7
	s_cbranch_execz .LBB201_21
; %bb.20:
	ds_load_2addr_b32 v[2:3], v1 offset1:8
	s_waitcnt lgkmcnt(0)
	v_add_nc_u32_e32 v2, v2, v3
	ds_store_b32 v1, v2
.LBB201_21:
	s_or_b32 exec_lo, exec_lo, s0
	s_delay_alu instid0(SALU_CYCLE_1)
	s_mov_b32 s0, exec_lo
	s_waitcnt lgkmcnt(0)
	s_barrier
	buffer_gl0_inv
	;; [unrolled: 14-line block ×3, first 2 shown]
	v_cmpx_gt_u16_e32 2, v7
	s_cbranch_execz .LBB201_25
; %bb.24:
	ds_load_2addr_b32 v[2:3], v1 offset1:2
	s_waitcnt lgkmcnt(0)
	v_add_nc_u32_e32 v2, v2, v3
	ds_store_b32 v1, v2
.LBB201_25:
	s_or_b32 exec_lo, exec_lo, s0
	s_mov_b32 s1, 0
	s_mov_b32 s0, 0
	s_mov_b32 s3, exec_lo
	s_waitcnt lgkmcnt(0)
	s_barrier
	buffer_gl0_inv
                                        ; implicit-def: $vgpr2
                                        ; implicit-def: $vgpr3
	v_cmpx_gt_u32_e32 26, v0
	s_xor_b32 s3, exec_lo, s3
; %bb.26:
	v_mul_u32_u24_e32 v3, 26, v0
	s_mov_b32 s0, exec_lo
	s_delay_alu instid0(VALU_DEP_1)
	v_or_b32_e32 v2, 1, v3
	v_lshlrev_b32_e32 v3, 2, v3
; %bb.27:
	s_or_b32 exec_lo, exec_lo, s3
	s_delay_alu instid0(SALU_CYCLE_1)
	s_and_b32 vcc_lo, exec_lo, s1
	s_cbranch_vccnz .LBB201_29
	s_branch .LBB201_40
.LBB201_28:
	s_mov_b32 s0, 0
                                        ; implicit-def: $vgpr2
                                        ; implicit-def: $vgpr3
	s_cbranch_execz .LBB201_40
.LBB201_29:
	s_mov_b32 s1, exec_lo
	v_cmpx_gt_u32_e32 0x104, v0
	s_cbranch_execz .LBB201_31
; %bb.30:
	ds_load_b32 v2, v1 offset:1664
	ds_load_b32 v3, v1
	s_waitcnt lgkmcnt(0)
	v_add_nc_u32_e32 v2, v3, v2
	ds_store_b32 v1, v2
.LBB201_31:
	s_or_b32 exec_lo, exec_lo, s1
	s_delay_alu instid0(SALU_CYCLE_1)
	s_mov_b32 s1, exec_lo
	s_waitcnt lgkmcnt(0)
	s_barrier
	buffer_gl0_inv
	v_cmpx_gt_u32_e32 0xd0, v0
	s_cbranch_execz .LBB201_33
; %bb.32:
	ds_load_2addr_b32 v[2:3], v1 offset1:208
	s_waitcnt lgkmcnt(0)
	v_add_nc_u32_e32 v2, v2, v3
	ds_store_b32 v1, v2
.LBB201_33:
	s_or_b32 exec_lo, exec_lo, s1
	s_delay_alu instid0(SALU_CYCLE_1)
	s_mov_b32 s1, exec_lo
	s_waitcnt lgkmcnt(0)
	s_barrier
	buffer_gl0_inv
	v_cmpx_gt_u32_e32 0x68, v0
	s_cbranch_execz .LBB201_35
; %bb.34:
	ds_load_2addr_b32 v[2:3], v1 offset1:104
	s_waitcnt lgkmcnt(0)
	v_add_nc_u32_e32 v2, v2, v3
	ds_store_b32 v1, v2
.LBB201_35:
	;; [unrolled: 14-line block ×3, first 2 shown]
	s_or_b32 exec_lo, exec_lo, s1
	s_delay_alu instid0(SALU_CYCLE_1)
	s_mov_b32 s1, exec_lo
	s_waitcnt lgkmcnt(0)
	buffer_gl0_inv
                                        ; implicit-def: $vgpr2
	v_cmpx_gt_u32_e32 26, v0
; %bb.38:
	v_add_nc_u32_e32 v2, 26, v0
	s_or_b32 s0, s0, exec_lo
                                        ; implicit-def: $vgpr6
; %bb.39:
	s_or_b32 exec_lo, exec_lo, s1
	v_mov_b32_e32 v3, v1
.LBB201_40:
	s_and_saveexec_b32 s1, s0
	s_cbranch_execz .LBB201_42
; %bb.41:
	v_lshlrev_b32_e32 v1, 2, v2
	ds_load_b32 v2, v3
	ds_load_b32 v1, v1
	s_waitcnt lgkmcnt(0)
	v_add_nc_u32_e32 v6, v1, v2
.LBB201_42:
	s_or_b32 exec_lo, exec_lo, s1
	s_delay_alu instid0(SALU_CYCLE_1)
	s_mov_b32 s0, exec_lo
	v_cmpx_gt_u32_e32 26, v0
	s_cbranch_execz .LBB201_46
; %bb.43:
	v_mul_lo_u32 v1, v6, s11
	s_cmp_eq_u32 s14, 0
	s_mov_b32 s0, 0
	s_cbranch_scc1 .LBB201_47
; %bb.44:
	s_delay_alu instid0(VALU_DEP_1) | instskip(SKIP_1) | instid1(VALU_DEP_1)
	v_mad_u64_u32 v[2:3], null, s2, 26, v[0:1]
	v_mov_b32_e32 v3, 0
	v_lshlrev_b64 v[2:3], 2, v[2:3]
	s_delay_alu instid0(VALU_DEP_1) | instskip(NEXT) | instid1(VALU_DEP_2)
	v_add_co_u32 v2, vcc_lo, s8, v2
	v_add_co_ci_u32_e32 v3, vcc_lo, s9, v3, vcc_lo
	global_load_b32 v6, v[2:3], off
	s_waitcnt vmcnt(0)
	v_mad_u64_u32 v[4:5], null, v6, s14, v[1:2]
	global_store_b32 v[2:3], v4, off
	s_and_not1_b32 vcc_lo, exec_lo, s0
	s_cbranch_vccnz .LBB201_46
.LBB201_45:
	s_delay_alu instid0(VALU_DEP_1) | instskip(SKIP_1) | instid1(VALU_DEP_1)
	v_mad_u64_u32 v[2:3], null, s2, 26, v[0:1]
	v_mov_b32_e32 v3, 0
	v_lshlrev_b64 v[2:3], 2, v[2:3]
	s_delay_alu instid0(VALU_DEP_1) | instskip(NEXT) | instid1(VALU_DEP_2)
	v_add_co_u32 v2, vcc_lo, s8, v2
	v_add_co_ci_u32_e32 v3, vcc_lo, s9, v3, vcc_lo
	global_store_b32 v[2:3], v1, off
.LBB201_46:
	s_nop 0
	s_sendmsg sendmsg(MSG_DEALLOC_VGPRS)
	s_endpgm
.LBB201_47:
	s_branch .LBB201_45
	.section	.rodata,"a",@progbits
	.p2align	6, 0x0
	.amdhsa_kernel _ZN9rocsparseL20bsrxmvn_17_32_kernelILj26EiiiaaiEEvT2_20rocsparse_direction_NS_24const_host_device_scalarIT0_EES1_PKS1_PKT1_SA_S7_PKT3_PKT4_S5_PT5_21rocsparse_index_base_b
		.amdhsa_group_segment_fixed_size 2704
		.amdhsa_private_segment_fixed_size 0
		.amdhsa_kernarg_size 96
		.amdhsa_user_sgpr_count 15
		.amdhsa_user_sgpr_dispatch_ptr 0
		.amdhsa_user_sgpr_queue_ptr 0
		.amdhsa_user_sgpr_kernarg_segment_ptr 1
		.amdhsa_user_sgpr_dispatch_id 0
		.amdhsa_user_sgpr_private_segment_size 0
		.amdhsa_wavefront_size32 1
		.amdhsa_uses_dynamic_stack 0
		.amdhsa_enable_private_segment 0
		.amdhsa_system_sgpr_workgroup_id_x 1
		.amdhsa_system_sgpr_workgroup_id_y 0
		.amdhsa_system_sgpr_workgroup_id_z 0
		.amdhsa_system_sgpr_workgroup_info 0
		.amdhsa_system_vgpr_workitem_id 0
		.amdhsa_next_free_vgpr 10
		.amdhsa_next_free_sgpr 17
		.amdhsa_reserve_vcc 1
		.amdhsa_float_round_mode_32 0
		.amdhsa_float_round_mode_16_64 0
		.amdhsa_float_denorm_mode_32 3
		.amdhsa_float_denorm_mode_16_64 3
		.amdhsa_dx10_clamp 1
		.amdhsa_ieee_mode 1
		.amdhsa_fp16_overflow 0
		.amdhsa_workgroup_processor_mode 1
		.amdhsa_memory_ordered 1
		.amdhsa_forward_progress 0
		.amdhsa_shared_vgpr_count 0
		.amdhsa_exception_fp_ieee_invalid_op 0
		.amdhsa_exception_fp_denorm_src 0
		.amdhsa_exception_fp_ieee_div_zero 0
		.amdhsa_exception_fp_ieee_overflow 0
		.amdhsa_exception_fp_ieee_underflow 0
		.amdhsa_exception_fp_ieee_inexact 0
		.amdhsa_exception_int_div_zero 0
	.end_amdhsa_kernel
	.section	.text._ZN9rocsparseL20bsrxmvn_17_32_kernelILj26EiiiaaiEEvT2_20rocsparse_direction_NS_24const_host_device_scalarIT0_EES1_PKS1_PKT1_SA_S7_PKT3_PKT4_S5_PT5_21rocsparse_index_base_b,"axG",@progbits,_ZN9rocsparseL20bsrxmvn_17_32_kernelILj26EiiiaaiEEvT2_20rocsparse_direction_NS_24const_host_device_scalarIT0_EES1_PKS1_PKT1_SA_S7_PKT3_PKT4_S5_PT5_21rocsparse_index_base_b,comdat
.Lfunc_end201:
	.size	_ZN9rocsparseL20bsrxmvn_17_32_kernelILj26EiiiaaiEEvT2_20rocsparse_direction_NS_24const_host_device_scalarIT0_EES1_PKS1_PKT1_SA_S7_PKT3_PKT4_S5_PT5_21rocsparse_index_base_b, .Lfunc_end201-_ZN9rocsparseL20bsrxmvn_17_32_kernelILj26EiiiaaiEEvT2_20rocsparse_direction_NS_24const_host_device_scalarIT0_EES1_PKS1_PKT1_SA_S7_PKT3_PKT4_S5_PT5_21rocsparse_index_base_b
                                        ; -- End function
	.section	.AMDGPU.csdata,"",@progbits
; Kernel info:
; codeLenInByte = 1564
; NumSgprs: 19
; NumVgprs: 10
; ScratchSize: 0
; MemoryBound: 0
; FloatMode: 240
; IeeeMode: 1
; LDSByteSize: 2704 bytes/workgroup (compile time only)
; SGPRBlocks: 2
; VGPRBlocks: 1
; NumSGPRsForWavesPerEU: 19
; NumVGPRsForWavesPerEU: 10
; Occupancy: 11
; WaveLimiterHint : 1
; COMPUTE_PGM_RSRC2:SCRATCH_EN: 0
; COMPUTE_PGM_RSRC2:USER_SGPR: 15
; COMPUTE_PGM_RSRC2:TRAP_HANDLER: 0
; COMPUTE_PGM_RSRC2:TGID_X_EN: 1
; COMPUTE_PGM_RSRC2:TGID_Y_EN: 0
; COMPUTE_PGM_RSRC2:TGID_Z_EN: 0
; COMPUTE_PGM_RSRC2:TIDIG_COMP_CNT: 0
	.section	.text._ZN9rocsparseL20bsrxmvn_17_32_kernelILj27EiiiaaiEEvT2_20rocsparse_direction_NS_24const_host_device_scalarIT0_EES1_PKS1_PKT1_SA_S7_PKT3_PKT4_S5_PT5_21rocsparse_index_base_b,"axG",@progbits,_ZN9rocsparseL20bsrxmvn_17_32_kernelILj27EiiiaaiEEvT2_20rocsparse_direction_NS_24const_host_device_scalarIT0_EES1_PKS1_PKT1_SA_S7_PKT3_PKT4_S5_PT5_21rocsparse_index_base_b,comdat
	.globl	_ZN9rocsparseL20bsrxmvn_17_32_kernelILj27EiiiaaiEEvT2_20rocsparse_direction_NS_24const_host_device_scalarIT0_EES1_PKS1_PKT1_SA_S7_PKT3_PKT4_S5_PT5_21rocsparse_index_base_b ; -- Begin function _ZN9rocsparseL20bsrxmvn_17_32_kernelILj27EiiiaaiEEvT2_20rocsparse_direction_NS_24const_host_device_scalarIT0_EES1_PKS1_PKT1_SA_S7_PKT3_PKT4_S5_PT5_21rocsparse_index_base_b
	.p2align	8
	.type	_ZN9rocsparseL20bsrxmvn_17_32_kernelILj27EiiiaaiEEvT2_20rocsparse_direction_NS_24const_host_device_scalarIT0_EES1_PKS1_PKT1_SA_S7_PKT3_PKT4_S5_PT5_21rocsparse_index_base_b,@function
_ZN9rocsparseL20bsrxmvn_17_32_kernelILj27EiiiaaiEEvT2_20rocsparse_direction_NS_24const_host_device_scalarIT0_EES1_PKS1_PKT1_SA_S7_PKT3_PKT4_S5_PT5_21rocsparse_index_base_b: ; @_ZN9rocsparseL20bsrxmvn_17_32_kernelILj27EiiiaaiEEvT2_20rocsparse_direction_NS_24const_host_device_scalarIT0_EES1_PKS1_PKT1_SA_S7_PKT3_PKT4_S5_PT5_21rocsparse_index_base_b
; %bb.0:
	s_clause 0x1
	s_load_b64 s[10:11], s[0:1], 0x58
	s_load_b64 s[6:7], s[0:1], 0x8
	s_mov_b32 s2, s15
	s_mov_b32 s8, -1
	s_waitcnt lgkmcnt(0)
	s_bitcmp1_b32 s11, 0
                                        ; implicit-def: $sgpr11
	s_cselect_b32 s3, -1, 0
	s_delay_alu instid0(SALU_CYCLE_1) | instskip(NEXT) | instid1(SALU_CYCLE_1)
	s_xor_b32 s3, s3, -1
	s_and_b32 vcc_lo, exec_lo, s3
	s_cbranch_vccnz .LBB202_4
; %bb.1:
	s_load_b64 s[4:5], s[0:1], 0x48
	s_and_not1_b32 vcc_lo, exec_lo, s8
	s_cbranch_vccz .LBB202_5
.LBB202_2:
	s_and_b32 vcc_lo, exec_lo, s3
	s_cbranch_vccz .LBB202_6
.LBB202_3:
	s_waitcnt lgkmcnt(0)
	s_load_b32 s14, s[4:5], 0x0
	s_cbranch_execz .LBB202_7
	s_branch .LBB202_8
.LBB202_4:
	s_load_b32 s11, s[6:7], 0x0
	s_load_b64 s[4:5], s[0:1], 0x48
	s_cbranch_execnz .LBB202_2
.LBB202_5:
	s_waitcnt lgkmcnt(0)
	s_mov_b32 s11, s6
	s_and_b32 vcc_lo, exec_lo, s3
	s_cbranch_vccnz .LBB202_3
.LBB202_6:
                                        ; implicit-def: $sgpr14
.LBB202_7:
	s_waitcnt lgkmcnt(0)
	s_mov_b32 s14, s4
.LBB202_8:
	s_waitcnt lgkmcnt(0)
	s_cmp_lg_u32 s11, 0
	s_cselect_b32 s3, -1, 0
	s_cmp_lg_u32 s14, 1
	s_cselect_b32 s4, -1, 0
	s_delay_alu instid0(SALU_CYCLE_1) | instskip(NEXT) | instid1(SALU_CYCLE_1)
	s_or_b32 s3, s3, s4
	s_and_not1_b32 vcc_lo, exec_lo, s3
	s_cbranch_vccnz .LBB202_46
; %bb.9:
	s_clause 0x1
	s_load_b128 s[4:7], s[0:1], 0x18
	s_load_b64 s[8:9], s[0:1], 0x28
	s_waitcnt lgkmcnt(0)
	s_cmp_eq_u64 s[4:5], 0
	s_cbranch_scc1 .LBB202_11
; %bb.10:
	s_ashr_i32 s3, s2, 31
	s_delay_alu instid0(SALU_CYCLE_1) | instskip(NEXT) | instid1(SALU_CYCLE_1)
	s_lshl_b64 s[2:3], s[2:3], 2
	s_add_u32 s2, s4, s2
	s_addc_u32 s3, s5, s3
	s_load_b32 s2, s[2:3], 0x0
	s_waitcnt lgkmcnt(0)
	s_sub_i32 s2, s2, s10
.LBB202_11:
	s_load_b32 s3, s[0:1], 0x4
	v_mul_u32_u24_e32 v1, 0x97c, v0
	v_mov_b32_e32 v6, 0
	s_delay_alu instid0(VALU_DEP_2) | instskip(NEXT) | instid1(VALU_DEP_1)
	v_lshrrev_b32_e32 v1, 16, v1
	v_mul_lo_u16 v2, v1, 27
	s_delay_alu instid0(VALU_DEP_1)
	v_sub_nc_u16 v7, v0, v2
	s_waitcnt lgkmcnt(0)
	s_cmp_eq_u32 s3, 1
	s_cselect_b32 vcc_lo, -1, 0
	s_cmp_lg_u32 s3, 1
	s_cselect_b32 s15, -1, 0
	s_ashr_i32 s3, s2, 31
	s_delay_alu instid0(SALU_CYCLE_1) | instskip(NEXT) | instid1(SALU_CYCLE_1)
	s_lshl_b64 s[4:5], s[2:3], 2
	s_add_u32 s6, s6, s4
	s_addc_u32 s7, s7, s5
	s_add_u32 s3, s6, 4
	s_addc_u32 s12, s7, 0
	;; [unrolled: 2-line block ×3, first 2 shown]
	s_cmp_eq_u64 s[8:9], 0
	s_load_b64 s[8:9], s[0:1], 0x50
	s_cselect_b32 s5, s12, s5
	s_cselect_b32 s4, s3, s4
	s_load_b32 s3, s[6:7], 0x0
	s_load_b32 s16, s[4:5], 0x0
	s_waitcnt lgkmcnt(0)
	s_cmp_ge_i32 s3, s16
	s_cbranch_scc1 .LBB202_16
; %bb.12:
	s_clause 0x1
	s_load_b128 s[4:7], s[0:1], 0x30
	s_load_b64 s[12:13], s[0:1], 0x40
	v_dual_mov_b32 v6, 0 :: v_dual_and_b32 v1, 0xffff, v1
	v_cmp_gt_u32_e64 s0, 0x2d9, v0
	v_and_b32_e32 v3, 0xffff, v7
	s_sub_i32 s1, s16, s10
	s_delay_alu instid0(VALU_DEP_3) | instskip(NEXT) | instid1(VALU_DEP_1)
	v_subrev_nc_u32_e32 v2, 27, v1
	v_cndmask_b32_e64 v1, v2, v1, s0
	s_sub_i32 s0, s3, s10
	s_delay_alu instid0(SALU_CYCLE_1) | instskip(SKIP_1) | instid1(VALU_DEP_1)
	s_mul_i32 s16, s0, 0x2d9
	s_mul_hi_i32 s3, s0, 0x2d9
	v_cndmask_b32_e32 v1, v3, v1, vcc_lo
	v_cmp_lt_u32_e32 vcc_lo, 0x2d8, v0
	s_waitcnt lgkmcnt(0)
	s_add_u32 s6, s6, s16
	s_addc_u32 s3, s7, s3
	v_add_co_u32 v2, s6, s6, v0
	s_delay_alu instid0(VALU_DEP_1)
	v_add_co_ci_u32_e64 v3, null, s3, 0, s6
	v_cndmask_b32_e64 v8, 0, 1, vcc_lo
	s_set_inst_prefetch_distance 0x1
	s_branch .LBB202_14
	.p2align	6
.LBB202_13:                             ;   in Loop: Header=BB202_14 Depth=1
	s_or_b32 exec_lo, exec_lo, s3
	s_add_i32 s0, s0, 1
	s_delay_alu instid0(SALU_CYCLE_1)
	s_cmp_lt_i32 s0, s1
	s_cbranch_scc0 .LBB202_16
.LBB202_14:                             ; =>This Inner Loop Header: Depth=1
	s_delay_alu instid0(VALU_DEP_1) | instskip(SKIP_1) | instid1(VALU_DEP_1)
	v_add_nc_u32_e32 v4, s0, v8
	s_mov_b32 s3, exec_lo
	v_cmpx_gt_i32_e64 s1, v4
	s_cbranch_execz .LBB202_13
; %bb.15:                               ;   in Loop: Header=BB202_14 Depth=1
	v_ashrrev_i32_e32 v5, 31, v4
	s_delay_alu instid0(VALU_DEP_1) | instskip(NEXT) | instid1(VALU_DEP_1)
	v_lshlrev_b64 v[4:5], 2, v[4:5]
	v_add_co_u32 v4, vcc_lo, s4, v4
	s_delay_alu instid0(VALU_DEP_2) | instskip(SKIP_3) | instid1(VALU_DEP_1)
	v_add_co_ci_u32_e32 v5, vcc_lo, s5, v5, vcc_lo
	global_load_b32 v4, v[4:5], off
	s_waitcnt vmcnt(0)
	v_subrev_nc_u32_e32 v9, s10, v4
	v_mad_u64_u32 v[4:5], null, v9, 27, v[1:2]
	s_delay_alu instid0(VALU_DEP_1) | instskip(SKIP_1) | instid1(VALU_DEP_2)
	v_ashrrev_i32_e32 v5, 31, v4
	v_add_co_u32 v4, vcc_lo, s12, v4
	v_add_co_ci_u32_e32 v5, vcc_lo, s13, v5, vcc_lo
	global_load_i8 v9, v[2:3], off
	global_load_i8 v4, v[4:5], off
	v_add_co_u32 v2, vcc_lo, 0x2d9, v2
	v_add_co_ci_u32_e32 v3, vcc_lo, 0, v3, vcc_lo
	s_waitcnt vmcnt(0)
	v_mad_i32_i24 v6, v4, v9, v6
	s_branch .LBB202_13
.LBB202_16:
	s_set_inst_prefetch_distance 0x2
	v_lshlrev_b32_e32 v1, 2, v0
	s_and_b32 vcc_lo, exec_lo, s15
	ds_store_b32 v1, v6
	s_waitcnt lgkmcnt(0)
	s_barrier
	buffer_gl0_inv
	s_cbranch_vccz .LBB202_28
; %bb.17:
	s_mov_b32 s0, exec_lo
	v_cmpx_gt_u16_e32 11, v7
	s_cbranch_execz .LBB202_19
; %bb.18:
	ds_load_2addr_b32 v[2:3], v1 offset1:16
	s_waitcnt lgkmcnt(0)
	v_add_nc_u32_e32 v2, v2, v3
	ds_store_b32 v1, v2
.LBB202_19:
	s_or_b32 exec_lo, exec_lo, s0
	s_delay_alu instid0(SALU_CYCLE_1)
	s_mov_b32 s0, exec_lo
	s_waitcnt lgkmcnt(0)
	s_barrier
	buffer_gl0_inv
	v_cmpx_gt_u16_e32 8, v7
	s_cbranch_execz .LBB202_21
; %bb.20:
	ds_load_2addr_b32 v[2:3], v1 offset1:8
	s_waitcnt lgkmcnt(0)
	v_add_nc_u32_e32 v2, v2, v3
	ds_store_b32 v1, v2
.LBB202_21:
	s_or_b32 exec_lo, exec_lo, s0
	s_delay_alu instid0(SALU_CYCLE_1)
	s_mov_b32 s0, exec_lo
	s_waitcnt lgkmcnt(0)
	s_barrier
	buffer_gl0_inv
	;; [unrolled: 14-line block ×3, first 2 shown]
	v_cmpx_gt_u16_e32 2, v7
	s_cbranch_execz .LBB202_25
; %bb.24:
	ds_load_2addr_b32 v[2:3], v1 offset1:2
	s_waitcnt lgkmcnt(0)
	v_add_nc_u32_e32 v2, v2, v3
	ds_store_b32 v1, v2
.LBB202_25:
	s_or_b32 exec_lo, exec_lo, s0
	s_mov_b32 s1, 0
	s_mov_b32 s0, 0
	s_mov_b32 s3, exec_lo
	s_waitcnt lgkmcnt(0)
	s_barrier
	buffer_gl0_inv
                                        ; implicit-def: $vgpr2
                                        ; implicit-def: $vgpr3
	v_cmpx_gt_u32_e32 27, v0
	s_xor_b32 s3, exec_lo, s3
; %bb.26:
	v_mul_u32_u24_e32 v3, 27, v0
	v_mad_u32_u24 v2, v0, 27, 1
	s_mov_b32 s0, exec_lo
	s_delay_alu instid0(VALU_DEP_2)
	v_lshlrev_b32_e32 v3, 2, v3
; %bb.27:
	s_or_b32 exec_lo, exec_lo, s3
	s_delay_alu instid0(SALU_CYCLE_1)
	s_and_b32 vcc_lo, exec_lo, s1
	s_cbranch_vccnz .LBB202_29
	s_branch .LBB202_40
.LBB202_28:
	s_mov_b32 s0, 0
                                        ; implicit-def: $vgpr2
                                        ; implicit-def: $vgpr3
	s_cbranch_execz .LBB202_40
.LBB202_29:
	s_mov_b32 s1, exec_lo
	v_cmpx_gt_u32_e32 0x129, v0
	s_cbranch_execz .LBB202_31
; %bb.30:
	ds_load_b32 v2, v1 offset:1728
	ds_load_b32 v3, v1
	s_waitcnt lgkmcnt(0)
	v_add_nc_u32_e32 v2, v3, v2
	ds_store_b32 v1, v2
.LBB202_31:
	s_or_b32 exec_lo, exec_lo, s1
	s_delay_alu instid0(SALU_CYCLE_1)
	s_mov_b32 s1, exec_lo
	s_waitcnt lgkmcnt(0)
	s_barrier
	buffer_gl0_inv
	v_cmpx_gt_u32_e32 0xd8, v0
	s_cbranch_execz .LBB202_33
; %bb.32:
	ds_load_2addr_b32 v[2:3], v1 offset1:216
	s_waitcnt lgkmcnt(0)
	v_add_nc_u32_e32 v2, v2, v3
	ds_store_b32 v1, v2
.LBB202_33:
	s_or_b32 exec_lo, exec_lo, s1
	s_delay_alu instid0(SALU_CYCLE_1)
	s_mov_b32 s1, exec_lo
	s_waitcnt lgkmcnt(0)
	s_barrier
	buffer_gl0_inv
	v_cmpx_gt_u32_e32 0x6c, v0
	s_cbranch_execz .LBB202_35
; %bb.34:
	ds_load_2addr_b32 v[2:3], v1 offset1:108
	s_waitcnt lgkmcnt(0)
	v_add_nc_u32_e32 v2, v2, v3
	ds_store_b32 v1, v2
.LBB202_35:
	;; [unrolled: 14-line block ×3, first 2 shown]
	s_or_b32 exec_lo, exec_lo, s1
	s_delay_alu instid0(SALU_CYCLE_1)
	s_mov_b32 s1, exec_lo
	s_waitcnt lgkmcnt(0)
	buffer_gl0_inv
                                        ; implicit-def: $vgpr2
	v_cmpx_gt_u32_e32 27, v0
; %bb.38:
	v_add_nc_u32_e32 v2, 27, v0
	s_or_b32 s0, s0, exec_lo
                                        ; implicit-def: $vgpr6
; %bb.39:
	s_or_b32 exec_lo, exec_lo, s1
	v_mov_b32_e32 v3, v1
.LBB202_40:
	s_and_saveexec_b32 s1, s0
	s_cbranch_execz .LBB202_42
; %bb.41:
	v_lshlrev_b32_e32 v1, 2, v2
	ds_load_b32 v2, v3
	ds_load_b32 v1, v1
	s_waitcnt lgkmcnt(0)
	v_add_nc_u32_e32 v6, v1, v2
.LBB202_42:
	s_or_b32 exec_lo, exec_lo, s1
	s_delay_alu instid0(SALU_CYCLE_1)
	s_mov_b32 s0, exec_lo
	v_cmpx_gt_u32_e32 27, v0
	s_cbranch_execz .LBB202_46
; %bb.43:
	v_mul_lo_u32 v1, v6, s11
	s_cmp_eq_u32 s14, 0
	s_mov_b32 s0, 0
	s_cbranch_scc1 .LBB202_47
; %bb.44:
	s_delay_alu instid0(VALU_DEP_1) | instskip(SKIP_1) | instid1(VALU_DEP_1)
	v_mad_u64_u32 v[2:3], null, s2, 27, v[0:1]
	v_mov_b32_e32 v3, 0
	v_lshlrev_b64 v[2:3], 2, v[2:3]
	s_delay_alu instid0(VALU_DEP_1) | instskip(NEXT) | instid1(VALU_DEP_2)
	v_add_co_u32 v2, vcc_lo, s8, v2
	v_add_co_ci_u32_e32 v3, vcc_lo, s9, v3, vcc_lo
	global_load_b32 v6, v[2:3], off
	s_waitcnt vmcnt(0)
	v_mad_u64_u32 v[4:5], null, v6, s14, v[1:2]
	global_store_b32 v[2:3], v4, off
	s_and_not1_b32 vcc_lo, exec_lo, s0
	s_cbranch_vccnz .LBB202_46
.LBB202_45:
	s_delay_alu instid0(VALU_DEP_1) | instskip(SKIP_1) | instid1(VALU_DEP_1)
	v_mad_u64_u32 v[2:3], null, s2, 27, v[0:1]
	v_mov_b32_e32 v3, 0
	v_lshlrev_b64 v[2:3], 2, v[2:3]
	s_delay_alu instid0(VALU_DEP_1) | instskip(NEXT) | instid1(VALU_DEP_2)
	v_add_co_u32 v2, vcc_lo, s8, v2
	v_add_co_ci_u32_e32 v3, vcc_lo, s9, v3, vcc_lo
	global_store_b32 v[2:3], v1, off
.LBB202_46:
	s_nop 0
	s_sendmsg sendmsg(MSG_DEALLOC_VGPRS)
	s_endpgm
.LBB202_47:
	s_branch .LBB202_45
	.section	.rodata,"a",@progbits
	.p2align	6, 0x0
	.amdhsa_kernel _ZN9rocsparseL20bsrxmvn_17_32_kernelILj27EiiiaaiEEvT2_20rocsparse_direction_NS_24const_host_device_scalarIT0_EES1_PKS1_PKT1_SA_S7_PKT3_PKT4_S5_PT5_21rocsparse_index_base_b
		.amdhsa_group_segment_fixed_size 2916
		.amdhsa_private_segment_fixed_size 0
		.amdhsa_kernarg_size 96
		.amdhsa_user_sgpr_count 15
		.amdhsa_user_sgpr_dispatch_ptr 0
		.amdhsa_user_sgpr_queue_ptr 0
		.amdhsa_user_sgpr_kernarg_segment_ptr 1
		.amdhsa_user_sgpr_dispatch_id 0
		.amdhsa_user_sgpr_private_segment_size 0
		.amdhsa_wavefront_size32 1
		.amdhsa_uses_dynamic_stack 0
		.amdhsa_enable_private_segment 0
		.amdhsa_system_sgpr_workgroup_id_x 1
		.amdhsa_system_sgpr_workgroup_id_y 0
		.amdhsa_system_sgpr_workgroup_id_z 0
		.amdhsa_system_sgpr_workgroup_info 0
		.amdhsa_system_vgpr_workitem_id 0
		.amdhsa_next_free_vgpr 10
		.amdhsa_next_free_sgpr 17
		.amdhsa_reserve_vcc 1
		.amdhsa_float_round_mode_32 0
		.amdhsa_float_round_mode_16_64 0
		.amdhsa_float_denorm_mode_32 3
		.amdhsa_float_denorm_mode_16_64 3
		.amdhsa_dx10_clamp 1
		.amdhsa_ieee_mode 1
		.amdhsa_fp16_overflow 0
		.amdhsa_workgroup_processor_mode 1
		.amdhsa_memory_ordered 1
		.amdhsa_forward_progress 0
		.amdhsa_shared_vgpr_count 0
		.amdhsa_exception_fp_ieee_invalid_op 0
		.amdhsa_exception_fp_denorm_src 0
		.amdhsa_exception_fp_ieee_div_zero 0
		.amdhsa_exception_fp_ieee_overflow 0
		.amdhsa_exception_fp_ieee_underflow 0
		.amdhsa_exception_fp_ieee_inexact 0
		.amdhsa_exception_int_div_zero 0
	.end_amdhsa_kernel
	.section	.text._ZN9rocsparseL20bsrxmvn_17_32_kernelILj27EiiiaaiEEvT2_20rocsparse_direction_NS_24const_host_device_scalarIT0_EES1_PKS1_PKT1_SA_S7_PKT3_PKT4_S5_PT5_21rocsparse_index_base_b,"axG",@progbits,_ZN9rocsparseL20bsrxmvn_17_32_kernelILj27EiiiaaiEEvT2_20rocsparse_direction_NS_24const_host_device_scalarIT0_EES1_PKS1_PKT1_SA_S7_PKT3_PKT4_S5_PT5_21rocsparse_index_base_b,comdat
.Lfunc_end202:
	.size	_ZN9rocsparseL20bsrxmvn_17_32_kernelILj27EiiiaaiEEvT2_20rocsparse_direction_NS_24const_host_device_scalarIT0_EES1_PKS1_PKT1_SA_S7_PKT3_PKT4_S5_PT5_21rocsparse_index_base_b, .Lfunc_end202-_ZN9rocsparseL20bsrxmvn_17_32_kernelILj27EiiiaaiEEvT2_20rocsparse_direction_NS_24const_host_device_scalarIT0_EES1_PKS1_PKT1_SA_S7_PKT3_PKT4_S5_PT5_21rocsparse_index_base_b
                                        ; -- End function
	.section	.AMDGPU.csdata,"",@progbits
; Kernel info:
; codeLenInByte = 1568
; NumSgprs: 19
; NumVgprs: 10
; ScratchSize: 0
; MemoryBound: 0
; FloatMode: 240
; IeeeMode: 1
; LDSByteSize: 2916 bytes/workgroup (compile time only)
; SGPRBlocks: 2
; VGPRBlocks: 1
; NumSGPRsForWavesPerEU: 19
; NumVGPRsForWavesPerEU: 10
; Occupancy: 12
; WaveLimiterHint : 1
; COMPUTE_PGM_RSRC2:SCRATCH_EN: 0
; COMPUTE_PGM_RSRC2:USER_SGPR: 15
; COMPUTE_PGM_RSRC2:TRAP_HANDLER: 0
; COMPUTE_PGM_RSRC2:TGID_X_EN: 1
; COMPUTE_PGM_RSRC2:TGID_Y_EN: 0
; COMPUTE_PGM_RSRC2:TGID_Z_EN: 0
; COMPUTE_PGM_RSRC2:TIDIG_COMP_CNT: 0
	.section	.text._ZN9rocsparseL20bsrxmvn_17_32_kernelILj28EiiiaaiEEvT2_20rocsparse_direction_NS_24const_host_device_scalarIT0_EES1_PKS1_PKT1_SA_S7_PKT3_PKT4_S5_PT5_21rocsparse_index_base_b,"axG",@progbits,_ZN9rocsparseL20bsrxmvn_17_32_kernelILj28EiiiaaiEEvT2_20rocsparse_direction_NS_24const_host_device_scalarIT0_EES1_PKS1_PKT1_SA_S7_PKT3_PKT4_S5_PT5_21rocsparse_index_base_b,comdat
	.globl	_ZN9rocsparseL20bsrxmvn_17_32_kernelILj28EiiiaaiEEvT2_20rocsparse_direction_NS_24const_host_device_scalarIT0_EES1_PKS1_PKT1_SA_S7_PKT3_PKT4_S5_PT5_21rocsparse_index_base_b ; -- Begin function _ZN9rocsparseL20bsrxmvn_17_32_kernelILj28EiiiaaiEEvT2_20rocsparse_direction_NS_24const_host_device_scalarIT0_EES1_PKS1_PKT1_SA_S7_PKT3_PKT4_S5_PT5_21rocsparse_index_base_b
	.p2align	8
	.type	_ZN9rocsparseL20bsrxmvn_17_32_kernelILj28EiiiaaiEEvT2_20rocsparse_direction_NS_24const_host_device_scalarIT0_EES1_PKS1_PKT1_SA_S7_PKT3_PKT4_S5_PT5_21rocsparse_index_base_b,@function
_ZN9rocsparseL20bsrxmvn_17_32_kernelILj28EiiiaaiEEvT2_20rocsparse_direction_NS_24const_host_device_scalarIT0_EES1_PKS1_PKT1_SA_S7_PKT3_PKT4_S5_PT5_21rocsparse_index_base_b: ; @_ZN9rocsparseL20bsrxmvn_17_32_kernelILj28EiiiaaiEEvT2_20rocsparse_direction_NS_24const_host_device_scalarIT0_EES1_PKS1_PKT1_SA_S7_PKT3_PKT4_S5_PT5_21rocsparse_index_base_b
; %bb.0:
	s_clause 0x1
	s_load_b64 s[10:11], s[0:1], 0x58
	s_load_b64 s[6:7], s[0:1], 0x8
	s_mov_b32 s2, s15
	s_mov_b32 s8, -1
	s_waitcnt lgkmcnt(0)
	s_bitcmp1_b32 s11, 0
                                        ; implicit-def: $sgpr11
	s_cselect_b32 s3, -1, 0
	s_delay_alu instid0(SALU_CYCLE_1) | instskip(NEXT) | instid1(SALU_CYCLE_1)
	s_xor_b32 s3, s3, -1
	s_and_b32 vcc_lo, exec_lo, s3
	s_cbranch_vccnz .LBB203_4
; %bb.1:
	s_load_b64 s[4:5], s[0:1], 0x48
	s_and_not1_b32 vcc_lo, exec_lo, s8
	s_cbranch_vccz .LBB203_5
.LBB203_2:
	s_and_b32 vcc_lo, exec_lo, s3
	s_cbranch_vccz .LBB203_6
.LBB203_3:
	s_waitcnt lgkmcnt(0)
	s_load_b32 s14, s[4:5], 0x0
	s_cbranch_execz .LBB203_7
	s_branch .LBB203_8
.LBB203_4:
	s_load_b32 s11, s[6:7], 0x0
	s_load_b64 s[4:5], s[0:1], 0x48
	s_cbranch_execnz .LBB203_2
.LBB203_5:
	s_waitcnt lgkmcnt(0)
	s_mov_b32 s11, s6
	s_and_b32 vcc_lo, exec_lo, s3
	s_cbranch_vccnz .LBB203_3
.LBB203_6:
                                        ; implicit-def: $sgpr14
.LBB203_7:
	s_waitcnt lgkmcnt(0)
	s_mov_b32 s14, s4
.LBB203_8:
	s_waitcnt lgkmcnt(0)
	s_cmp_lg_u32 s11, 0
	s_cselect_b32 s3, -1, 0
	s_cmp_lg_u32 s14, 1
	s_cselect_b32 s4, -1, 0
	s_delay_alu instid0(SALU_CYCLE_1) | instskip(NEXT) | instid1(SALU_CYCLE_1)
	s_or_b32 s3, s3, s4
	s_and_not1_b32 vcc_lo, exec_lo, s3
	s_cbranch_vccnz .LBB203_46
; %bb.9:
	s_clause 0x1
	s_load_b128 s[4:7], s[0:1], 0x18
	s_load_b64 s[8:9], s[0:1], 0x28
	s_waitcnt lgkmcnt(0)
	s_cmp_eq_u64 s[4:5], 0
	s_cbranch_scc1 .LBB203_11
; %bb.10:
	s_ashr_i32 s3, s2, 31
	s_delay_alu instid0(SALU_CYCLE_1) | instskip(NEXT) | instid1(SALU_CYCLE_1)
	s_lshl_b64 s[2:3], s[2:3], 2
	s_add_u32 s2, s4, s2
	s_addc_u32 s3, s5, s3
	s_load_b32 s2, s[2:3], 0x0
	s_waitcnt lgkmcnt(0)
	s_sub_i32 s2, s2, s10
.LBB203_11:
	s_load_b32 s3, s[0:1], 0x4
	v_mul_u32_u24_e32 v1, 0x925, v0
	v_mov_b32_e32 v6, 0
	s_delay_alu instid0(VALU_DEP_2) | instskip(NEXT) | instid1(VALU_DEP_1)
	v_lshrrev_b32_e32 v1, 16, v1
	v_mul_lo_u16 v2, v1, 28
	s_delay_alu instid0(VALU_DEP_1)
	v_sub_nc_u16 v7, v0, v2
	s_waitcnt lgkmcnt(0)
	s_cmp_eq_u32 s3, 1
	s_cselect_b32 vcc_lo, -1, 0
	s_cmp_lg_u32 s3, 1
	s_cselect_b32 s15, -1, 0
	s_ashr_i32 s3, s2, 31
	s_delay_alu instid0(SALU_CYCLE_1) | instskip(NEXT) | instid1(SALU_CYCLE_1)
	s_lshl_b64 s[4:5], s[2:3], 2
	s_add_u32 s6, s6, s4
	s_addc_u32 s7, s7, s5
	s_add_u32 s3, s6, 4
	s_addc_u32 s12, s7, 0
	;; [unrolled: 2-line block ×3, first 2 shown]
	s_cmp_eq_u64 s[8:9], 0
	s_load_b64 s[8:9], s[0:1], 0x50
	s_cselect_b32 s5, s12, s5
	s_cselect_b32 s4, s3, s4
	s_load_b32 s3, s[6:7], 0x0
	s_load_b32 s16, s[4:5], 0x0
	s_waitcnt lgkmcnt(0)
	s_cmp_ge_i32 s3, s16
	s_cbranch_scc1 .LBB203_16
; %bb.12:
	s_clause 0x1
	s_load_b128 s[4:7], s[0:1], 0x30
	s_load_b64 s[12:13], s[0:1], 0x40
	v_dual_mov_b32 v6, 0 :: v_dual_and_b32 v1, 0xffff, v1
	v_cmp_gt_u32_e64 s0, 0x310, v0
	v_and_b32_e32 v3, 0xffff, v7
	s_sub_i32 s1, s16, s10
	s_delay_alu instid0(VALU_DEP_3) | instskip(NEXT) | instid1(VALU_DEP_1)
	v_subrev_nc_u32_e32 v2, 28, v1
	v_cndmask_b32_e64 v1, v2, v1, s0
	s_sub_i32 s0, s3, s10
	s_delay_alu instid0(SALU_CYCLE_1) | instskip(SKIP_1) | instid1(VALU_DEP_1)
	s_mul_i32 s16, s0, 0x310
	s_mul_hi_i32 s3, s0, 0x310
	v_cndmask_b32_e32 v1, v3, v1, vcc_lo
	v_cmp_lt_u32_e32 vcc_lo, 0x30f, v0
	s_waitcnt lgkmcnt(0)
	s_add_u32 s6, s6, s16
	s_addc_u32 s3, s7, s3
	v_add_co_u32 v2, s6, s6, v0
	s_delay_alu instid0(VALU_DEP_1)
	v_add_co_ci_u32_e64 v3, null, s3, 0, s6
	v_cndmask_b32_e64 v8, 0, 1, vcc_lo
	s_set_inst_prefetch_distance 0x1
	s_branch .LBB203_14
	.p2align	6
.LBB203_13:                             ;   in Loop: Header=BB203_14 Depth=1
	s_or_b32 exec_lo, exec_lo, s3
	s_add_i32 s0, s0, 1
	s_delay_alu instid0(SALU_CYCLE_1)
	s_cmp_lt_i32 s0, s1
	s_cbranch_scc0 .LBB203_16
.LBB203_14:                             ; =>This Inner Loop Header: Depth=1
	s_delay_alu instid0(VALU_DEP_1) | instskip(SKIP_1) | instid1(VALU_DEP_1)
	v_add_nc_u32_e32 v4, s0, v8
	s_mov_b32 s3, exec_lo
	v_cmpx_gt_i32_e64 s1, v4
	s_cbranch_execz .LBB203_13
; %bb.15:                               ;   in Loop: Header=BB203_14 Depth=1
	v_ashrrev_i32_e32 v5, 31, v4
	s_delay_alu instid0(VALU_DEP_1) | instskip(NEXT) | instid1(VALU_DEP_1)
	v_lshlrev_b64 v[4:5], 2, v[4:5]
	v_add_co_u32 v4, vcc_lo, s4, v4
	s_delay_alu instid0(VALU_DEP_2) | instskip(SKIP_3) | instid1(VALU_DEP_1)
	v_add_co_ci_u32_e32 v5, vcc_lo, s5, v5, vcc_lo
	global_load_b32 v4, v[4:5], off
	s_waitcnt vmcnt(0)
	v_subrev_nc_u32_e32 v9, s10, v4
	v_mad_u64_u32 v[4:5], null, v9, 28, v[1:2]
	s_delay_alu instid0(VALU_DEP_1) | instskip(SKIP_1) | instid1(VALU_DEP_2)
	v_ashrrev_i32_e32 v5, 31, v4
	v_add_co_u32 v4, vcc_lo, s12, v4
	v_add_co_ci_u32_e32 v5, vcc_lo, s13, v5, vcc_lo
	global_load_i8 v9, v[2:3], off
	global_load_i8 v4, v[4:5], off
	v_add_co_u32 v2, vcc_lo, 0x310, v2
	v_add_co_ci_u32_e32 v3, vcc_lo, 0, v3, vcc_lo
	s_waitcnt vmcnt(0)
	v_mad_i32_i24 v6, v4, v9, v6
	s_branch .LBB203_13
.LBB203_16:
	s_set_inst_prefetch_distance 0x2
	v_lshlrev_b32_e32 v1, 2, v0
	s_and_b32 vcc_lo, exec_lo, s15
	ds_store_b32 v1, v6
	s_waitcnt lgkmcnt(0)
	s_barrier
	buffer_gl0_inv
	s_cbranch_vccz .LBB203_28
; %bb.17:
	s_mov_b32 s0, exec_lo
	v_cmpx_gt_u16_e32 12, v7
	s_cbranch_execz .LBB203_19
; %bb.18:
	ds_load_2addr_b32 v[2:3], v1 offset1:16
	s_waitcnt lgkmcnt(0)
	v_add_nc_u32_e32 v2, v2, v3
	ds_store_b32 v1, v2
.LBB203_19:
	s_or_b32 exec_lo, exec_lo, s0
	s_delay_alu instid0(SALU_CYCLE_1)
	s_mov_b32 s0, exec_lo
	s_waitcnt lgkmcnt(0)
	s_barrier
	buffer_gl0_inv
	v_cmpx_gt_u16_e32 8, v7
	s_cbranch_execz .LBB203_21
; %bb.20:
	ds_load_2addr_b32 v[2:3], v1 offset1:8
	s_waitcnt lgkmcnt(0)
	v_add_nc_u32_e32 v2, v2, v3
	ds_store_b32 v1, v2
.LBB203_21:
	s_or_b32 exec_lo, exec_lo, s0
	s_delay_alu instid0(SALU_CYCLE_1)
	s_mov_b32 s0, exec_lo
	s_waitcnt lgkmcnt(0)
	s_barrier
	buffer_gl0_inv
	;; [unrolled: 14-line block ×3, first 2 shown]
	v_cmpx_gt_u16_e32 2, v7
	s_cbranch_execz .LBB203_25
; %bb.24:
	ds_load_2addr_b32 v[2:3], v1 offset1:2
	s_waitcnt lgkmcnt(0)
	v_add_nc_u32_e32 v2, v2, v3
	ds_store_b32 v1, v2
.LBB203_25:
	s_or_b32 exec_lo, exec_lo, s0
	s_mov_b32 s1, 0
	s_mov_b32 s0, 0
	s_mov_b32 s3, exec_lo
	s_waitcnt lgkmcnt(0)
	s_barrier
	buffer_gl0_inv
                                        ; implicit-def: $vgpr2
                                        ; implicit-def: $vgpr3
	v_cmpx_gt_u32_e32 28, v0
	s_xor_b32 s3, exec_lo, s3
; %bb.26:
	v_mul_u32_u24_e32 v3, 28, v0
	s_mov_b32 s0, exec_lo
	s_delay_alu instid0(VALU_DEP_1)
	v_or_b32_e32 v2, 1, v3
	v_lshlrev_b32_e32 v3, 2, v3
; %bb.27:
	s_or_b32 exec_lo, exec_lo, s3
	s_delay_alu instid0(SALU_CYCLE_1)
	s_and_b32 vcc_lo, exec_lo, s1
	s_cbranch_vccnz .LBB203_29
	s_branch .LBB203_40
.LBB203_28:
	s_mov_b32 s0, 0
                                        ; implicit-def: $vgpr2
                                        ; implicit-def: $vgpr3
	s_cbranch_execz .LBB203_40
.LBB203_29:
	s_mov_b32 s1, exec_lo
	v_cmpx_gt_u32_e32 0x150, v0
	s_cbranch_execz .LBB203_31
; %bb.30:
	ds_load_2addr_stride64_b32 v[2:3], v1 offset1:7
	s_waitcnt lgkmcnt(0)
	v_add_nc_u32_e32 v2, v2, v3
	ds_store_b32 v1, v2
.LBB203_31:
	s_or_b32 exec_lo, exec_lo, s1
	s_delay_alu instid0(SALU_CYCLE_1)
	s_mov_b32 s1, exec_lo
	s_waitcnt lgkmcnt(0)
	s_barrier
	buffer_gl0_inv
	v_cmpx_gt_u32_e32 0xe0, v0
	s_cbranch_execz .LBB203_33
; %bb.32:
	ds_load_2addr_b32 v[2:3], v1 offset1:224
	s_waitcnt lgkmcnt(0)
	v_add_nc_u32_e32 v2, v2, v3
	ds_store_b32 v1, v2
.LBB203_33:
	s_or_b32 exec_lo, exec_lo, s1
	s_delay_alu instid0(SALU_CYCLE_1)
	s_mov_b32 s1, exec_lo
	s_waitcnt lgkmcnt(0)
	s_barrier
	buffer_gl0_inv
	v_cmpx_gt_u32_e32 0x70, v0
	s_cbranch_execz .LBB203_35
; %bb.34:
	ds_load_2addr_b32 v[2:3], v1 offset1:112
	s_waitcnt lgkmcnt(0)
	v_add_nc_u32_e32 v2, v2, v3
	ds_store_b32 v1, v2
.LBB203_35:
	;; [unrolled: 14-line block ×3, first 2 shown]
	s_or_b32 exec_lo, exec_lo, s1
	s_delay_alu instid0(SALU_CYCLE_1)
	s_mov_b32 s1, exec_lo
	s_waitcnt lgkmcnt(0)
	buffer_gl0_inv
                                        ; implicit-def: $vgpr2
	v_cmpx_gt_u32_e32 28, v0
; %bb.38:
	v_add_nc_u32_e32 v2, 28, v0
	s_or_b32 s0, s0, exec_lo
                                        ; implicit-def: $vgpr6
; %bb.39:
	s_or_b32 exec_lo, exec_lo, s1
	v_mov_b32_e32 v3, v1
.LBB203_40:
	s_and_saveexec_b32 s1, s0
	s_cbranch_execz .LBB203_42
; %bb.41:
	v_lshlrev_b32_e32 v1, 2, v2
	ds_load_b32 v2, v3
	ds_load_b32 v1, v1
	s_waitcnt lgkmcnt(0)
	v_add_nc_u32_e32 v6, v1, v2
.LBB203_42:
	s_or_b32 exec_lo, exec_lo, s1
	s_delay_alu instid0(SALU_CYCLE_1)
	s_mov_b32 s0, exec_lo
	v_cmpx_gt_u32_e32 28, v0
	s_cbranch_execz .LBB203_46
; %bb.43:
	v_mul_lo_u32 v1, v6, s11
	s_cmp_eq_u32 s14, 0
	s_mov_b32 s0, 0
	s_cbranch_scc1 .LBB203_47
; %bb.44:
	s_delay_alu instid0(VALU_DEP_1) | instskip(SKIP_1) | instid1(VALU_DEP_1)
	v_mad_u64_u32 v[2:3], null, s2, 28, v[0:1]
	v_mov_b32_e32 v3, 0
	v_lshlrev_b64 v[2:3], 2, v[2:3]
	s_delay_alu instid0(VALU_DEP_1) | instskip(NEXT) | instid1(VALU_DEP_2)
	v_add_co_u32 v2, vcc_lo, s8, v2
	v_add_co_ci_u32_e32 v3, vcc_lo, s9, v3, vcc_lo
	global_load_b32 v6, v[2:3], off
	s_waitcnt vmcnt(0)
	v_mad_u64_u32 v[4:5], null, v6, s14, v[1:2]
	global_store_b32 v[2:3], v4, off
	s_and_not1_b32 vcc_lo, exec_lo, s0
	s_cbranch_vccnz .LBB203_46
.LBB203_45:
	s_delay_alu instid0(VALU_DEP_1) | instskip(SKIP_1) | instid1(VALU_DEP_1)
	v_mad_u64_u32 v[2:3], null, s2, 28, v[0:1]
	v_mov_b32_e32 v3, 0
	v_lshlrev_b64 v[2:3], 2, v[2:3]
	s_delay_alu instid0(VALU_DEP_1) | instskip(NEXT) | instid1(VALU_DEP_2)
	v_add_co_u32 v2, vcc_lo, s8, v2
	v_add_co_ci_u32_e32 v3, vcc_lo, s9, v3, vcc_lo
	global_store_b32 v[2:3], v1, off
.LBB203_46:
	s_nop 0
	s_sendmsg sendmsg(MSG_DEALLOC_VGPRS)
	s_endpgm
.LBB203_47:
	s_branch .LBB203_45
	.section	.rodata,"a",@progbits
	.p2align	6, 0x0
	.amdhsa_kernel _ZN9rocsparseL20bsrxmvn_17_32_kernelILj28EiiiaaiEEvT2_20rocsparse_direction_NS_24const_host_device_scalarIT0_EES1_PKS1_PKT1_SA_S7_PKT3_PKT4_S5_PT5_21rocsparse_index_base_b
		.amdhsa_group_segment_fixed_size 3136
		.amdhsa_private_segment_fixed_size 0
		.amdhsa_kernarg_size 96
		.amdhsa_user_sgpr_count 15
		.amdhsa_user_sgpr_dispatch_ptr 0
		.amdhsa_user_sgpr_queue_ptr 0
		.amdhsa_user_sgpr_kernarg_segment_ptr 1
		.amdhsa_user_sgpr_dispatch_id 0
		.amdhsa_user_sgpr_private_segment_size 0
		.amdhsa_wavefront_size32 1
		.amdhsa_uses_dynamic_stack 0
		.amdhsa_enable_private_segment 0
		.amdhsa_system_sgpr_workgroup_id_x 1
		.amdhsa_system_sgpr_workgroup_id_y 0
		.amdhsa_system_sgpr_workgroup_id_z 0
		.amdhsa_system_sgpr_workgroup_info 0
		.amdhsa_system_vgpr_workitem_id 0
		.amdhsa_next_free_vgpr 10
		.amdhsa_next_free_sgpr 17
		.amdhsa_reserve_vcc 1
		.amdhsa_float_round_mode_32 0
		.amdhsa_float_round_mode_16_64 0
		.amdhsa_float_denorm_mode_32 3
		.amdhsa_float_denorm_mode_16_64 3
		.amdhsa_dx10_clamp 1
		.amdhsa_ieee_mode 1
		.amdhsa_fp16_overflow 0
		.amdhsa_workgroup_processor_mode 1
		.amdhsa_memory_ordered 1
		.amdhsa_forward_progress 0
		.amdhsa_shared_vgpr_count 0
		.amdhsa_exception_fp_ieee_invalid_op 0
		.amdhsa_exception_fp_denorm_src 0
		.amdhsa_exception_fp_ieee_div_zero 0
		.amdhsa_exception_fp_ieee_overflow 0
		.amdhsa_exception_fp_ieee_underflow 0
		.amdhsa_exception_fp_ieee_inexact 0
		.amdhsa_exception_int_div_zero 0
	.end_amdhsa_kernel
	.section	.text._ZN9rocsparseL20bsrxmvn_17_32_kernelILj28EiiiaaiEEvT2_20rocsparse_direction_NS_24const_host_device_scalarIT0_EES1_PKS1_PKT1_SA_S7_PKT3_PKT4_S5_PT5_21rocsparse_index_base_b,"axG",@progbits,_ZN9rocsparseL20bsrxmvn_17_32_kernelILj28EiiiaaiEEvT2_20rocsparse_direction_NS_24const_host_device_scalarIT0_EES1_PKS1_PKT1_SA_S7_PKT3_PKT4_S5_PT5_21rocsparse_index_base_b,comdat
.Lfunc_end203:
	.size	_ZN9rocsparseL20bsrxmvn_17_32_kernelILj28EiiiaaiEEvT2_20rocsparse_direction_NS_24const_host_device_scalarIT0_EES1_PKS1_PKT1_SA_S7_PKT3_PKT4_S5_PT5_21rocsparse_index_base_b, .Lfunc_end203-_ZN9rocsparseL20bsrxmvn_17_32_kernelILj28EiiiaaiEEvT2_20rocsparse_direction_NS_24const_host_device_scalarIT0_EES1_PKS1_PKT1_SA_S7_PKT3_PKT4_S5_PT5_21rocsparse_index_base_b
                                        ; -- End function
	.section	.AMDGPU.csdata,"",@progbits
; Kernel info:
; codeLenInByte = 1556
; NumSgprs: 19
; NumVgprs: 10
; ScratchSize: 0
; MemoryBound: 0
; FloatMode: 240
; IeeeMode: 1
; LDSByteSize: 3136 bytes/workgroup (compile time only)
; SGPRBlocks: 2
; VGPRBlocks: 1
; NumSGPRsForWavesPerEU: 19
; NumVGPRsForWavesPerEU: 10
; Occupancy: 13
; WaveLimiterHint : 1
; COMPUTE_PGM_RSRC2:SCRATCH_EN: 0
; COMPUTE_PGM_RSRC2:USER_SGPR: 15
; COMPUTE_PGM_RSRC2:TRAP_HANDLER: 0
; COMPUTE_PGM_RSRC2:TGID_X_EN: 1
; COMPUTE_PGM_RSRC2:TGID_Y_EN: 0
; COMPUTE_PGM_RSRC2:TGID_Z_EN: 0
; COMPUTE_PGM_RSRC2:TIDIG_COMP_CNT: 0
	.section	.text._ZN9rocsparseL20bsrxmvn_17_32_kernelILj29EiiiaaiEEvT2_20rocsparse_direction_NS_24const_host_device_scalarIT0_EES1_PKS1_PKT1_SA_S7_PKT3_PKT4_S5_PT5_21rocsparse_index_base_b,"axG",@progbits,_ZN9rocsparseL20bsrxmvn_17_32_kernelILj29EiiiaaiEEvT2_20rocsparse_direction_NS_24const_host_device_scalarIT0_EES1_PKS1_PKT1_SA_S7_PKT3_PKT4_S5_PT5_21rocsparse_index_base_b,comdat
	.globl	_ZN9rocsparseL20bsrxmvn_17_32_kernelILj29EiiiaaiEEvT2_20rocsparse_direction_NS_24const_host_device_scalarIT0_EES1_PKS1_PKT1_SA_S7_PKT3_PKT4_S5_PT5_21rocsparse_index_base_b ; -- Begin function _ZN9rocsparseL20bsrxmvn_17_32_kernelILj29EiiiaaiEEvT2_20rocsparse_direction_NS_24const_host_device_scalarIT0_EES1_PKS1_PKT1_SA_S7_PKT3_PKT4_S5_PT5_21rocsparse_index_base_b
	.p2align	8
	.type	_ZN9rocsparseL20bsrxmvn_17_32_kernelILj29EiiiaaiEEvT2_20rocsparse_direction_NS_24const_host_device_scalarIT0_EES1_PKS1_PKT1_SA_S7_PKT3_PKT4_S5_PT5_21rocsparse_index_base_b,@function
_ZN9rocsparseL20bsrxmvn_17_32_kernelILj29EiiiaaiEEvT2_20rocsparse_direction_NS_24const_host_device_scalarIT0_EES1_PKS1_PKT1_SA_S7_PKT3_PKT4_S5_PT5_21rocsparse_index_base_b: ; @_ZN9rocsparseL20bsrxmvn_17_32_kernelILj29EiiiaaiEEvT2_20rocsparse_direction_NS_24const_host_device_scalarIT0_EES1_PKS1_PKT1_SA_S7_PKT3_PKT4_S5_PT5_21rocsparse_index_base_b
; %bb.0:
	s_clause 0x1
	s_load_b64 s[10:11], s[0:1], 0x58
	s_load_b64 s[6:7], s[0:1], 0x8
	s_mov_b32 s2, s15
	s_mov_b32 s8, -1
	s_waitcnt lgkmcnt(0)
	s_bitcmp1_b32 s11, 0
                                        ; implicit-def: $sgpr11
	s_cselect_b32 s3, -1, 0
	s_delay_alu instid0(SALU_CYCLE_1) | instskip(NEXT) | instid1(SALU_CYCLE_1)
	s_xor_b32 s3, s3, -1
	s_and_b32 vcc_lo, exec_lo, s3
	s_cbranch_vccnz .LBB204_4
; %bb.1:
	s_load_b64 s[4:5], s[0:1], 0x48
	s_and_not1_b32 vcc_lo, exec_lo, s8
	s_cbranch_vccz .LBB204_5
.LBB204_2:
	s_and_b32 vcc_lo, exec_lo, s3
	s_cbranch_vccz .LBB204_6
.LBB204_3:
	s_waitcnt lgkmcnt(0)
	s_load_b32 s14, s[4:5], 0x0
	s_cbranch_execz .LBB204_7
	s_branch .LBB204_8
.LBB204_4:
	s_load_b32 s11, s[6:7], 0x0
	s_load_b64 s[4:5], s[0:1], 0x48
	s_cbranch_execnz .LBB204_2
.LBB204_5:
	s_waitcnt lgkmcnt(0)
	s_mov_b32 s11, s6
	s_and_b32 vcc_lo, exec_lo, s3
	s_cbranch_vccnz .LBB204_3
.LBB204_6:
                                        ; implicit-def: $sgpr14
.LBB204_7:
	s_waitcnt lgkmcnt(0)
	s_mov_b32 s14, s4
.LBB204_8:
	s_waitcnt lgkmcnt(0)
	s_cmp_lg_u32 s11, 0
	s_cselect_b32 s3, -1, 0
	s_cmp_lg_u32 s14, 1
	s_cselect_b32 s4, -1, 0
	s_delay_alu instid0(SALU_CYCLE_1) | instskip(NEXT) | instid1(SALU_CYCLE_1)
	s_or_b32 s3, s3, s4
	s_and_not1_b32 vcc_lo, exec_lo, s3
	s_cbranch_vccnz .LBB204_46
; %bb.9:
	s_clause 0x1
	s_load_b128 s[4:7], s[0:1], 0x18
	s_load_b64 s[8:9], s[0:1], 0x28
	s_waitcnt lgkmcnt(0)
	s_cmp_eq_u64 s[4:5], 0
	s_cbranch_scc1 .LBB204_11
; %bb.10:
	s_ashr_i32 s3, s2, 31
	s_delay_alu instid0(SALU_CYCLE_1) | instskip(NEXT) | instid1(SALU_CYCLE_1)
	s_lshl_b64 s[2:3], s[2:3], 2
	s_add_u32 s2, s4, s2
	s_addc_u32 s3, s5, s3
	s_load_b32 s2, s[2:3], 0x0
	s_waitcnt lgkmcnt(0)
	s_sub_i32 s2, s2, s10
.LBB204_11:
	s_load_b32 s3, s[0:1], 0x4
	v_mul_u32_u24_e32 v1, 0x8d4, v0
	v_mov_b32_e32 v6, 0
	s_delay_alu instid0(VALU_DEP_2) | instskip(NEXT) | instid1(VALU_DEP_1)
	v_lshrrev_b32_e32 v1, 16, v1
	v_mul_lo_u16 v2, v1, 29
	s_delay_alu instid0(VALU_DEP_1)
	v_sub_nc_u16 v7, v0, v2
	s_waitcnt lgkmcnt(0)
	s_cmp_eq_u32 s3, 1
	s_cselect_b32 vcc_lo, -1, 0
	s_cmp_lg_u32 s3, 1
	s_cselect_b32 s15, -1, 0
	s_ashr_i32 s3, s2, 31
	s_delay_alu instid0(SALU_CYCLE_1) | instskip(NEXT) | instid1(SALU_CYCLE_1)
	s_lshl_b64 s[4:5], s[2:3], 2
	s_add_u32 s6, s6, s4
	s_addc_u32 s7, s7, s5
	s_add_u32 s3, s6, 4
	s_addc_u32 s12, s7, 0
	;; [unrolled: 2-line block ×3, first 2 shown]
	s_cmp_eq_u64 s[8:9], 0
	s_load_b64 s[8:9], s[0:1], 0x50
	s_cselect_b32 s5, s12, s5
	s_cselect_b32 s4, s3, s4
	s_load_b32 s3, s[6:7], 0x0
	s_load_b32 s16, s[4:5], 0x0
	s_waitcnt lgkmcnt(0)
	s_cmp_ge_i32 s3, s16
	s_cbranch_scc1 .LBB204_16
; %bb.12:
	s_clause 0x1
	s_load_b128 s[4:7], s[0:1], 0x30
	s_load_b64 s[12:13], s[0:1], 0x40
	v_dual_mov_b32 v6, 0 :: v_dual_and_b32 v1, 0xffff, v1
	v_cmp_gt_u32_e64 s0, 0x349, v0
	v_and_b32_e32 v3, 0xffff, v7
	s_sub_i32 s1, s16, s10
	s_delay_alu instid0(VALU_DEP_3) | instskip(NEXT) | instid1(VALU_DEP_1)
	v_subrev_nc_u32_e32 v2, 29, v1
	v_cndmask_b32_e64 v1, v2, v1, s0
	s_sub_i32 s0, s3, s10
	s_delay_alu instid0(SALU_CYCLE_1) | instskip(SKIP_1) | instid1(VALU_DEP_1)
	s_mul_i32 s16, s0, 0x349
	s_mul_hi_i32 s3, s0, 0x349
	v_cndmask_b32_e32 v1, v3, v1, vcc_lo
	v_cmp_lt_u32_e32 vcc_lo, 0x348, v0
	s_waitcnt lgkmcnt(0)
	s_add_u32 s6, s6, s16
	s_addc_u32 s3, s7, s3
	v_add_co_u32 v2, s6, s6, v0
	s_delay_alu instid0(VALU_DEP_1)
	v_add_co_ci_u32_e64 v3, null, s3, 0, s6
	v_cndmask_b32_e64 v8, 0, 1, vcc_lo
	s_set_inst_prefetch_distance 0x1
	s_branch .LBB204_14
	.p2align	6
.LBB204_13:                             ;   in Loop: Header=BB204_14 Depth=1
	s_or_b32 exec_lo, exec_lo, s3
	s_add_i32 s0, s0, 1
	s_delay_alu instid0(SALU_CYCLE_1)
	s_cmp_lt_i32 s0, s1
	s_cbranch_scc0 .LBB204_16
.LBB204_14:                             ; =>This Inner Loop Header: Depth=1
	s_delay_alu instid0(VALU_DEP_1) | instskip(SKIP_1) | instid1(VALU_DEP_1)
	v_add_nc_u32_e32 v4, s0, v8
	s_mov_b32 s3, exec_lo
	v_cmpx_gt_i32_e64 s1, v4
	s_cbranch_execz .LBB204_13
; %bb.15:                               ;   in Loop: Header=BB204_14 Depth=1
	v_ashrrev_i32_e32 v5, 31, v4
	s_delay_alu instid0(VALU_DEP_1) | instskip(NEXT) | instid1(VALU_DEP_1)
	v_lshlrev_b64 v[4:5], 2, v[4:5]
	v_add_co_u32 v4, vcc_lo, s4, v4
	s_delay_alu instid0(VALU_DEP_2) | instskip(SKIP_3) | instid1(VALU_DEP_1)
	v_add_co_ci_u32_e32 v5, vcc_lo, s5, v5, vcc_lo
	global_load_b32 v4, v[4:5], off
	s_waitcnt vmcnt(0)
	v_subrev_nc_u32_e32 v9, s10, v4
	v_mad_u64_u32 v[4:5], null, v9, 29, v[1:2]
	s_delay_alu instid0(VALU_DEP_1) | instskip(SKIP_1) | instid1(VALU_DEP_2)
	v_ashrrev_i32_e32 v5, 31, v4
	v_add_co_u32 v4, vcc_lo, s12, v4
	v_add_co_ci_u32_e32 v5, vcc_lo, s13, v5, vcc_lo
	global_load_i8 v9, v[2:3], off
	global_load_i8 v4, v[4:5], off
	v_add_co_u32 v2, vcc_lo, 0x349, v2
	v_add_co_ci_u32_e32 v3, vcc_lo, 0, v3, vcc_lo
	s_waitcnt vmcnt(0)
	v_mad_i32_i24 v6, v4, v9, v6
	s_branch .LBB204_13
.LBB204_16:
	s_set_inst_prefetch_distance 0x2
	v_lshlrev_b32_e32 v1, 2, v0
	s_and_b32 vcc_lo, exec_lo, s15
	ds_store_b32 v1, v6
	s_waitcnt lgkmcnt(0)
	s_barrier
	buffer_gl0_inv
	s_cbranch_vccz .LBB204_28
; %bb.17:
	s_mov_b32 s0, exec_lo
	v_cmpx_gt_u16_e32 13, v7
	s_cbranch_execz .LBB204_19
; %bb.18:
	ds_load_2addr_b32 v[2:3], v1 offset1:16
	s_waitcnt lgkmcnt(0)
	v_add_nc_u32_e32 v2, v2, v3
	ds_store_b32 v1, v2
.LBB204_19:
	s_or_b32 exec_lo, exec_lo, s0
	s_delay_alu instid0(SALU_CYCLE_1)
	s_mov_b32 s0, exec_lo
	s_waitcnt lgkmcnt(0)
	s_barrier
	buffer_gl0_inv
	v_cmpx_gt_u16_e32 8, v7
	s_cbranch_execz .LBB204_21
; %bb.20:
	ds_load_2addr_b32 v[2:3], v1 offset1:8
	s_waitcnt lgkmcnt(0)
	v_add_nc_u32_e32 v2, v2, v3
	ds_store_b32 v1, v2
.LBB204_21:
	s_or_b32 exec_lo, exec_lo, s0
	s_delay_alu instid0(SALU_CYCLE_1)
	s_mov_b32 s0, exec_lo
	s_waitcnt lgkmcnt(0)
	s_barrier
	buffer_gl0_inv
	;; [unrolled: 14-line block ×3, first 2 shown]
	v_cmpx_gt_u16_e32 2, v7
	s_cbranch_execz .LBB204_25
; %bb.24:
	ds_load_2addr_b32 v[2:3], v1 offset1:2
	s_waitcnt lgkmcnt(0)
	v_add_nc_u32_e32 v2, v2, v3
	ds_store_b32 v1, v2
.LBB204_25:
	s_or_b32 exec_lo, exec_lo, s0
	s_mov_b32 s1, 0
	s_mov_b32 s0, 0
	s_mov_b32 s3, exec_lo
	s_waitcnt lgkmcnt(0)
	s_barrier
	buffer_gl0_inv
                                        ; implicit-def: $vgpr2
                                        ; implicit-def: $vgpr3
	v_cmpx_gt_u32_e32 29, v0
	s_xor_b32 s3, exec_lo, s3
; %bb.26:
	v_mul_u32_u24_e32 v3, 29, v0
	v_mad_u32_u24 v2, v0, 29, 1
	s_mov_b32 s0, exec_lo
	s_delay_alu instid0(VALU_DEP_2)
	v_lshlrev_b32_e32 v3, 2, v3
; %bb.27:
	s_or_b32 exec_lo, exec_lo, s3
	s_delay_alu instid0(SALU_CYCLE_1)
	s_and_b32 vcc_lo, exec_lo, s1
	s_cbranch_vccnz .LBB204_29
	s_branch .LBB204_40
.LBB204_28:
	s_mov_b32 s0, 0
                                        ; implicit-def: $vgpr2
                                        ; implicit-def: $vgpr3
	s_cbranch_execz .LBB204_40
.LBB204_29:
	s_mov_b32 s1, exec_lo
	v_cmpx_gt_u32_e32 0x179, v0
	s_cbranch_execz .LBB204_31
; %bb.30:
	ds_load_b32 v2, v1 offset:1856
	ds_load_b32 v3, v1
	s_waitcnt lgkmcnt(0)
	v_add_nc_u32_e32 v2, v3, v2
	ds_store_b32 v1, v2
.LBB204_31:
	s_or_b32 exec_lo, exec_lo, s1
	s_delay_alu instid0(SALU_CYCLE_1)
	s_mov_b32 s1, exec_lo
	s_waitcnt lgkmcnt(0)
	s_barrier
	buffer_gl0_inv
	v_cmpx_gt_u32_e32 0xe8, v0
	s_cbranch_execz .LBB204_33
; %bb.32:
	ds_load_2addr_b32 v[2:3], v1 offset1:232
	s_waitcnt lgkmcnt(0)
	v_add_nc_u32_e32 v2, v2, v3
	ds_store_b32 v1, v2
.LBB204_33:
	s_or_b32 exec_lo, exec_lo, s1
	s_delay_alu instid0(SALU_CYCLE_1)
	s_mov_b32 s1, exec_lo
	s_waitcnt lgkmcnt(0)
	s_barrier
	buffer_gl0_inv
	v_cmpx_gt_u32_e32 0x74, v0
	s_cbranch_execz .LBB204_35
; %bb.34:
	ds_load_2addr_b32 v[2:3], v1 offset1:116
	s_waitcnt lgkmcnt(0)
	v_add_nc_u32_e32 v2, v2, v3
	ds_store_b32 v1, v2
.LBB204_35:
	;; [unrolled: 14-line block ×3, first 2 shown]
	s_or_b32 exec_lo, exec_lo, s1
	s_delay_alu instid0(SALU_CYCLE_1)
	s_mov_b32 s1, exec_lo
	s_waitcnt lgkmcnt(0)
	buffer_gl0_inv
                                        ; implicit-def: $vgpr2
	v_cmpx_gt_u32_e32 29, v0
; %bb.38:
	v_add_nc_u32_e32 v2, 29, v0
	s_or_b32 s0, s0, exec_lo
                                        ; implicit-def: $vgpr6
; %bb.39:
	s_or_b32 exec_lo, exec_lo, s1
	v_mov_b32_e32 v3, v1
.LBB204_40:
	s_and_saveexec_b32 s1, s0
	s_cbranch_execz .LBB204_42
; %bb.41:
	v_lshlrev_b32_e32 v1, 2, v2
	ds_load_b32 v2, v3
	ds_load_b32 v1, v1
	s_waitcnt lgkmcnt(0)
	v_add_nc_u32_e32 v6, v1, v2
.LBB204_42:
	s_or_b32 exec_lo, exec_lo, s1
	s_delay_alu instid0(SALU_CYCLE_1)
	s_mov_b32 s0, exec_lo
	v_cmpx_gt_u32_e32 29, v0
	s_cbranch_execz .LBB204_46
; %bb.43:
	v_mul_lo_u32 v1, v6, s11
	s_cmp_eq_u32 s14, 0
	s_mov_b32 s0, 0
	s_cbranch_scc1 .LBB204_47
; %bb.44:
	s_delay_alu instid0(VALU_DEP_1) | instskip(SKIP_1) | instid1(VALU_DEP_1)
	v_mad_u64_u32 v[2:3], null, s2, 29, v[0:1]
	v_mov_b32_e32 v3, 0
	v_lshlrev_b64 v[2:3], 2, v[2:3]
	s_delay_alu instid0(VALU_DEP_1) | instskip(NEXT) | instid1(VALU_DEP_2)
	v_add_co_u32 v2, vcc_lo, s8, v2
	v_add_co_ci_u32_e32 v3, vcc_lo, s9, v3, vcc_lo
	global_load_b32 v6, v[2:3], off
	s_waitcnt vmcnt(0)
	v_mad_u64_u32 v[4:5], null, v6, s14, v[1:2]
	global_store_b32 v[2:3], v4, off
	s_and_not1_b32 vcc_lo, exec_lo, s0
	s_cbranch_vccnz .LBB204_46
.LBB204_45:
	s_delay_alu instid0(VALU_DEP_1) | instskip(SKIP_1) | instid1(VALU_DEP_1)
	v_mad_u64_u32 v[2:3], null, s2, 29, v[0:1]
	v_mov_b32_e32 v3, 0
	v_lshlrev_b64 v[2:3], 2, v[2:3]
	s_delay_alu instid0(VALU_DEP_1) | instskip(NEXT) | instid1(VALU_DEP_2)
	v_add_co_u32 v2, vcc_lo, s8, v2
	v_add_co_ci_u32_e32 v3, vcc_lo, s9, v3, vcc_lo
	global_store_b32 v[2:3], v1, off
.LBB204_46:
	s_nop 0
	s_sendmsg sendmsg(MSG_DEALLOC_VGPRS)
	s_endpgm
.LBB204_47:
	s_branch .LBB204_45
	.section	.rodata,"a",@progbits
	.p2align	6, 0x0
	.amdhsa_kernel _ZN9rocsparseL20bsrxmvn_17_32_kernelILj29EiiiaaiEEvT2_20rocsparse_direction_NS_24const_host_device_scalarIT0_EES1_PKS1_PKT1_SA_S7_PKT3_PKT4_S5_PT5_21rocsparse_index_base_b
		.amdhsa_group_segment_fixed_size 3364
		.amdhsa_private_segment_fixed_size 0
		.amdhsa_kernarg_size 96
		.amdhsa_user_sgpr_count 15
		.amdhsa_user_sgpr_dispatch_ptr 0
		.amdhsa_user_sgpr_queue_ptr 0
		.amdhsa_user_sgpr_kernarg_segment_ptr 1
		.amdhsa_user_sgpr_dispatch_id 0
		.amdhsa_user_sgpr_private_segment_size 0
		.amdhsa_wavefront_size32 1
		.amdhsa_uses_dynamic_stack 0
		.amdhsa_enable_private_segment 0
		.amdhsa_system_sgpr_workgroup_id_x 1
		.amdhsa_system_sgpr_workgroup_id_y 0
		.amdhsa_system_sgpr_workgroup_id_z 0
		.amdhsa_system_sgpr_workgroup_info 0
		.amdhsa_system_vgpr_workitem_id 0
		.amdhsa_next_free_vgpr 10
		.amdhsa_next_free_sgpr 17
		.amdhsa_reserve_vcc 1
		.amdhsa_float_round_mode_32 0
		.amdhsa_float_round_mode_16_64 0
		.amdhsa_float_denorm_mode_32 3
		.amdhsa_float_denorm_mode_16_64 3
		.amdhsa_dx10_clamp 1
		.amdhsa_ieee_mode 1
		.amdhsa_fp16_overflow 0
		.amdhsa_workgroup_processor_mode 1
		.amdhsa_memory_ordered 1
		.amdhsa_forward_progress 0
		.amdhsa_shared_vgpr_count 0
		.amdhsa_exception_fp_ieee_invalid_op 0
		.amdhsa_exception_fp_denorm_src 0
		.amdhsa_exception_fp_ieee_div_zero 0
		.amdhsa_exception_fp_ieee_overflow 0
		.amdhsa_exception_fp_ieee_underflow 0
		.amdhsa_exception_fp_ieee_inexact 0
		.amdhsa_exception_int_div_zero 0
	.end_amdhsa_kernel
	.section	.text._ZN9rocsparseL20bsrxmvn_17_32_kernelILj29EiiiaaiEEvT2_20rocsparse_direction_NS_24const_host_device_scalarIT0_EES1_PKS1_PKT1_SA_S7_PKT3_PKT4_S5_PT5_21rocsparse_index_base_b,"axG",@progbits,_ZN9rocsparseL20bsrxmvn_17_32_kernelILj29EiiiaaiEEvT2_20rocsparse_direction_NS_24const_host_device_scalarIT0_EES1_PKS1_PKT1_SA_S7_PKT3_PKT4_S5_PT5_21rocsparse_index_base_b,comdat
.Lfunc_end204:
	.size	_ZN9rocsparseL20bsrxmvn_17_32_kernelILj29EiiiaaiEEvT2_20rocsparse_direction_NS_24const_host_device_scalarIT0_EES1_PKS1_PKT1_SA_S7_PKT3_PKT4_S5_PT5_21rocsparse_index_base_b, .Lfunc_end204-_ZN9rocsparseL20bsrxmvn_17_32_kernelILj29EiiiaaiEEvT2_20rocsparse_direction_NS_24const_host_device_scalarIT0_EES1_PKS1_PKT1_SA_S7_PKT3_PKT4_S5_PT5_21rocsparse_index_base_b
                                        ; -- End function
	.section	.AMDGPU.csdata,"",@progbits
; Kernel info:
; codeLenInByte = 1568
; NumSgprs: 19
; NumVgprs: 10
; ScratchSize: 0
; MemoryBound: 0
; FloatMode: 240
; IeeeMode: 1
; LDSByteSize: 3364 bytes/workgroup (compile time only)
; SGPRBlocks: 2
; VGPRBlocks: 1
; NumSGPRsForWavesPerEU: 19
; NumVGPRsForWavesPerEU: 10
; Occupancy: 14
; WaveLimiterHint : 1
; COMPUTE_PGM_RSRC2:SCRATCH_EN: 0
; COMPUTE_PGM_RSRC2:USER_SGPR: 15
; COMPUTE_PGM_RSRC2:TRAP_HANDLER: 0
; COMPUTE_PGM_RSRC2:TGID_X_EN: 1
; COMPUTE_PGM_RSRC2:TGID_Y_EN: 0
; COMPUTE_PGM_RSRC2:TGID_Z_EN: 0
; COMPUTE_PGM_RSRC2:TIDIG_COMP_CNT: 0
	.section	.text._ZN9rocsparseL20bsrxmvn_17_32_kernelILj30EiiiaaiEEvT2_20rocsparse_direction_NS_24const_host_device_scalarIT0_EES1_PKS1_PKT1_SA_S7_PKT3_PKT4_S5_PT5_21rocsparse_index_base_b,"axG",@progbits,_ZN9rocsparseL20bsrxmvn_17_32_kernelILj30EiiiaaiEEvT2_20rocsparse_direction_NS_24const_host_device_scalarIT0_EES1_PKS1_PKT1_SA_S7_PKT3_PKT4_S5_PT5_21rocsparse_index_base_b,comdat
	.globl	_ZN9rocsparseL20bsrxmvn_17_32_kernelILj30EiiiaaiEEvT2_20rocsparse_direction_NS_24const_host_device_scalarIT0_EES1_PKS1_PKT1_SA_S7_PKT3_PKT4_S5_PT5_21rocsparse_index_base_b ; -- Begin function _ZN9rocsparseL20bsrxmvn_17_32_kernelILj30EiiiaaiEEvT2_20rocsparse_direction_NS_24const_host_device_scalarIT0_EES1_PKS1_PKT1_SA_S7_PKT3_PKT4_S5_PT5_21rocsparse_index_base_b
	.p2align	8
	.type	_ZN9rocsparseL20bsrxmvn_17_32_kernelILj30EiiiaaiEEvT2_20rocsparse_direction_NS_24const_host_device_scalarIT0_EES1_PKS1_PKT1_SA_S7_PKT3_PKT4_S5_PT5_21rocsparse_index_base_b,@function
_ZN9rocsparseL20bsrxmvn_17_32_kernelILj30EiiiaaiEEvT2_20rocsparse_direction_NS_24const_host_device_scalarIT0_EES1_PKS1_PKT1_SA_S7_PKT3_PKT4_S5_PT5_21rocsparse_index_base_b: ; @_ZN9rocsparseL20bsrxmvn_17_32_kernelILj30EiiiaaiEEvT2_20rocsparse_direction_NS_24const_host_device_scalarIT0_EES1_PKS1_PKT1_SA_S7_PKT3_PKT4_S5_PT5_21rocsparse_index_base_b
; %bb.0:
	s_clause 0x1
	s_load_b64 s[10:11], s[0:1], 0x58
	s_load_b64 s[6:7], s[0:1], 0x8
	s_mov_b32 s2, s15
	s_mov_b32 s8, -1
	s_waitcnt lgkmcnt(0)
	s_bitcmp1_b32 s11, 0
                                        ; implicit-def: $sgpr11
	s_cselect_b32 s3, -1, 0
	s_delay_alu instid0(SALU_CYCLE_1) | instskip(NEXT) | instid1(SALU_CYCLE_1)
	s_xor_b32 s3, s3, -1
	s_and_b32 vcc_lo, exec_lo, s3
	s_cbranch_vccnz .LBB205_4
; %bb.1:
	s_load_b64 s[4:5], s[0:1], 0x48
	s_and_not1_b32 vcc_lo, exec_lo, s8
	s_cbranch_vccz .LBB205_5
.LBB205_2:
	s_and_b32 vcc_lo, exec_lo, s3
	s_cbranch_vccz .LBB205_6
.LBB205_3:
	s_waitcnt lgkmcnt(0)
	s_load_b32 s14, s[4:5], 0x0
	s_cbranch_execz .LBB205_7
	s_branch .LBB205_8
.LBB205_4:
	s_load_b32 s11, s[6:7], 0x0
	s_load_b64 s[4:5], s[0:1], 0x48
	s_cbranch_execnz .LBB205_2
.LBB205_5:
	s_waitcnt lgkmcnt(0)
	s_mov_b32 s11, s6
	s_and_b32 vcc_lo, exec_lo, s3
	s_cbranch_vccnz .LBB205_3
.LBB205_6:
                                        ; implicit-def: $sgpr14
.LBB205_7:
	s_waitcnt lgkmcnt(0)
	s_mov_b32 s14, s4
.LBB205_8:
	s_waitcnt lgkmcnt(0)
	s_cmp_lg_u32 s11, 0
	s_cselect_b32 s3, -1, 0
	s_cmp_lg_u32 s14, 1
	s_cselect_b32 s4, -1, 0
	s_delay_alu instid0(SALU_CYCLE_1) | instskip(NEXT) | instid1(SALU_CYCLE_1)
	s_or_b32 s3, s3, s4
	s_and_not1_b32 vcc_lo, exec_lo, s3
	s_cbranch_vccnz .LBB205_46
; %bb.9:
	s_clause 0x1
	s_load_b128 s[4:7], s[0:1], 0x18
	s_load_b64 s[8:9], s[0:1], 0x28
	s_waitcnt lgkmcnt(0)
	s_cmp_eq_u64 s[4:5], 0
	s_cbranch_scc1 .LBB205_11
; %bb.10:
	s_ashr_i32 s3, s2, 31
	s_delay_alu instid0(SALU_CYCLE_1) | instskip(NEXT) | instid1(SALU_CYCLE_1)
	s_lshl_b64 s[2:3], s[2:3], 2
	s_add_u32 s2, s4, s2
	s_addc_u32 s3, s5, s3
	s_load_b32 s2, s[2:3], 0x0
	s_waitcnt lgkmcnt(0)
	s_sub_i32 s2, s2, s10
.LBB205_11:
	s_load_b32 s3, s[0:1], 0x4
	v_mul_u32_u24_e32 v1, 0x889, v0
	v_mov_b32_e32 v6, 0
	s_delay_alu instid0(VALU_DEP_2) | instskip(NEXT) | instid1(VALU_DEP_1)
	v_lshrrev_b32_e32 v1, 16, v1
	v_mul_lo_u16 v2, v1, 30
	s_delay_alu instid0(VALU_DEP_1)
	v_sub_nc_u16 v7, v0, v2
	s_waitcnt lgkmcnt(0)
	s_cmp_eq_u32 s3, 1
	s_cselect_b32 vcc_lo, -1, 0
	s_cmp_lg_u32 s3, 1
	s_cselect_b32 s15, -1, 0
	s_ashr_i32 s3, s2, 31
	s_delay_alu instid0(SALU_CYCLE_1) | instskip(NEXT) | instid1(SALU_CYCLE_1)
	s_lshl_b64 s[4:5], s[2:3], 2
	s_add_u32 s6, s6, s4
	s_addc_u32 s7, s7, s5
	s_add_u32 s3, s6, 4
	s_addc_u32 s12, s7, 0
	;; [unrolled: 2-line block ×3, first 2 shown]
	s_cmp_eq_u64 s[8:9], 0
	s_load_b64 s[8:9], s[0:1], 0x50
	s_cselect_b32 s5, s12, s5
	s_cselect_b32 s4, s3, s4
	s_load_b32 s3, s[6:7], 0x0
	s_load_b32 s16, s[4:5], 0x0
	s_waitcnt lgkmcnt(0)
	s_cmp_ge_i32 s3, s16
	s_cbranch_scc1 .LBB205_16
; %bb.12:
	s_clause 0x1
	s_load_b128 s[4:7], s[0:1], 0x30
	s_load_b64 s[12:13], s[0:1], 0x40
	v_dual_mov_b32 v6, 0 :: v_dual_and_b32 v1, 0xffff, v1
	v_cmp_gt_u32_e64 s0, 0x384, v0
	v_and_b32_e32 v3, 0xffff, v7
	s_sub_i32 s1, s16, s10
	s_delay_alu instid0(VALU_DEP_3) | instskip(NEXT) | instid1(VALU_DEP_1)
	v_subrev_nc_u32_e32 v2, 30, v1
	v_cndmask_b32_e64 v1, v2, v1, s0
	s_sub_i32 s0, s3, s10
	s_delay_alu instid0(SALU_CYCLE_1) | instskip(SKIP_1) | instid1(VALU_DEP_1)
	s_mul_i32 s16, s0, 0x384
	s_mul_hi_i32 s3, s0, 0x384
	v_cndmask_b32_e32 v1, v3, v1, vcc_lo
	v_cmp_lt_u32_e32 vcc_lo, 0x383, v0
	s_waitcnt lgkmcnt(0)
	s_add_u32 s6, s6, s16
	s_addc_u32 s3, s7, s3
	v_add_co_u32 v2, s6, s6, v0
	s_delay_alu instid0(VALU_DEP_1)
	v_add_co_ci_u32_e64 v3, null, s3, 0, s6
	v_cndmask_b32_e64 v8, 0, 1, vcc_lo
	s_set_inst_prefetch_distance 0x1
	s_branch .LBB205_14
	.p2align	6
.LBB205_13:                             ;   in Loop: Header=BB205_14 Depth=1
	s_or_b32 exec_lo, exec_lo, s3
	s_add_i32 s0, s0, 1
	s_delay_alu instid0(SALU_CYCLE_1)
	s_cmp_lt_i32 s0, s1
	s_cbranch_scc0 .LBB205_16
.LBB205_14:                             ; =>This Inner Loop Header: Depth=1
	s_delay_alu instid0(VALU_DEP_1) | instskip(SKIP_1) | instid1(VALU_DEP_1)
	v_add_nc_u32_e32 v4, s0, v8
	s_mov_b32 s3, exec_lo
	v_cmpx_gt_i32_e64 s1, v4
	s_cbranch_execz .LBB205_13
; %bb.15:                               ;   in Loop: Header=BB205_14 Depth=1
	v_ashrrev_i32_e32 v5, 31, v4
	s_delay_alu instid0(VALU_DEP_1) | instskip(NEXT) | instid1(VALU_DEP_1)
	v_lshlrev_b64 v[4:5], 2, v[4:5]
	v_add_co_u32 v4, vcc_lo, s4, v4
	s_delay_alu instid0(VALU_DEP_2) | instskip(SKIP_3) | instid1(VALU_DEP_1)
	v_add_co_ci_u32_e32 v5, vcc_lo, s5, v5, vcc_lo
	global_load_b32 v4, v[4:5], off
	s_waitcnt vmcnt(0)
	v_subrev_nc_u32_e32 v9, s10, v4
	v_mad_u64_u32 v[4:5], null, v9, 30, v[1:2]
	s_delay_alu instid0(VALU_DEP_1) | instskip(SKIP_1) | instid1(VALU_DEP_2)
	v_ashrrev_i32_e32 v5, 31, v4
	v_add_co_u32 v4, vcc_lo, s12, v4
	v_add_co_ci_u32_e32 v5, vcc_lo, s13, v5, vcc_lo
	global_load_i8 v9, v[2:3], off
	global_load_i8 v4, v[4:5], off
	v_add_co_u32 v2, vcc_lo, 0x384, v2
	v_add_co_ci_u32_e32 v3, vcc_lo, 0, v3, vcc_lo
	s_waitcnt vmcnt(0)
	v_mad_i32_i24 v6, v4, v9, v6
	s_branch .LBB205_13
.LBB205_16:
	s_set_inst_prefetch_distance 0x2
	v_lshlrev_b32_e32 v1, 2, v0
	s_and_b32 vcc_lo, exec_lo, s15
	ds_store_b32 v1, v6
	s_waitcnt lgkmcnt(0)
	s_barrier
	buffer_gl0_inv
	s_cbranch_vccz .LBB205_28
; %bb.17:
	s_mov_b32 s0, exec_lo
	v_cmpx_gt_u16_e32 14, v7
	s_cbranch_execz .LBB205_19
; %bb.18:
	ds_load_2addr_b32 v[2:3], v1 offset1:16
	s_waitcnt lgkmcnt(0)
	v_add_nc_u32_e32 v2, v2, v3
	ds_store_b32 v1, v2
.LBB205_19:
	s_or_b32 exec_lo, exec_lo, s0
	s_delay_alu instid0(SALU_CYCLE_1)
	s_mov_b32 s0, exec_lo
	s_waitcnt lgkmcnt(0)
	s_barrier
	buffer_gl0_inv
	v_cmpx_gt_u16_e32 8, v7
	s_cbranch_execz .LBB205_21
; %bb.20:
	ds_load_2addr_b32 v[2:3], v1 offset1:8
	s_waitcnt lgkmcnt(0)
	v_add_nc_u32_e32 v2, v2, v3
	ds_store_b32 v1, v2
.LBB205_21:
	s_or_b32 exec_lo, exec_lo, s0
	s_delay_alu instid0(SALU_CYCLE_1)
	s_mov_b32 s0, exec_lo
	s_waitcnt lgkmcnt(0)
	s_barrier
	buffer_gl0_inv
	v_cmpx_gt_u16_e32 4, v7
	s_cbranch_execz .LBB205_23
; %bb.22:
	ds_load_2addr_b32 v[2:3], v1 offset1:4
	s_waitcnt lgkmcnt(0)
	v_add_nc_u32_e32 v2, v2, v3
	ds_store_b32 v1, v2
.LBB205_23:
	s_or_b32 exec_lo, exec_lo, s0
	s_delay_alu instid0(SALU_CYCLE_1)
	s_mov_b32 s0, exec_lo
	s_waitcnt lgkmcnt(0)
	s_barrier
	buffer_gl0_inv
	v_cmpx_gt_u16_e32 2, v7
	s_cbranch_execz .LBB205_25
; %bb.24:
	ds_load_2addr_b32 v[2:3], v1 offset1:2
	s_waitcnt lgkmcnt(0)
	v_add_nc_u32_e32 v2, v2, v3
	ds_store_b32 v1, v2
.LBB205_25:
	s_or_b32 exec_lo, exec_lo, s0
	s_mov_b32 s1, 0
	s_mov_b32 s0, 0
	s_mov_b32 s3, exec_lo
	s_waitcnt lgkmcnt(0)
	s_barrier
	buffer_gl0_inv
                                        ; implicit-def: $vgpr2
                                        ; implicit-def: $vgpr3
	v_cmpx_gt_u32_e32 30, v0
	s_xor_b32 s3, exec_lo, s3
; %bb.26:
	v_mul_u32_u24_e32 v3, 30, v0
	s_mov_b32 s0, exec_lo
	s_delay_alu instid0(VALU_DEP_1)
	v_or_b32_e32 v2, 1, v3
	v_lshlrev_b32_e32 v3, 2, v3
; %bb.27:
	s_or_b32 exec_lo, exec_lo, s3
	s_delay_alu instid0(SALU_CYCLE_1)
	s_and_b32 vcc_lo, exec_lo, s1
	s_cbranch_vccnz .LBB205_29
	s_branch .LBB205_40
.LBB205_28:
	s_mov_b32 s0, 0
                                        ; implicit-def: $vgpr2
                                        ; implicit-def: $vgpr3
	s_cbranch_execz .LBB205_40
.LBB205_29:
	s_mov_b32 s1, exec_lo
	v_cmpx_gt_u32_e32 0x1a4, v0
	s_cbranch_execz .LBB205_31
; %bb.30:
	ds_load_b32 v2, v1 offset:1920
	ds_load_b32 v3, v1
	s_waitcnt lgkmcnt(0)
	v_add_nc_u32_e32 v2, v3, v2
	ds_store_b32 v1, v2
.LBB205_31:
	s_or_b32 exec_lo, exec_lo, s1
	s_delay_alu instid0(SALU_CYCLE_1)
	s_mov_b32 s1, exec_lo
	s_waitcnt lgkmcnt(0)
	s_barrier
	buffer_gl0_inv
	v_cmpx_gt_u32_e32 0xf0, v0
	s_cbranch_execz .LBB205_33
; %bb.32:
	ds_load_2addr_b32 v[2:3], v1 offset1:240
	s_waitcnt lgkmcnt(0)
	v_add_nc_u32_e32 v2, v2, v3
	ds_store_b32 v1, v2
.LBB205_33:
	s_or_b32 exec_lo, exec_lo, s1
	s_delay_alu instid0(SALU_CYCLE_1)
	s_mov_b32 s1, exec_lo
	s_waitcnt lgkmcnt(0)
	s_barrier
	buffer_gl0_inv
	v_cmpx_gt_u32_e32 0x78, v0
	s_cbranch_execz .LBB205_35
; %bb.34:
	ds_load_2addr_b32 v[2:3], v1 offset1:120
	s_waitcnt lgkmcnt(0)
	v_add_nc_u32_e32 v2, v2, v3
	ds_store_b32 v1, v2
.LBB205_35:
	;; [unrolled: 14-line block ×3, first 2 shown]
	s_or_b32 exec_lo, exec_lo, s1
	s_delay_alu instid0(SALU_CYCLE_1)
	s_mov_b32 s1, exec_lo
	s_waitcnt lgkmcnt(0)
	buffer_gl0_inv
                                        ; implicit-def: $vgpr2
	v_cmpx_gt_u32_e32 30, v0
; %bb.38:
	v_add_nc_u32_e32 v2, 30, v0
	s_or_b32 s0, s0, exec_lo
                                        ; implicit-def: $vgpr6
; %bb.39:
	s_or_b32 exec_lo, exec_lo, s1
	v_mov_b32_e32 v3, v1
.LBB205_40:
	s_and_saveexec_b32 s1, s0
	s_cbranch_execz .LBB205_42
; %bb.41:
	v_lshlrev_b32_e32 v1, 2, v2
	ds_load_b32 v2, v3
	ds_load_b32 v1, v1
	s_waitcnt lgkmcnt(0)
	v_add_nc_u32_e32 v6, v1, v2
.LBB205_42:
	s_or_b32 exec_lo, exec_lo, s1
	s_delay_alu instid0(SALU_CYCLE_1)
	s_mov_b32 s0, exec_lo
	v_cmpx_gt_u32_e32 30, v0
	s_cbranch_execz .LBB205_46
; %bb.43:
	v_mul_lo_u32 v1, v6, s11
	s_cmp_eq_u32 s14, 0
	s_mov_b32 s0, 0
	s_cbranch_scc1 .LBB205_47
; %bb.44:
	s_delay_alu instid0(VALU_DEP_1) | instskip(SKIP_1) | instid1(VALU_DEP_1)
	v_mad_u64_u32 v[2:3], null, s2, 30, v[0:1]
	v_mov_b32_e32 v3, 0
	v_lshlrev_b64 v[2:3], 2, v[2:3]
	s_delay_alu instid0(VALU_DEP_1) | instskip(NEXT) | instid1(VALU_DEP_2)
	v_add_co_u32 v2, vcc_lo, s8, v2
	v_add_co_ci_u32_e32 v3, vcc_lo, s9, v3, vcc_lo
	global_load_b32 v6, v[2:3], off
	s_waitcnt vmcnt(0)
	v_mad_u64_u32 v[4:5], null, v6, s14, v[1:2]
	global_store_b32 v[2:3], v4, off
	s_and_not1_b32 vcc_lo, exec_lo, s0
	s_cbranch_vccnz .LBB205_46
.LBB205_45:
	s_delay_alu instid0(VALU_DEP_1) | instskip(SKIP_1) | instid1(VALU_DEP_1)
	v_mad_u64_u32 v[2:3], null, s2, 30, v[0:1]
	v_mov_b32_e32 v3, 0
	v_lshlrev_b64 v[2:3], 2, v[2:3]
	s_delay_alu instid0(VALU_DEP_1) | instskip(NEXT) | instid1(VALU_DEP_2)
	v_add_co_u32 v2, vcc_lo, s8, v2
	v_add_co_ci_u32_e32 v3, vcc_lo, s9, v3, vcc_lo
	global_store_b32 v[2:3], v1, off
.LBB205_46:
	s_nop 0
	s_sendmsg sendmsg(MSG_DEALLOC_VGPRS)
	s_endpgm
.LBB205_47:
	s_branch .LBB205_45
	.section	.rodata,"a",@progbits
	.p2align	6, 0x0
	.amdhsa_kernel _ZN9rocsparseL20bsrxmvn_17_32_kernelILj30EiiiaaiEEvT2_20rocsparse_direction_NS_24const_host_device_scalarIT0_EES1_PKS1_PKT1_SA_S7_PKT3_PKT4_S5_PT5_21rocsparse_index_base_b
		.amdhsa_group_segment_fixed_size 3600
		.amdhsa_private_segment_fixed_size 0
		.amdhsa_kernarg_size 96
		.amdhsa_user_sgpr_count 15
		.amdhsa_user_sgpr_dispatch_ptr 0
		.amdhsa_user_sgpr_queue_ptr 0
		.amdhsa_user_sgpr_kernarg_segment_ptr 1
		.amdhsa_user_sgpr_dispatch_id 0
		.amdhsa_user_sgpr_private_segment_size 0
		.amdhsa_wavefront_size32 1
		.amdhsa_uses_dynamic_stack 0
		.amdhsa_enable_private_segment 0
		.amdhsa_system_sgpr_workgroup_id_x 1
		.amdhsa_system_sgpr_workgroup_id_y 0
		.amdhsa_system_sgpr_workgroup_id_z 0
		.amdhsa_system_sgpr_workgroup_info 0
		.amdhsa_system_vgpr_workitem_id 0
		.amdhsa_next_free_vgpr 10
		.amdhsa_next_free_sgpr 17
		.amdhsa_reserve_vcc 1
		.amdhsa_float_round_mode_32 0
		.amdhsa_float_round_mode_16_64 0
		.amdhsa_float_denorm_mode_32 3
		.amdhsa_float_denorm_mode_16_64 3
		.amdhsa_dx10_clamp 1
		.amdhsa_ieee_mode 1
		.amdhsa_fp16_overflow 0
		.amdhsa_workgroup_processor_mode 1
		.amdhsa_memory_ordered 1
		.amdhsa_forward_progress 0
		.amdhsa_shared_vgpr_count 0
		.amdhsa_exception_fp_ieee_invalid_op 0
		.amdhsa_exception_fp_denorm_src 0
		.amdhsa_exception_fp_ieee_div_zero 0
		.amdhsa_exception_fp_ieee_overflow 0
		.amdhsa_exception_fp_ieee_underflow 0
		.amdhsa_exception_fp_ieee_inexact 0
		.amdhsa_exception_int_div_zero 0
	.end_amdhsa_kernel
	.section	.text._ZN9rocsparseL20bsrxmvn_17_32_kernelILj30EiiiaaiEEvT2_20rocsparse_direction_NS_24const_host_device_scalarIT0_EES1_PKS1_PKT1_SA_S7_PKT3_PKT4_S5_PT5_21rocsparse_index_base_b,"axG",@progbits,_ZN9rocsparseL20bsrxmvn_17_32_kernelILj30EiiiaaiEEvT2_20rocsparse_direction_NS_24const_host_device_scalarIT0_EES1_PKS1_PKT1_SA_S7_PKT3_PKT4_S5_PT5_21rocsparse_index_base_b,comdat
.Lfunc_end205:
	.size	_ZN9rocsparseL20bsrxmvn_17_32_kernelILj30EiiiaaiEEvT2_20rocsparse_direction_NS_24const_host_device_scalarIT0_EES1_PKS1_PKT1_SA_S7_PKT3_PKT4_S5_PT5_21rocsparse_index_base_b, .Lfunc_end205-_ZN9rocsparseL20bsrxmvn_17_32_kernelILj30EiiiaaiEEvT2_20rocsparse_direction_NS_24const_host_device_scalarIT0_EES1_PKS1_PKT1_SA_S7_PKT3_PKT4_S5_PT5_21rocsparse_index_base_b
                                        ; -- End function
	.section	.AMDGPU.csdata,"",@progbits
; Kernel info:
; codeLenInByte = 1564
; NumSgprs: 19
; NumVgprs: 10
; ScratchSize: 0
; MemoryBound: 0
; FloatMode: 240
; IeeeMode: 1
; LDSByteSize: 3600 bytes/workgroup (compile time only)
; SGPRBlocks: 2
; VGPRBlocks: 1
; NumSGPRsForWavesPerEU: 19
; NumVGPRsForWavesPerEU: 10
; Occupancy: 15
; WaveLimiterHint : 1
; COMPUTE_PGM_RSRC2:SCRATCH_EN: 0
; COMPUTE_PGM_RSRC2:USER_SGPR: 15
; COMPUTE_PGM_RSRC2:TRAP_HANDLER: 0
; COMPUTE_PGM_RSRC2:TGID_X_EN: 1
; COMPUTE_PGM_RSRC2:TGID_Y_EN: 0
; COMPUTE_PGM_RSRC2:TGID_Z_EN: 0
; COMPUTE_PGM_RSRC2:TIDIG_COMP_CNT: 0
	.section	.text._ZN9rocsparseL20bsrxmvn_17_32_kernelILj31EiiiaaiEEvT2_20rocsparse_direction_NS_24const_host_device_scalarIT0_EES1_PKS1_PKT1_SA_S7_PKT3_PKT4_S5_PT5_21rocsparse_index_base_b,"axG",@progbits,_ZN9rocsparseL20bsrxmvn_17_32_kernelILj31EiiiaaiEEvT2_20rocsparse_direction_NS_24const_host_device_scalarIT0_EES1_PKS1_PKT1_SA_S7_PKT3_PKT4_S5_PT5_21rocsparse_index_base_b,comdat
	.globl	_ZN9rocsparseL20bsrxmvn_17_32_kernelILj31EiiiaaiEEvT2_20rocsparse_direction_NS_24const_host_device_scalarIT0_EES1_PKS1_PKT1_SA_S7_PKT3_PKT4_S5_PT5_21rocsparse_index_base_b ; -- Begin function _ZN9rocsparseL20bsrxmvn_17_32_kernelILj31EiiiaaiEEvT2_20rocsparse_direction_NS_24const_host_device_scalarIT0_EES1_PKS1_PKT1_SA_S7_PKT3_PKT4_S5_PT5_21rocsparse_index_base_b
	.p2align	8
	.type	_ZN9rocsparseL20bsrxmvn_17_32_kernelILj31EiiiaaiEEvT2_20rocsparse_direction_NS_24const_host_device_scalarIT0_EES1_PKS1_PKT1_SA_S7_PKT3_PKT4_S5_PT5_21rocsparse_index_base_b,@function
_ZN9rocsparseL20bsrxmvn_17_32_kernelILj31EiiiaaiEEvT2_20rocsparse_direction_NS_24const_host_device_scalarIT0_EES1_PKS1_PKT1_SA_S7_PKT3_PKT4_S5_PT5_21rocsparse_index_base_b: ; @_ZN9rocsparseL20bsrxmvn_17_32_kernelILj31EiiiaaiEEvT2_20rocsparse_direction_NS_24const_host_device_scalarIT0_EES1_PKS1_PKT1_SA_S7_PKT3_PKT4_S5_PT5_21rocsparse_index_base_b
; %bb.0:
	s_clause 0x1
	s_load_b64 s[10:11], s[0:1], 0x58
	s_load_b64 s[6:7], s[0:1], 0x8
	s_mov_b32 s2, s15
	s_mov_b32 s8, -1
	s_waitcnt lgkmcnt(0)
	s_bitcmp1_b32 s11, 0
                                        ; implicit-def: $sgpr11
	s_cselect_b32 s3, -1, 0
	s_delay_alu instid0(SALU_CYCLE_1) | instskip(NEXT) | instid1(SALU_CYCLE_1)
	s_xor_b32 s3, s3, -1
	s_and_b32 vcc_lo, exec_lo, s3
	s_cbranch_vccnz .LBB206_4
; %bb.1:
	s_load_b64 s[4:5], s[0:1], 0x48
	s_and_not1_b32 vcc_lo, exec_lo, s8
	s_cbranch_vccz .LBB206_5
.LBB206_2:
	s_and_b32 vcc_lo, exec_lo, s3
	s_cbranch_vccz .LBB206_6
.LBB206_3:
	s_waitcnt lgkmcnt(0)
	s_load_b32 s14, s[4:5], 0x0
	s_cbranch_execz .LBB206_7
	s_branch .LBB206_8
.LBB206_4:
	s_load_b32 s11, s[6:7], 0x0
	s_load_b64 s[4:5], s[0:1], 0x48
	s_cbranch_execnz .LBB206_2
.LBB206_5:
	s_waitcnt lgkmcnt(0)
	s_mov_b32 s11, s6
	s_and_b32 vcc_lo, exec_lo, s3
	s_cbranch_vccnz .LBB206_3
.LBB206_6:
                                        ; implicit-def: $sgpr14
.LBB206_7:
	s_waitcnt lgkmcnt(0)
	s_mov_b32 s14, s4
.LBB206_8:
	s_waitcnt lgkmcnt(0)
	s_cmp_lg_u32 s11, 0
	s_cselect_b32 s3, -1, 0
	s_cmp_lg_u32 s14, 1
	s_cselect_b32 s4, -1, 0
	s_delay_alu instid0(SALU_CYCLE_1) | instskip(NEXT) | instid1(SALU_CYCLE_1)
	s_or_b32 s3, s3, s4
	s_and_not1_b32 vcc_lo, exec_lo, s3
	s_cbranch_vccnz .LBB206_46
; %bb.9:
	s_clause 0x1
	s_load_b128 s[4:7], s[0:1], 0x18
	s_load_b64 s[8:9], s[0:1], 0x28
	s_waitcnt lgkmcnt(0)
	s_cmp_eq_u64 s[4:5], 0
	s_cbranch_scc1 .LBB206_11
; %bb.10:
	s_ashr_i32 s3, s2, 31
	s_delay_alu instid0(SALU_CYCLE_1) | instskip(NEXT) | instid1(SALU_CYCLE_1)
	s_lshl_b64 s[2:3], s[2:3], 2
	s_add_u32 s2, s4, s2
	s_addc_u32 s3, s5, s3
	s_load_b32 s2, s[2:3], 0x0
	s_waitcnt lgkmcnt(0)
	s_sub_i32 s2, s2, s10
.LBB206_11:
	s_load_b32 s3, s[0:1], 0x4
	v_mul_u32_u24_e32 v1, 0x843, v0
	v_mov_b32_e32 v6, 0
	s_delay_alu instid0(VALU_DEP_2) | instskip(NEXT) | instid1(VALU_DEP_1)
	v_lshrrev_b32_e32 v1, 16, v1
	v_mul_lo_u16 v2, v1, 31
	s_delay_alu instid0(VALU_DEP_1)
	v_sub_nc_u16 v7, v0, v2
	s_waitcnt lgkmcnt(0)
	s_cmp_eq_u32 s3, 1
	s_cselect_b32 vcc_lo, -1, 0
	s_cmp_lg_u32 s3, 1
	s_cselect_b32 s15, -1, 0
	s_ashr_i32 s3, s2, 31
	s_delay_alu instid0(SALU_CYCLE_1) | instskip(NEXT) | instid1(SALU_CYCLE_1)
	s_lshl_b64 s[4:5], s[2:3], 2
	s_add_u32 s6, s6, s4
	s_addc_u32 s7, s7, s5
	s_add_u32 s3, s6, 4
	s_addc_u32 s12, s7, 0
	;; [unrolled: 2-line block ×3, first 2 shown]
	s_cmp_eq_u64 s[8:9], 0
	s_load_b64 s[8:9], s[0:1], 0x50
	s_cselect_b32 s5, s12, s5
	s_cselect_b32 s4, s3, s4
	s_load_b32 s3, s[6:7], 0x0
	s_load_b32 s16, s[4:5], 0x0
	s_waitcnt lgkmcnt(0)
	s_cmp_ge_i32 s3, s16
	s_cbranch_scc1 .LBB206_16
; %bb.12:
	s_clause 0x1
	s_load_b128 s[4:7], s[0:1], 0x30
	s_load_b64 s[12:13], s[0:1], 0x40
	v_dual_mov_b32 v6, 0 :: v_dual_and_b32 v1, 0xffff, v1
	v_cmp_gt_u32_e64 s0, 0x3c1, v0
	v_and_b32_e32 v3, 0xffff, v7
	s_sub_i32 s1, s16, s10
	s_delay_alu instid0(VALU_DEP_3) | instskip(NEXT) | instid1(VALU_DEP_1)
	v_subrev_nc_u32_e32 v2, 31, v1
	v_cndmask_b32_e64 v1, v2, v1, s0
	s_sub_i32 s0, s3, s10
	s_delay_alu instid0(SALU_CYCLE_1) | instskip(SKIP_1) | instid1(VALU_DEP_1)
	s_mul_i32 s16, s0, 0x3c1
	s_mul_hi_i32 s3, s0, 0x3c1
	v_cndmask_b32_e32 v1, v3, v1, vcc_lo
	v_cmp_lt_u32_e32 vcc_lo, 0x3c0, v0
	s_waitcnt lgkmcnt(0)
	s_add_u32 s6, s6, s16
	s_addc_u32 s3, s7, s3
	v_add_co_u32 v2, s6, s6, v0
	s_delay_alu instid0(VALU_DEP_1)
	v_add_co_ci_u32_e64 v3, null, s3, 0, s6
	v_cndmask_b32_e64 v8, 0, 1, vcc_lo
	s_set_inst_prefetch_distance 0x1
	s_branch .LBB206_14
	.p2align	6
.LBB206_13:                             ;   in Loop: Header=BB206_14 Depth=1
	s_or_b32 exec_lo, exec_lo, s3
	s_add_i32 s0, s0, 1
	s_delay_alu instid0(SALU_CYCLE_1)
	s_cmp_lt_i32 s0, s1
	s_cbranch_scc0 .LBB206_16
.LBB206_14:                             ; =>This Inner Loop Header: Depth=1
	s_delay_alu instid0(VALU_DEP_1) | instskip(SKIP_1) | instid1(VALU_DEP_1)
	v_add_nc_u32_e32 v4, s0, v8
	s_mov_b32 s3, exec_lo
	v_cmpx_gt_i32_e64 s1, v4
	s_cbranch_execz .LBB206_13
; %bb.15:                               ;   in Loop: Header=BB206_14 Depth=1
	v_ashrrev_i32_e32 v5, 31, v4
	s_delay_alu instid0(VALU_DEP_1) | instskip(NEXT) | instid1(VALU_DEP_1)
	v_lshlrev_b64 v[4:5], 2, v[4:5]
	v_add_co_u32 v4, vcc_lo, s4, v4
	s_delay_alu instid0(VALU_DEP_2) | instskip(SKIP_3) | instid1(VALU_DEP_1)
	v_add_co_ci_u32_e32 v5, vcc_lo, s5, v5, vcc_lo
	global_load_b32 v4, v[4:5], off
	s_waitcnt vmcnt(0)
	v_subrev_nc_u32_e32 v9, s10, v4
	v_mad_u64_u32 v[4:5], null, v9, 31, v[1:2]
	s_delay_alu instid0(VALU_DEP_1) | instskip(SKIP_1) | instid1(VALU_DEP_2)
	v_ashrrev_i32_e32 v5, 31, v4
	v_add_co_u32 v4, vcc_lo, s12, v4
	v_add_co_ci_u32_e32 v5, vcc_lo, s13, v5, vcc_lo
	global_load_i8 v9, v[2:3], off
	global_load_i8 v4, v[4:5], off
	v_add_co_u32 v2, vcc_lo, 0x3c1, v2
	v_add_co_ci_u32_e32 v3, vcc_lo, 0, v3, vcc_lo
	s_waitcnt vmcnt(0)
	v_mad_i32_i24 v6, v4, v9, v6
	s_branch .LBB206_13
.LBB206_16:
	s_set_inst_prefetch_distance 0x2
	v_lshlrev_b32_e32 v1, 2, v0
	s_and_b32 vcc_lo, exec_lo, s15
	ds_store_b32 v1, v6
	s_waitcnt lgkmcnt(0)
	s_barrier
	buffer_gl0_inv
	s_cbranch_vccz .LBB206_28
; %bb.17:
	s_mov_b32 s0, exec_lo
	v_cmpx_gt_u16_e32 15, v7
	s_cbranch_execz .LBB206_19
; %bb.18:
	ds_load_2addr_b32 v[2:3], v1 offset1:16
	s_waitcnt lgkmcnt(0)
	v_add_nc_u32_e32 v2, v2, v3
	ds_store_b32 v1, v2
.LBB206_19:
	s_or_b32 exec_lo, exec_lo, s0
	s_delay_alu instid0(SALU_CYCLE_1)
	s_mov_b32 s0, exec_lo
	s_waitcnt lgkmcnt(0)
	s_barrier
	buffer_gl0_inv
	v_cmpx_gt_u16_e32 8, v7
	s_cbranch_execz .LBB206_21
; %bb.20:
	ds_load_2addr_b32 v[2:3], v1 offset1:8
	s_waitcnt lgkmcnt(0)
	v_add_nc_u32_e32 v2, v2, v3
	ds_store_b32 v1, v2
.LBB206_21:
	s_or_b32 exec_lo, exec_lo, s0
	s_delay_alu instid0(SALU_CYCLE_1)
	s_mov_b32 s0, exec_lo
	s_waitcnt lgkmcnt(0)
	s_barrier
	buffer_gl0_inv
	;; [unrolled: 14-line block ×3, first 2 shown]
	v_cmpx_gt_u16_e32 2, v7
	s_cbranch_execz .LBB206_25
; %bb.24:
	ds_load_2addr_b32 v[2:3], v1 offset1:2
	s_waitcnt lgkmcnt(0)
	v_add_nc_u32_e32 v2, v2, v3
	ds_store_b32 v1, v2
.LBB206_25:
	s_or_b32 exec_lo, exec_lo, s0
	s_mov_b32 s1, 0
	s_mov_b32 s0, 0
	s_mov_b32 s3, exec_lo
	s_waitcnt lgkmcnt(0)
	s_barrier
	buffer_gl0_inv
                                        ; implicit-def: $vgpr2
                                        ; implicit-def: $vgpr3
	v_cmpx_gt_u32_e32 31, v0
	s_xor_b32 s3, exec_lo, s3
; %bb.26:
	v_mul_u32_u24_e32 v3, 31, v0
	v_mad_u32_u24 v2, v0, 31, 1
	s_mov_b32 s0, exec_lo
	s_delay_alu instid0(VALU_DEP_2)
	v_lshlrev_b32_e32 v3, 2, v3
; %bb.27:
	s_or_b32 exec_lo, exec_lo, s3
	s_delay_alu instid0(SALU_CYCLE_1)
	s_and_b32 vcc_lo, exec_lo, s1
	s_cbranch_vccnz .LBB206_29
	s_branch .LBB206_40
.LBB206_28:
	s_mov_b32 s0, 0
                                        ; implicit-def: $vgpr2
                                        ; implicit-def: $vgpr3
	s_cbranch_execz .LBB206_40
.LBB206_29:
	s_mov_b32 s1, exec_lo
	v_cmpx_gt_u32_e32 0x1d1, v0
	s_cbranch_execz .LBB206_31
; %bb.30:
	ds_load_b32 v2, v1 offset:1984
	ds_load_b32 v3, v1
	s_waitcnt lgkmcnt(0)
	v_add_nc_u32_e32 v2, v3, v2
	ds_store_b32 v1, v2
.LBB206_31:
	s_or_b32 exec_lo, exec_lo, s1
	s_delay_alu instid0(SALU_CYCLE_1)
	s_mov_b32 s1, exec_lo
	s_waitcnt lgkmcnt(0)
	s_barrier
	buffer_gl0_inv
	v_cmpx_gt_u32_e32 0xf8, v0
	s_cbranch_execz .LBB206_33
; %bb.32:
	ds_load_2addr_b32 v[2:3], v1 offset1:248
	s_waitcnt lgkmcnt(0)
	v_add_nc_u32_e32 v2, v2, v3
	ds_store_b32 v1, v2
.LBB206_33:
	s_or_b32 exec_lo, exec_lo, s1
	s_delay_alu instid0(SALU_CYCLE_1)
	s_mov_b32 s1, exec_lo
	s_waitcnt lgkmcnt(0)
	s_barrier
	buffer_gl0_inv
	v_cmpx_gt_u32_e32 0x7c, v0
	s_cbranch_execz .LBB206_35
; %bb.34:
	ds_load_2addr_b32 v[2:3], v1 offset1:124
	s_waitcnt lgkmcnt(0)
	v_add_nc_u32_e32 v2, v2, v3
	ds_store_b32 v1, v2
.LBB206_35:
	;; [unrolled: 14-line block ×3, first 2 shown]
	s_or_b32 exec_lo, exec_lo, s1
	s_delay_alu instid0(SALU_CYCLE_1)
	s_mov_b32 s1, exec_lo
	s_waitcnt lgkmcnt(0)
	buffer_gl0_inv
                                        ; implicit-def: $vgpr2
	v_cmpx_gt_u32_e32 31, v0
; %bb.38:
	v_add_nc_u32_e32 v2, 31, v0
	s_or_b32 s0, s0, exec_lo
                                        ; implicit-def: $vgpr6
; %bb.39:
	s_or_b32 exec_lo, exec_lo, s1
	v_mov_b32_e32 v3, v1
.LBB206_40:
	s_and_saveexec_b32 s1, s0
	s_cbranch_execz .LBB206_42
; %bb.41:
	v_lshlrev_b32_e32 v1, 2, v2
	ds_load_b32 v2, v3
	ds_load_b32 v1, v1
	s_waitcnt lgkmcnt(0)
	v_add_nc_u32_e32 v6, v1, v2
.LBB206_42:
	s_or_b32 exec_lo, exec_lo, s1
	s_delay_alu instid0(SALU_CYCLE_1)
	s_mov_b32 s0, exec_lo
	v_cmpx_gt_u32_e32 31, v0
	s_cbranch_execz .LBB206_46
; %bb.43:
	v_mul_lo_u32 v1, v6, s11
	s_cmp_eq_u32 s14, 0
	s_mov_b32 s0, 0
	s_cbranch_scc1 .LBB206_47
; %bb.44:
	s_delay_alu instid0(VALU_DEP_1) | instskip(SKIP_1) | instid1(VALU_DEP_1)
	v_mad_u64_u32 v[2:3], null, s2, 31, v[0:1]
	v_mov_b32_e32 v3, 0
	v_lshlrev_b64 v[2:3], 2, v[2:3]
	s_delay_alu instid0(VALU_DEP_1) | instskip(NEXT) | instid1(VALU_DEP_2)
	v_add_co_u32 v2, vcc_lo, s8, v2
	v_add_co_ci_u32_e32 v3, vcc_lo, s9, v3, vcc_lo
	global_load_b32 v6, v[2:3], off
	s_waitcnt vmcnt(0)
	v_mad_u64_u32 v[4:5], null, v6, s14, v[1:2]
	global_store_b32 v[2:3], v4, off
	s_and_not1_b32 vcc_lo, exec_lo, s0
	s_cbranch_vccnz .LBB206_46
.LBB206_45:
	s_delay_alu instid0(VALU_DEP_1) | instskip(SKIP_1) | instid1(VALU_DEP_1)
	v_mad_u64_u32 v[2:3], null, s2, 31, v[0:1]
	v_mov_b32_e32 v3, 0
	v_lshlrev_b64 v[2:3], 2, v[2:3]
	s_delay_alu instid0(VALU_DEP_1) | instskip(NEXT) | instid1(VALU_DEP_2)
	v_add_co_u32 v2, vcc_lo, s8, v2
	v_add_co_ci_u32_e32 v3, vcc_lo, s9, v3, vcc_lo
	global_store_b32 v[2:3], v1, off
.LBB206_46:
	s_nop 0
	s_sendmsg sendmsg(MSG_DEALLOC_VGPRS)
	s_endpgm
.LBB206_47:
	s_branch .LBB206_45
	.section	.rodata,"a",@progbits
	.p2align	6, 0x0
	.amdhsa_kernel _ZN9rocsparseL20bsrxmvn_17_32_kernelILj31EiiiaaiEEvT2_20rocsparse_direction_NS_24const_host_device_scalarIT0_EES1_PKS1_PKT1_SA_S7_PKT3_PKT4_S5_PT5_21rocsparse_index_base_b
		.amdhsa_group_segment_fixed_size 3844
		.amdhsa_private_segment_fixed_size 0
		.amdhsa_kernarg_size 96
		.amdhsa_user_sgpr_count 15
		.amdhsa_user_sgpr_dispatch_ptr 0
		.amdhsa_user_sgpr_queue_ptr 0
		.amdhsa_user_sgpr_kernarg_segment_ptr 1
		.amdhsa_user_sgpr_dispatch_id 0
		.amdhsa_user_sgpr_private_segment_size 0
		.amdhsa_wavefront_size32 1
		.amdhsa_uses_dynamic_stack 0
		.amdhsa_enable_private_segment 0
		.amdhsa_system_sgpr_workgroup_id_x 1
		.amdhsa_system_sgpr_workgroup_id_y 0
		.amdhsa_system_sgpr_workgroup_id_z 0
		.amdhsa_system_sgpr_workgroup_info 0
		.amdhsa_system_vgpr_workitem_id 0
		.amdhsa_next_free_vgpr 10
		.amdhsa_next_free_sgpr 17
		.amdhsa_reserve_vcc 1
		.amdhsa_float_round_mode_32 0
		.amdhsa_float_round_mode_16_64 0
		.amdhsa_float_denorm_mode_32 3
		.amdhsa_float_denorm_mode_16_64 3
		.amdhsa_dx10_clamp 1
		.amdhsa_ieee_mode 1
		.amdhsa_fp16_overflow 0
		.amdhsa_workgroup_processor_mode 1
		.amdhsa_memory_ordered 1
		.amdhsa_forward_progress 0
		.amdhsa_shared_vgpr_count 0
		.amdhsa_exception_fp_ieee_invalid_op 0
		.amdhsa_exception_fp_denorm_src 0
		.amdhsa_exception_fp_ieee_div_zero 0
		.amdhsa_exception_fp_ieee_overflow 0
		.amdhsa_exception_fp_ieee_underflow 0
		.amdhsa_exception_fp_ieee_inexact 0
		.amdhsa_exception_int_div_zero 0
	.end_amdhsa_kernel
	.section	.text._ZN9rocsparseL20bsrxmvn_17_32_kernelILj31EiiiaaiEEvT2_20rocsparse_direction_NS_24const_host_device_scalarIT0_EES1_PKS1_PKT1_SA_S7_PKT3_PKT4_S5_PT5_21rocsparse_index_base_b,"axG",@progbits,_ZN9rocsparseL20bsrxmvn_17_32_kernelILj31EiiiaaiEEvT2_20rocsparse_direction_NS_24const_host_device_scalarIT0_EES1_PKS1_PKT1_SA_S7_PKT3_PKT4_S5_PT5_21rocsparse_index_base_b,comdat
.Lfunc_end206:
	.size	_ZN9rocsparseL20bsrxmvn_17_32_kernelILj31EiiiaaiEEvT2_20rocsparse_direction_NS_24const_host_device_scalarIT0_EES1_PKS1_PKT1_SA_S7_PKT3_PKT4_S5_PT5_21rocsparse_index_base_b, .Lfunc_end206-_ZN9rocsparseL20bsrxmvn_17_32_kernelILj31EiiiaaiEEvT2_20rocsparse_direction_NS_24const_host_device_scalarIT0_EES1_PKS1_PKT1_SA_S7_PKT3_PKT4_S5_PT5_21rocsparse_index_base_b
                                        ; -- End function
	.section	.AMDGPU.csdata,"",@progbits
; Kernel info:
; codeLenInByte = 1568
; NumSgprs: 19
; NumVgprs: 10
; ScratchSize: 0
; MemoryBound: 0
; FloatMode: 240
; IeeeMode: 1
; LDSByteSize: 3844 bytes/workgroup (compile time only)
; SGPRBlocks: 2
; VGPRBlocks: 1
; NumSGPRsForWavesPerEU: 19
; NumVGPRsForWavesPerEU: 10
; Occupancy: 16
; WaveLimiterHint : 1
; COMPUTE_PGM_RSRC2:SCRATCH_EN: 0
; COMPUTE_PGM_RSRC2:USER_SGPR: 15
; COMPUTE_PGM_RSRC2:TRAP_HANDLER: 0
; COMPUTE_PGM_RSRC2:TGID_X_EN: 1
; COMPUTE_PGM_RSRC2:TGID_Y_EN: 0
; COMPUTE_PGM_RSRC2:TGID_Z_EN: 0
; COMPUTE_PGM_RSRC2:TIDIG_COMP_CNT: 0
	.section	.text._ZN9rocsparseL20bsrxmvn_17_32_kernelILj32EiiiaaiEEvT2_20rocsparse_direction_NS_24const_host_device_scalarIT0_EES1_PKS1_PKT1_SA_S7_PKT3_PKT4_S5_PT5_21rocsparse_index_base_b,"axG",@progbits,_ZN9rocsparseL20bsrxmvn_17_32_kernelILj32EiiiaaiEEvT2_20rocsparse_direction_NS_24const_host_device_scalarIT0_EES1_PKS1_PKT1_SA_S7_PKT3_PKT4_S5_PT5_21rocsparse_index_base_b,comdat
	.globl	_ZN9rocsparseL20bsrxmvn_17_32_kernelILj32EiiiaaiEEvT2_20rocsparse_direction_NS_24const_host_device_scalarIT0_EES1_PKS1_PKT1_SA_S7_PKT3_PKT4_S5_PT5_21rocsparse_index_base_b ; -- Begin function _ZN9rocsparseL20bsrxmvn_17_32_kernelILj32EiiiaaiEEvT2_20rocsparse_direction_NS_24const_host_device_scalarIT0_EES1_PKS1_PKT1_SA_S7_PKT3_PKT4_S5_PT5_21rocsparse_index_base_b
	.p2align	8
	.type	_ZN9rocsparseL20bsrxmvn_17_32_kernelILj32EiiiaaiEEvT2_20rocsparse_direction_NS_24const_host_device_scalarIT0_EES1_PKS1_PKT1_SA_S7_PKT3_PKT4_S5_PT5_21rocsparse_index_base_b,@function
_ZN9rocsparseL20bsrxmvn_17_32_kernelILj32EiiiaaiEEvT2_20rocsparse_direction_NS_24const_host_device_scalarIT0_EES1_PKS1_PKT1_SA_S7_PKT3_PKT4_S5_PT5_21rocsparse_index_base_b: ; @_ZN9rocsparseL20bsrxmvn_17_32_kernelILj32EiiiaaiEEvT2_20rocsparse_direction_NS_24const_host_device_scalarIT0_EES1_PKS1_PKT1_SA_S7_PKT3_PKT4_S5_PT5_21rocsparse_index_base_b
; %bb.0:
	s_clause 0x1
	s_load_b64 s[8:9], s[0:1], 0x58
	s_load_b64 s[6:7], s[0:1], 0x8
	s_mov_b32 s2, s15
	s_mov_b32 s10, -1
	s_waitcnt lgkmcnt(0)
	s_bitcmp1_b32 s9, 0
                                        ; implicit-def: $sgpr9
	s_cselect_b32 s3, -1, 0
	s_delay_alu instid0(SALU_CYCLE_1) | instskip(NEXT) | instid1(SALU_CYCLE_1)
	s_xor_b32 s3, s3, -1
	s_and_b32 vcc_lo, exec_lo, s3
	s_cbranch_vccnz .LBB207_4
; %bb.1:
	s_load_b64 s[4:5], s[0:1], 0x48
	s_and_not1_b32 vcc_lo, exec_lo, s10
	s_cbranch_vccz .LBB207_5
.LBB207_2:
	s_and_b32 vcc_lo, exec_lo, s3
	s_cbranch_vccz .LBB207_6
.LBB207_3:
	s_waitcnt lgkmcnt(0)
	s_load_b32 s12, s[4:5], 0x0
	s_cbranch_execz .LBB207_7
	s_branch .LBB207_8
.LBB207_4:
	s_load_b32 s9, s[6:7], 0x0
	s_load_b64 s[4:5], s[0:1], 0x48
	s_cbranch_execnz .LBB207_2
.LBB207_5:
	s_waitcnt lgkmcnt(0)
	s_mov_b32 s9, s6
	s_and_b32 vcc_lo, exec_lo, s3
	s_cbranch_vccnz .LBB207_3
.LBB207_6:
                                        ; implicit-def: $sgpr12
.LBB207_7:
	s_waitcnt lgkmcnt(0)
	s_mov_b32 s12, s4
.LBB207_8:
	s_waitcnt lgkmcnt(0)
	s_cmp_lg_u32 s9, 0
	s_cselect_b32 s3, -1, 0
	s_cmp_lg_u32 s12, 1
	s_cselect_b32 s4, -1, 0
	s_delay_alu instid0(SALU_CYCLE_1) | instskip(NEXT) | instid1(SALU_CYCLE_1)
	s_or_b32 s3, s3, s4
	s_and_not1_b32 vcc_lo, exec_lo, s3
	s_cbranch_vccnz .LBB207_44
; %bb.9:
	s_clause 0x1
	s_load_b128 s[4:7], s[0:1], 0x18
	s_load_b64 s[10:11], s[0:1], 0x28
	s_waitcnt lgkmcnt(0)
	s_cmp_eq_u64 s[4:5], 0
	s_cbranch_scc1 .LBB207_11
; %bb.10:
	s_ashr_i32 s3, s2, 31
	s_delay_alu instid0(SALU_CYCLE_1) | instskip(NEXT) | instid1(SALU_CYCLE_1)
	s_lshl_b64 s[2:3], s[2:3], 2
	s_add_u32 s2, s4, s2
	s_addc_u32 s3, s5, s3
	s_load_b32 s2, s[2:3], 0x0
	s_waitcnt lgkmcnt(0)
	s_sub_i32 s2, s2, s8
.LBB207_11:
	s_load_b32 s3, s[0:1], 0x4
	v_dual_mov_b32 v3, 0 :: v_dual_and_b32 v4, 31, v0
	s_waitcnt lgkmcnt(0)
	s_cmp_eq_u32 s3, 1
	s_cselect_b32 vcc_lo, -1, 0
	s_cmp_lg_u32 s3, 1
	s_cselect_b32 s13, -1, 0
	s_ashr_i32 s3, s2, 31
	s_delay_alu instid0(SALU_CYCLE_1) | instskip(NEXT) | instid1(SALU_CYCLE_1)
	s_lshl_b64 s[4:5], s[2:3], 2
	s_add_u32 s6, s6, s4
	s_addc_u32 s7, s7, s5
	s_add_u32 s3, s6, 4
	s_addc_u32 s14, s7, 0
	;; [unrolled: 2-line block ×3, first 2 shown]
	s_cmp_eq_u64 s[10:11], 0
	s_cselect_b32 s5, s14, s5
	s_cselect_b32 s4, s3, s4
	s_load_b32 s6, s[6:7], 0x0
	s_load_b32 s3, s[4:5], 0x0
	s_load_b64 s[4:5], s[0:1], 0x50
	s_waitcnt lgkmcnt(0)
	s_cmp_ge_i32 s6, s3
	s_cbranch_scc1 .LBB207_14
; %bb.12:
	s_clause 0x1
	s_load_b128 s[16:19], s[0:1], 0x30
	s_load_b64 s[0:1], s[0:1], 0x40
	s_sub_i32 s6, s6, s8
	v_lshrrev_b32_e32 v1, 5, v0
	s_ashr_i32 s7, s6, 31
	s_sub_i32 s3, s3, s8
	s_lshl_b64 s[10:11], s[6:7], 10
	s_lshl_b64 s[14:15], s[6:7], 2
	v_or_b32_e32 v2, s10, v0
	v_mov_b32_e32 v3, s11
	v_cndmask_b32_e32 v5, v4, v1, vcc_lo
	s_waitcnt lgkmcnt(0)
	s_delay_alu instid0(VALU_DEP_3) | instskip(NEXT) | instid1(VALU_DEP_3)
	v_add_co_u32 v1, vcc_lo, s18, v2
	v_add_co_ci_u32_e32 v2, vcc_lo, s19, v3, vcc_lo
	v_mov_b32_e32 v3, 0
	s_add_u32 s10, s16, s14
	s_addc_u32 s11, s17, s15
	.p2align	6
.LBB207_13:                             ; =>This Inner Loop Header: Depth=1
	s_load_b32 s7, s[10:11], 0x0
	s_add_i32 s6, s6, 1
	s_waitcnt lgkmcnt(0)
	s_sub_i32 s7, s7, s8
	s_add_u32 s10, s10, 4
	v_lshl_or_b32 v6, s7, 5, v5
	s_addc_u32 s11, s11, 0
	s_cmp_lt_i32 s6, s3
	s_delay_alu instid0(VALU_DEP_1) | instskip(SKIP_1) | instid1(VALU_DEP_2)
	v_ashrrev_i32_e32 v7, 31, v6
	v_add_co_u32 v6, vcc_lo, s0, v6
	v_add_co_ci_u32_e32 v7, vcc_lo, s1, v7, vcc_lo
	global_load_i8 v8, v[1:2], off
	global_load_i8 v6, v[6:7], off
	v_add_co_u32 v1, vcc_lo, 0x400, v1
	v_add_co_ci_u32_e32 v2, vcc_lo, 0, v2, vcc_lo
	s_waitcnt vmcnt(0)
	v_mad_i32_i24 v3, v6, v8, v3
	s_cbranch_scc1 .LBB207_13
.LBB207_14:
	v_lshlrev_b32_e32 v1, 2, v0
	s_and_b32 vcc_lo, exec_lo, s13
	ds_store_b32 v1, v3
	s_waitcnt lgkmcnt(0)
	s_barrier
	buffer_gl0_inv
	s_cbranch_vccz .LBB207_26
; %bb.15:
	s_mov_b32 s0, exec_lo
	v_cmpx_gt_u32_e32 16, v4
	s_cbranch_execz .LBB207_17
; %bb.16:
	ds_load_2addr_b32 v[5:6], v1 offset1:16
	s_waitcnt lgkmcnt(0)
	v_add_nc_u32_e32 v2, v5, v6
	ds_store_b32 v1, v2
.LBB207_17:
	s_or_b32 exec_lo, exec_lo, s0
	s_delay_alu instid0(SALU_CYCLE_1)
	s_mov_b32 s0, exec_lo
	s_waitcnt lgkmcnt(0)
	s_barrier
	buffer_gl0_inv
	v_cmpx_gt_u32_e32 8, v4
	s_cbranch_execz .LBB207_19
; %bb.18:
	ds_load_2addr_b32 v[5:6], v1 offset1:8
	s_waitcnt lgkmcnt(0)
	v_add_nc_u32_e32 v2, v5, v6
	ds_store_b32 v1, v2
.LBB207_19:
	s_or_b32 exec_lo, exec_lo, s0
	s_delay_alu instid0(SALU_CYCLE_1)
	s_mov_b32 s0, exec_lo
	s_waitcnt lgkmcnt(0)
	s_barrier
	buffer_gl0_inv
	;; [unrolled: 14-line block ×3, first 2 shown]
	v_cmpx_gt_u32_e32 2, v4
	s_cbranch_execz .LBB207_23
; %bb.22:
	ds_load_2addr_b32 v[4:5], v1 offset1:2
	s_waitcnt lgkmcnt(0)
	v_add_nc_u32_e32 v2, v4, v5
	ds_store_b32 v1, v2
.LBB207_23:
	s_or_b32 exec_lo, exec_lo, s0
	s_mov_b32 s1, 0
	s_mov_b32 s0, 0
	s_mov_b32 s3, exec_lo
	s_waitcnt lgkmcnt(0)
	s_barrier
	buffer_gl0_inv
                                        ; implicit-def: $vgpr2
                                        ; implicit-def: $vgpr4
	v_cmpx_gt_u32_e32 32, v0
	s_xor_b32 s3, exec_lo, s3
; %bb.24:
	v_lshl_or_b32 v2, v0, 5, 1
	v_lshlrev_b32_e32 v4, 7, v0
	s_mov_b32 s0, exec_lo
; %bb.25:
	s_or_b32 exec_lo, exec_lo, s3
	s_delay_alu instid0(SALU_CYCLE_1)
	s_and_b32 vcc_lo, exec_lo, s1
	s_cbranch_vccnz .LBB207_27
	s_branch .LBB207_38
.LBB207_26:
	s_mov_b32 s0, 0
                                        ; implicit-def: $vgpr2
                                        ; implicit-def: $vgpr4
	s_cbranch_execz .LBB207_38
.LBB207_27:
	s_mov_b32 s1, exec_lo
	v_cmpx_gt_u32_e32 0x200, v0
	s_cbranch_execz .LBB207_29
; %bb.28:
	ds_load_2addr_stride64_b32 v[4:5], v1 offset1:8
	s_waitcnt lgkmcnt(0)
	v_add_nc_u32_e32 v2, v4, v5
	ds_store_b32 v1, v2
.LBB207_29:
	s_or_b32 exec_lo, exec_lo, s1
	s_delay_alu instid0(SALU_CYCLE_1)
	s_mov_b32 s1, exec_lo
	s_waitcnt lgkmcnt(0)
	s_barrier
	buffer_gl0_inv
	v_cmpx_gt_u32_e32 0x100, v0
	s_cbranch_execz .LBB207_31
; %bb.30:
	ds_load_2addr_stride64_b32 v[4:5], v1 offset1:4
	s_waitcnt lgkmcnt(0)
	v_add_nc_u32_e32 v2, v4, v5
	ds_store_b32 v1, v2
.LBB207_31:
	s_or_b32 exec_lo, exec_lo, s1
	s_delay_alu instid0(SALU_CYCLE_1)
	s_mov_b32 s1, exec_lo
	s_waitcnt lgkmcnt(0)
	s_barrier
	buffer_gl0_inv
	;; [unrolled: 14-line block ×3, first 2 shown]
	v_cmpx_gt_u32_e32 64, v0
	s_cbranch_execz .LBB207_35
; %bb.34:
	ds_load_2addr_stride64_b32 v[4:5], v1 offset1:1
	s_waitcnt lgkmcnt(0)
	v_add_nc_u32_e32 v2, v4, v5
	ds_store_b32 v1, v2
.LBB207_35:
	s_or_b32 exec_lo, exec_lo, s1
	s_delay_alu instid0(SALU_CYCLE_1)
	s_mov_b32 s1, exec_lo
	s_waitcnt lgkmcnt(0)
	buffer_gl0_inv
                                        ; implicit-def: $vgpr2
	v_cmpx_gt_u32_e32 32, v0
; %bb.36:
	v_or_b32_e32 v2, 32, v0
	s_or_b32 s0, s0, exec_lo
                                        ; implicit-def: $vgpr3
; %bb.37:
	s_or_b32 exec_lo, exec_lo, s1
	v_mov_b32_e32 v4, v1
.LBB207_38:
	s_and_saveexec_b32 s1, s0
	s_cbranch_execz .LBB207_40
; %bb.39:
	v_lshlrev_b32_e32 v1, 2, v2
	ds_load_b32 v2, v4
	ds_load_b32 v1, v1
	s_waitcnt lgkmcnt(0)
	v_add_nc_u32_e32 v3, v1, v2
.LBB207_40:
	s_or_b32 exec_lo, exec_lo, s1
	s_delay_alu instid0(SALU_CYCLE_1)
	s_mov_b32 s0, exec_lo
	v_cmpx_gt_u32_e32 32, v0
	s_cbranch_execz .LBB207_44
; %bb.41:
	v_mul_lo_u32 v1, v3, s9
	v_lshl_or_b32 v2, s2, 5, v0
	s_cmp_eq_u32 s12, 0
	s_mov_b32 s0, 0
	s_cbranch_scc1 .LBB207_45
; %bb.42:
	v_mov_b32_e32 v3, 0
	s_delay_alu instid0(VALU_DEP_1) | instskip(NEXT) | instid1(VALU_DEP_1)
	v_lshlrev_b64 v[3:4], 2, v[2:3]
	v_add_co_u32 v3, vcc_lo, s4, v3
	s_delay_alu instid0(VALU_DEP_2)
	v_add_co_ci_u32_e32 v4, vcc_lo, s5, v4, vcc_lo
	global_load_b32 v0, v[3:4], off
	s_waitcnt vmcnt(0)
	v_mad_u64_u32 v[5:6], null, v0, s12, v[1:2]
	global_store_b32 v[3:4], v5, off
	s_and_not1_b32 vcc_lo, exec_lo, s0
	s_cbranch_vccnz .LBB207_44
.LBB207_43:
	v_mov_b32_e32 v3, 0
	s_delay_alu instid0(VALU_DEP_1) | instskip(NEXT) | instid1(VALU_DEP_1)
	v_lshlrev_b64 v[2:3], 2, v[2:3]
	v_add_co_u32 v2, vcc_lo, s4, v2
	s_delay_alu instid0(VALU_DEP_2)
	v_add_co_ci_u32_e32 v3, vcc_lo, s5, v3, vcc_lo
	global_store_b32 v[2:3], v1, off
.LBB207_44:
	s_nop 0
	s_sendmsg sendmsg(MSG_DEALLOC_VGPRS)
	s_endpgm
.LBB207_45:
	s_branch .LBB207_43
	.section	.rodata,"a",@progbits
	.p2align	6, 0x0
	.amdhsa_kernel _ZN9rocsparseL20bsrxmvn_17_32_kernelILj32EiiiaaiEEvT2_20rocsparse_direction_NS_24const_host_device_scalarIT0_EES1_PKS1_PKT1_SA_S7_PKT3_PKT4_S5_PT5_21rocsparse_index_base_b
		.amdhsa_group_segment_fixed_size 4096
		.amdhsa_private_segment_fixed_size 0
		.amdhsa_kernarg_size 96
		.amdhsa_user_sgpr_count 15
		.amdhsa_user_sgpr_dispatch_ptr 0
		.amdhsa_user_sgpr_queue_ptr 0
		.amdhsa_user_sgpr_kernarg_segment_ptr 1
		.amdhsa_user_sgpr_dispatch_id 0
		.amdhsa_user_sgpr_private_segment_size 0
		.amdhsa_wavefront_size32 1
		.amdhsa_uses_dynamic_stack 0
		.amdhsa_enable_private_segment 0
		.amdhsa_system_sgpr_workgroup_id_x 1
		.amdhsa_system_sgpr_workgroup_id_y 0
		.amdhsa_system_sgpr_workgroup_id_z 0
		.amdhsa_system_sgpr_workgroup_info 0
		.amdhsa_system_vgpr_workitem_id 0
		.amdhsa_next_free_vgpr 9
		.amdhsa_next_free_sgpr 20
		.amdhsa_reserve_vcc 1
		.amdhsa_float_round_mode_32 0
		.amdhsa_float_round_mode_16_64 0
		.amdhsa_float_denorm_mode_32 3
		.amdhsa_float_denorm_mode_16_64 3
		.amdhsa_dx10_clamp 1
		.amdhsa_ieee_mode 1
		.amdhsa_fp16_overflow 0
		.amdhsa_workgroup_processor_mode 1
		.amdhsa_memory_ordered 1
		.amdhsa_forward_progress 0
		.amdhsa_shared_vgpr_count 0
		.amdhsa_exception_fp_ieee_invalid_op 0
		.amdhsa_exception_fp_denorm_src 0
		.amdhsa_exception_fp_ieee_div_zero 0
		.amdhsa_exception_fp_ieee_overflow 0
		.amdhsa_exception_fp_ieee_underflow 0
		.amdhsa_exception_fp_ieee_inexact 0
		.amdhsa_exception_int_div_zero 0
	.end_amdhsa_kernel
	.section	.text._ZN9rocsparseL20bsrxmvn_17_32_kernelILj32EiiiaaiEEvT2_20rocsparse_direction_NS_24const_host_device_scalarIT0_EES1_PKS1_PKT1_SA_S7_PKT3_PKT4_S5_PT5_21rocsparse_index_base_b,"axG",@progbits,_ZN9rocsparseL20bsrxmvn_17_32_kernelILj32EiiiaaiEEvT2_20rocsparse_direction_NS_24const_host_device_scalarIT0_EES1_PKS1_PKT1_SA_S7_PKT3_PKT4_S5_PT5_21rocsparse_index_base_b,comdat
.Lfunc_end207:
	.size	_ZN9rocsparseL20bsrxmvn_17_32_kernelILj32EiiiaaiEEvT2_20rocsparse_direction_NS_24const_host_device_scalarIT0_EES1_PKS1_PKT1_SA_S7_PKT3_PKT4_S5_PT5_21rocsparse_index_base_b, .Lfunc_end207-_ZN9rocsparseL20bsrxmvn_17_32_kernelILj32EiiiaaiEEvT2_20rocsparse_direction_NS_24const_host_device_scalarIT0_EES1_PKS1_PKT1_SA_S7_PKT3_PKT4_S5_PT5_21rocsparse_index_base_b
                                        ; -- End function
	.section	.AMDGPU.csdata,"",@progbits
; Kernel info:
; codeLenInByte = 1380
; NumSgprs: 22
; NumVgprs: 9
; ScratchSize: 0
; MemoryBound: 0
; FloatMode: 240
; IeeeMode: 1
; LDSByteSize: 4096 bytes/workgroup (compile time only)
; SGPRBlocks: 2
; VGPRBlocks: 1
; NumSGPRsForWavesPerEU: 22
; NumVGPRsForWavesPerEU: 9
; Occupancy: 16
; WaveLimiterHint : 1
; COMPUTE_PGM_RSRC2:SCRATCH_EN: 0
; COMPUTE_PGM_RSRC2:USER_SGPR: 15
; COMPUTE_PGM_RSRC2:TRAP_HANDLER: 0
; COMPUTE_PGM_RSRC2:TGID_X_EN: 1
; COMPUTE_PGM_RSRC2:TGID_Y_EN: 0
; COMPUTE_PGM_RSRC2:TGID_Z_EN: 0
; COMPUTE_PGM_RSRC2:TIDIG_COMP_CNT: 0
	.section	.text._ZN9rocsparseL20bsrxmvn_17_32_kernelILj17EiliaaiEEvT2_20rocsparse_direction_NS_24const_host_device_scalarIT0_EES1_PKS1_PKT1_SA_S7_PKT3_PKT4_S5_PT5_21rocsparse_index_base_b,"axG",@progbits,_ZN9rocsparseL20bsrxmvn_17_32_kernelILj17EiliaaiEEvT2_20rocsparse_direction_NS_24const_host_device_scalarIT0_EES1_PKS1_PKT1_SA_S7_PKT3_PKT4_S5_PT5_21rocsparse_index_base_b,comdat
	.globl	_ZN9rocsparseL20bsrxmvn_17_32_kernelILj17EiliaaiEEvT2_20rocsparse_direction_NS_24const_host_device_scalarIT0_EES1_PKS1_PKT1_SA_S7_PKT3_PKT4_S5_PT5_21rocsparse_index_base_b ; -- Begin function _ZN9rocsparseL20bsrxmvn_17_32_kernelILj17EiliaaiEEvT2_20rocsparse_direction_NS_24const_host_device_scalarIT0_EES1_PKS1_PKT1_SA_S7_PKT3_PKT4_S5_PT5_21rocsparse_index_base_b
	.p2align	8
	.type	_ZN9rocsparseL20bsrxmvn_17_32_kernelILj17EiliaaiEEvT2_20rocsparse_direction_NS_24const_host_device_scalarIT0_EES1_PKS1_PKT1_SA_S7_PKT3_PKT4_S5_PT5_21rocsparse_index_base_b,@function
_ZN9rocsparseL20bsrxmvn_17_32_kernelILj17EiliaaiEEvT2_20rocsparse_direction_NS_24const_host_device_scalarIT0_EES1_PKS1_PKT1_SA_S7_PKT3_PKT4_S5_PT5_21rocsparse_index_base_b: ; @_ZN9rocsparseL20bsrxmvn_17_32_kernelILj17EiliaaiEEvT2_20rocsparse_direction_NS_24const_host_device_scalarIT0_EES1_PKS1_PKT1_SA_S7_PKT3_PKT4_S5_PT5_21rocsparse_index_base_b
; %bb.0:
	s_clause 0x1
	s_load_b64 s[12:13], s[0:1], 0x58
	s_load_b64 s[4:5], s[0:1], 0x8
	s_mov_b32 s8, s15
	s_mov_b32 s7, -1
	s_waitcnt lgkmcnt(0)
	s_bitcmp1_b32 s13, 0
                                        ; implicit-def: $sgpr13
	s_cselect_b32 s2, -1, 0
	s_delay_alu instid0(SALU_CYCLE_1) | instskip(NEXT) | instid1(SALU_CYCLE_1)
	s_xor_b32 s6, s2, -1
	s_and_b32 vcc_lo, exec_lo, s6
	s_cbranch_vccnz .LBB208_4
; %bb.1:
	s_load_b64 s[2:3], s[0:1], 0x48
	s_and_not1_b32 vcc_lo, exec_lo, s7
	s_cbranch_vccz .LBB208_5
.LBB208_2:
	s_and_b32 vcc_lo, exec_lo, s6
	s_cbranch_vccz .LBB208_6
.LBB208_3:
	s_waitcnt lgkmcnt(0)
	s_load_b32 s3, s[2:3], 0x0
	s_cbranch_execz .LBB208_7
	s_branch .LBB208_8
.LBB208_4:
	s_load_b32 s13, s[4:5], 0x0
	s_load_b64 s[2:3], s[0:1], 0x48
	s_cbranch_execnz .LBB208_2
.LBB208_5:
	s_waitcnt lgkmcnt(0)
	s_mov_b32 s13, s4
	s_and_b32 vcc_lo, exec_lo, s6
	s_cbranch_vccnz .LBB208_3
.LBB208_6:
                                        ; implicit-def: $sgpr3
.LBB208_7:
	s_waitcnt lgkmcnt(0)
	s_mov_b32 s3, s2
.LBB208_8:
	s_waitcnt lgkmcnt(0)
	s_cmp_lg_u32 s13, 0
	s_cselect_b32 s2, -1, 0
	s_cmp_lg_u32 s3, 1
	s_cselect_b32 s4, -1, 0
	s_delay_alu instid0(SALU_CYCLE_1) | instskip(NEXT) | instid1(SALU_CYCLE_1)
	s_or_b32 s2, s2, s4
	s_and_not1_b32 vcc_lo, exec_lo, s2
	s_cbranch_vccnz .LBB208_46
; %bb.9:
	s_clause 0x1
	s_load_b128 s[4:7], s[0:1], 0x18
	s_load_b64 s[10:11], s[0:1], 0x28
	s_waitcnt lgkmcnt(0)
	s_cmp_eq_u64 s[4:5], 0
	s_cbranch_scc1 .LBB208_11
; %bb.10:
	s_ashr_i32 s9, s8, 31
	s_delay_alu instid0(SALU_CYCLE_1) | instskip(NEXT) | instid1(SALU_CYCLE_1)
	s_lshl_b64 s[8:9], s[8:9], 2
	s_add_u32 s4, s4, s8
	s_addc_u32 s5, s5, s9
	s_load_b32 s2, s[4:5], 0x0
	s_waitcnt lgkmcnt(0)
	s_sub_i32 s8, s2, s12
.LBB208_11:
	s_load_b32 s4, s[0:1], 0x4
	v_mul_u32_u24_e32 v1, 0xf10, v0
	v_mov_b32_e32 v6, 0
	s_delay_alu instid0(VALU_DEP_2) | instskip(NEXT) | instid1(VALU_DEP_1)
	v_lshrrev_b32_e32 v1, 16, v1
	v_mul_lo_u16 v2, v1, 17
	s_delay_alu instid0(VALU_DEP_1)
	v_sub_nc_u16 v7, v0, v2
	s_waitcnt lgkmcnt(0)
	s_cmp_eq_u32 s4, 1
	s_cselect_b32 s2, -1, 0
	s_cmp_lg_u32 s4, 1
	s_cselect_b32 s20, -1, 0
	s_ashr_i32 s9, s8, 31
	s_delay_alu instid0(SALU_CYCLE_1) | instskip(NEXT) | instid1(SALU_CYCLE_1)
	s_lshl_b64 s[4:5], s[8:9], 3
	s_add_u32 s6, s6, s4
	s_addc_u32 s7, s7, s5
	s_add_u32 s9, s6, 8
	s_addc_u32 s14, s7, 0
	;; [unrolled: 2-line block ×3, first 2 shown]
	s_cmp_eq_u64 s[10:11], 0
	s_load_b64 s[10:11], s[0:1], 0x50
	s_cselect_b32 s5, s14, s5
	s_cselect_b32 s4, s9, s4
	s_load_b64 s[18:19], s[6:7], 0x0
	s_load_b64 s[14:15], s[4:5], 0x0
	s_waitcnt lgkmcnt(0)
	v_cmp_ge_i64_e64 s4, s[18:19], s[14:15]
	s_delay_alu instid0(VALU_DEP_1)
	s_and_b32 vcc_lo, exec_lo, s4
	s_cbranch_vccnz .LBB208_16
; %bb.12:
	v_mul_lo_u16 v2, v1, 31
	v_dual_mov_b32 v6, 0 :: v_dual_and_b32 v3, 0xffff, v0
	s_clause 0x1
	s_load_b128 s[4:7], s[0:1], 0x30
	s_load_b64 s[0:1], s[0:1], 0x40
	s_sub_u32 s14, s14, s12
	v_lshrrev_b16 v2, 9, v2
	v_mul_u32_u24_e32 v3, 0xe3, v3
	s_subb_u32 s15, s15, 0
	s_sub_u32 s16, s18, s12
	v_and_b32_e32 v4, 0xffff, v7
	v_mul_lo_u16 v2, v2, 17
	v_lshrrev_b32_e32 v8, 16, v3
	s_subb_u32 s17, s19, 0
	s_mul_hi_u32 s9, s16, 0x121
	s_mul_i32 s22, s17, 0x121
	v_sub_nc_u16 v1, v1, v2
	v_add_co_u32 v2, s18, s18, v8
	s_delay_alu instid0(VALU_DEP_1) | instskip(NEXT) | instid1(VALU_DEP_3)
	v_add_co_ci_u32_e64 v3, null, s19, 0, s18
	v_and_b32_e32 v1, 0xff, v1
	s_delay_alu instid0(VALU_DEP_3) | instskip(NEXT) | instid1(VALU_DEP_3)
	v_sub_co_u32 v2, vcc_lo, v2, s12
	v_subrev_co_ci_u32_e32 v3, vcc_lo, 0, v3, vcc_lo
	s_delay_alu instid0(VALU_DEP_3) | instskip(SKIP_2) | instid1(VALU_DEP_2)
	v_cndmask_b32_e64 v1, v4, v1, s2
	s_mul_i32 s21, s16, 0x121
	s_add_i32 s9, s9, s22
	v_lshlrev_b64 v[4:5], 2, v[2:3]
	s_waitcnt lgkmcnt(0)
	s_add_u32 s2, s6, s21
	s_addc_u32 s6, s7, s9
	v_add_co_u32 v2, s2, s2, v0
	s_delay_alu instid0(VALU_DEP_1)
	v_add_co_ci_u32_e64 v3, null, s6, 0, s2
	v_add_co_u32 v4, vcc_lo, s4, v4
	v_add_co_ci_u32_e32 v5, vcc_lo, s5, v5, vcc_lo
	s_set_inst_prefetch_distance 0x1
	s_branch .LBB208_14
	.p2align	6
.LBB208_13:                             ;   in Loop: Header=BB208_14 Depth=1
	s_or_b32 exec_lo, exec_lo, s2
	s_add_u32 s16, s16, 1
	s_addc_u32 s17, s17, 0
	v_add_co_u32 v4, vcc_lo, v4, 4
	v_cmp_lt_i64_e64 s2, s[16:17], s[14:15]
	v_add_co_ci_u32_e32 v5, vcc_lo, 0, v5, vcc_lo
	s_delay_alu instid0(VALU_DEP_2)
	s_and_b32 vcc_lo, exec_lo, s2
	s_cbranch_vccz .LBB208_16
.LBB208_14:                             ; =>This Inner Loop Header: Depth=1
	v_add_co_u32 v9, s2, v8, s16
	s_delay_alu instid0(VALU_DEP_1) | instskip(SKIP_1) | instid1(VALU_DEP_1)
	v_add_co_ci_u32_e64 v10, null, 0, s17, s2
	s_mov_b32 s2, exec_lo
	v_cmpx_gt_i64_e64 s[14:15], v[9:10]
	s_cbranch_execz .LBB208_13
; %bb.15:                               ;   in Loop: Header=BB208_14 Depth=1
	global_load_b32 v9, v[4:5], off
	s_waitcnt vmcnt(0)
	v_subrev_nc_u32_e32 v11, s12, v9
	s_delay_alu instid0(VALU_DEP_1) | instskip(NEXT) | instid1(VALU_DEP_1)
	v_mad_u64_u32 v[9:10], null, v11, 17, v[1:2]
	v_ashrrev_i32_e32 v10, 31, v9
	v_add_co_u32 v9, vcc_lo, s0, v9
	s_delay_alu instid0(VALU_DEP_2)
	v_add_co_ci_u32_e32 v10, vcc_lo, s1, v10, vcc_lo
	global_load_i8 v11, v[2:3], off
	global_load_i8 v9, v[9:10], off
	v_add_co_u32 v2, vcc_lo, 0x121, v2
	v_add_co_ci_u32_e32 v3, vcc_lo, 0, v3, vcc_lo
	s_waitcnt vmcnt(0)
	v_mad_i32_i24 v6, v9, v11, v6
	s_branch .LBB208_13
.LBB208_16:
	s_set_inst_prefetch_distance 0x2
	v_lshlrev_b32_e32 v1, 2, v0
	s_and_b32 vcc_lo, exec_lo, s20
	ds_store_b32 v1, v6
	s_waitcnt lgkmcnt(0)
	s_barrier
	buffer_gl0_inv
	s_cbranch_vccz .LBB208_28
; %bb.17:
	s_mov_b32 s0, exec_lo
	v_cmpx_eq_u16_e32 0, v7
	s_cbranch_execz .LBB208_19
; %bb.18:
	ds_load_2addr_b32 v[2:3], v1 offset1:16
	s_waitcnt lgkmcnt(0)
	v_add_nc_u32_e32 v2, v2, v3
	ds_store_b32 v1, v2
.LBB208_19:
	s_or_b32 exec_lo, exec_lo, s0
	s_delay_alu instid0(SALU_CYCLE_1)
	s_mov_b32 s0, exec_lo
	s_waitcnt lgkmcnt(0)
	s_barrier
	buffer_gl0_inv
	v_cmpx_gt_u16_e32 8, v7
	s_cbranch_execz .LBB208_21
; %bb.20:
	ds_load_2addr_b32 v[2:3], v1 offset1:8
	s_waitcnt lgkmcnt(0)
	v_add_nc_u32_e32 v2, v2, v3
	ds_store_b32 v1, v2
.LBB208_21:
	s_or_b32 exec_lo, exec_lo, s0
	s_delay_alu instid0(SALU_CYCLE_1)
	s_mov_b32 s0, exec_lo
	s_waitcnt lgkmcnt(0)
	s_barrier
	buffer_gl0_inv
	v_cmpx_gt_u16_e32 4, v7
	s_cbranch_execz .LBB208_23
; %bb.22:
	ds_load_2addr_b32 v[2:3], v1 offset1:4
	s_waitcnt lgkmcnt(0)
	v_add_nc_u32_e32 v2, v2, v3
	ds_store_b32 v1, v2
.LBB208_23:
	s_or_b32 exec_lo, exec_lo, s0
	s_delay_alu instid0(SALU_CYCLE_1)
	s_mov_b32 s0, exec_lo
	s_waitcnt lgkmcnt(0)
	s_barrier
	buffer_gl0_inv
	v_cmpx_gt_u16_e32 2, v7
	s_cbranch_execz .LBB208_25
; %bb.24:
	ds_load_2addr_b32 v[2:3], v1 offset1:2
	s_waitcnt lgkmcnt(0)
	v_add_nc_u32_e32 v2, v2, v3
	ds_store_b32 v1, v2
.LBB208_25:
	s_or_b32 exec_lo, exec_lo, s0
	s_mov_b32 s0, 0
	s_mov_b32 s1, 0
	s_mov_b32 s2, exec_lo
	s_waitcnt lgkmcnt(0)
	s_barrier
	buffer_gl0_inv
                                        ; implicit-def: $vgpr2
                                        ; implicit-def: $vgpr3
	v_cmpx_gt_u32_e32 17, v0
	s_xor_b32 s2, exec_lo, s2
; %bb.26:
	v_mul_u32_u24_e32 v3, 17, v0
	v_mad_u32_u24 v2, v0, 17, 1
	s_mov_b32 s1, exec_lo
	s_delay_alu instid0(VALU_DEP_2)
	v_lshlrev_b32_e32 v3, 2, v3
; %bb.27:
	s_or_b32 exec_lo, exec_lo, s2
	s_delay_alu instid0(SALU_CYCLE_1)
	s_and_b32 vcc_lo, exec_lo, s0
	v_cmp_gt_u32_e64 s0, 17, v0
	s_cbranch_vccnz .LBB208_29
	s_branch .LBB208_40
.LBB208_28:
	s_mov_b32 s1, 0
                                        ; implicit-def: $vgpr2
                                        ; implicit-def: $vgpr3
	v_cmp_gt_u32_e64 s0, 17, v0
	s_cbranch_execz .LBB208_40
.LBB208_29:
	s_delay_alu instid0(VALU_DEP_1)
	s_and_saveexec_b32 s2, s0
	s_cbranch_execz .LBB208_31
; %bb.30:
	ds_load_b32 v2, v1 offset:1088
	ds_load_b32 v3, v1
	s_waitcnt lgkmcnt(0)
	v_add_nc_u32_e32 v2, v3, v2
	ds_store_b32 v1, v2
.LBB208_31:
	s_or_b32 exec_lo, exec_lo, s2
	s_delay_alu instid0(SALU_CYCLE_1)
	s_mov_b32 s2, exec_lo
	s_waitcnt lgkmcnt(0)
	s_barrier
	buffer_gl0_inv
	v_cmpx_gt_u32_e32 0x88, v0
	s_cbranch_execz .LBB208_33
; %bb.32:
	ds_load_2addr_b32 v[2:3], v1 offset1:136
	s_waitcnt lgkmcnt(0)
	v_add_nc_u32_e32 v2, v2, v3
	ds_store_b32 v1, v2
.LBB208_33:
	s_or_b32 exec_lo, exec_lo, s2
	s_delay_alu instid0(SALU_CYCLE_1)
	s_mov_b32 s2, exec_lo
	s_waitcnt lgkmcnt(0)
	s_barrier
	buffer_gl0_inv
	v_cmpx_gt_u32_e32 0x44, v0
	s_cbranch_execz .LBB208_35
; %bb.34:
	ds_load_2addr_b32 v[2:3], v1 offset1:68
	s_waitcnt lgkmcnt(0)
	v_add_nc_u32_e32 v2, v2, v3
	ds_store_b32 v1, v2
.LBB208_35:
	s_or_b32 exec_lo, exec_lo, s2
	s_delay_alu instid0(SALU_CYCLE_1)
	s_mov_b32 s2, exec_lo
	s_waitcnt lgkmcnt(0)
	s_barrier
	buffer_gl0_inv
	v_cmpx_gt_u32_e32 34, v0
	s_cbranch_execz .LBB208_37
; %bb.36:
	ds_load_2addr_b32 v[2:3], v1 offset1:34
	s_waitcnt lgkmcnt(0)
	v_add_nc_u32_e32 v2, v2, v3
	ds_store_b32 v1, v2
.LBB208_37:
	s_or_b32 exec_lo, exec_lo, s2
	s_waitcnt lgkmcnt(0)
	buffer_gl0_inv
                                        ; implicit-def: $vgpr2
	s_and_saveexec_b32 s2, s0
; %bb.38:
	v_add_nc_u32_e32 v2, 17, v0
	s_or_b32 s1, s1, exec_lo
                                        ; implicit-def: $vgpr6
; %bb.39:
	s_or_b32 exec_lo, exec_lo, s2
	v_mov_b32_e32 v3, v1
.LBB208_40:
	s_and_saveexec_b32 s0, s1
	s_cbranch_execz .LBB208_42
; %bb.41:
	v_lshlrev_b32_e32 v1, 2, v2
	ds_load_b32 v2, v3
	ds_load_b32 v1, v1
	s_waitcnt lgkmcnt(0)
	v_add_nc_u32_e32 v6, v1, v2
.LBB208_42:
	s_or_b32 exec_lo, exec_lo, s0
	s_delay_alu instid0(SALU_CYCLE_1)
	s_mov_b32 s0, exec_lo
	v_cmpx_gt_u32_e32 17, v0
	s_cbranch_execz .LBB208_46
; %bb.43:
	v_mul_lo_u32 v1, v6, s13
	s_cmp_eq_u32 s3, 0
	s_mov_b32 s0, 0
	s_cbranch_scc1 .LBB208_47
; %bb.44:
	s_delay_alu instid0(VALU_DEP_1) | instskip(SKIP_1) | instid1(VALU_DEP_1)
	v_mad_u64_u32 v[2:3], null, s8, 17, v[0:1]
	v_mov_b32_e32 v3, 0
	v_lshlrev_b64 v[2:3], 2, v[2:3]
	s_delay_alu instid0(VALU_DEP_1) | instskip(NEXT) | instid1(VALU_DEP_2)
	v_add_co_u32 v2, vcc_lo, s10, v2
	v_add_co_ci_u32_e32 v3, vcc_lo, s11, v3, vcc_lo
	global_load_b32 v6, v[2:3], off
	s_waitcnt vmcnt(0)
	v_mad_u64_u32 v[4:5], null, v6, s3, v[1:2]
	global_store_b32 v[2:3], v4, off
	s_and_not1_b32 vcc_lo, exec_lo, s0
	s_cbranch_vccnz .LBB208_46
.LBB208_45:
	s_delay_alu instid0(VALU_DEP_1) | instskip(SKIP_1) | instid1(VALU_DEP_1)
	v_mad_u64_u32 v[2:3], null, s8, 17, v[0:1]
	v_mov_b32_e32 v3, 0
	v_lshlrev_b64 v[2:3], 2, v[2:3]
	s_delay_alu instid0(VALU_DEP_1) | instskip(NEXT) | instid1(VALU_DEP_2)
	v_add_co_u32 v2, vcc_lo, s10, v2
	v_add_co_ci_u32_e32 v3, vcc_lo, s11, v3, vcc_lo
	global_store_b32 v[2:3], v1, off
.LBB208_46:
	s_nop 0
	s_sendmsg sendmsg(MSG_DEALLOC_VGPRS)
	s_endpgm
.LBB208_47:
	s_branch .LBB208_45
	.section	.rodata,"a",@progbits
	.p2align	6, 0x0
	.amdhsa_kernel _ZN9rocsparseL20bsrxmvn_17_32_kernelILj17EiliaaiEEvT2_20rocsparse_direction_NS_24const_host_device_scalarIT0_EES1_PKS1_PKT1_SA_S7_PKT3_PKT4_S5_PT5_21rocsparse_index_base_b
		.amdhsa_group_segment_fixed_size 1156
		.amdhsa_private_segment_fixed_size 0
		.amdhsa_kernarg_size 96
		.amdhsa_user_sgpr_count 15
		.amdhsa_user_sgpr_dispatch_ptr 0
		.amdhsa_user_sgpr_queue_ptr 0
		.amdhsa_user_sgpr_kernarg_segment_ptr 1
		.amdhsa_user_sgpr_dispatch_id 0
		.amdhsa_user_sgpr_private_segment_size 0
		.amdhsa_wavefront_size32 1
		.amdhsa_uses_dynamic_stack 0
		.amdhsa_enable_private_segment 0
		.amdhsa_system_sgpr_workgroup_id_x 1
		.amdhsa_system_sgpr_workgroup_id_y 0
		.amdhsa_system_sgpr_workgroup_id_z 0
		.amdhsa_system_sgpr_workgroup_info 0
		.amdhsa_system_vgpr_workitem_id 0
		.amdhsa_next_free_vgpr 12
		.amdhsa_next_free_sgpr 23
		.amdhsa_reserve_vcc 1
		.amdhsa_float_round_mode_32 0
		.amdhsa_float_round_mode_16_64 0
		.amdhsa_float_denorm_mode_32 3
		.amdhsa_float_denorm_mode_16_64 3
		.amdhsa_dx10_clamp 1
		.amdhsa_ieee_mode 1
		.amdhsa_fp16_overflow 0
		.amdhsa_workgroup_processor_mode 1
		.amdhsa_memory_ordered 1
		.amdhsa_forward_progress 0
		.amdhsa_shared_vgpr_count 0
		.amdhsa_exception_fp_ieee_invalid_op 0
		.amdhsa_exception_fp_denorm_src 0
		.amdhsa_exception_fp_ieee_div_zero 0
		.amdhsa_exception_fp_ieee_overflow 0
		.amdhsa_exception_fp_ieee_underflow 0
		.amdhsa_exception_fp_ieee_inexact 0
		.amdhsa_exception_int_div_zero 0
	.end_amdhsa_kernel
	.section	.text._ZN9rocsparseL20bsrxmvn_17_32_kernelILj17EiliaaiEEvT2_20rocsparse_direction_NS_24const_host_device_scalarIT0_EES1_PKS1_PKT1_SA_S7_PKT3_PKT4_S5_PT5_21rocsparse_index_base_b,"axG",@progbits,_ZN9rocsparseL20bsrxmvn_17_32_kernelILj17EiliaaiEEvT2_20rocsparse_direction_NS_24const_host_device_scalarIT0_EES1_PKS1_PKT1_SA_S7_PKT3_PKT4_S5_PT5_21rocsparse_index_base_b,comdat
.Lfunc_end208:
	.size	_ZN9rocsparseL20bsrxmvn_17_32_kernelILj17EiliaaiEEvT2_20rocsparse_direction_NS_24const_host_device_scalarIT0_EES1_PKS1_PKT1_SA_S7_PKT3_PKT4_S5_PT5_21rocsparse_index_base_b, .Lfunc_end208-_ZN9rocsparseL20bsrxmvn_17_32_kernelILj17EiliaaiEEvT2_20rocsparse_direction_NS_24const_host_device_scalarIT0_EES1_PKS1_PKT1_SA_S7_PKT3_PKT4_S5_PT5_21rocsparse_index_base_b
                                        ; -- End function
	.section	.AMDGPU.csdata,"",@progbits
; Kernel info:
; codeLenInByte = 1680
; NumSgprs: 25
; NumVgprs: 12
; ScratchSize: 0
; MemoryBound: 0
; FloatMode: 240
; IeeeMode: 1
; LDSByteSize: 1156 bytes/workgroup (compile time only)
; SGPRBlocks: 3
; VGPRBlocks: 1
; NumSGPRsForWavesPerEU: 25
; NumVGPRsForWavesPerEU: 12
; Occupancy: 15
; WaveLimiterHint : 1
; COMPUTE_PGM_RSRC2:SCRATCH_EN: 0
; COMPUTE_PGM_RSRC2:USER_SGPR: 15
; COMPUTE_PGM_RSRC2:TRAP_HANDLER: 0
; COMPUTE_PGM_RSRC2:TGID_X_EN: 1
; COMPUTE_PGM_RSRC2:TGID_Y_EN: 0
; COMPUTE_PGM_RSRC2:TGID_Z_EN: 0
; COMPUTE_PGM_RSRC2:TIDIG_COMP_CNT: 0
	.section	.text._ZN9rocsparseL20bsrxmvn_17_32_kernelILj18EiliaaiEEvT2_20rocsparse_direction_NS_24const_host_device_scalarIT0_EES1_PKS1_PKT1_SA_S7_PKT3_PKT4_S5_PT5_21rocsparse_index_base_b,"axG",@progbits,_ZN9rocsparseL20bsrxmvn_17_32_kernelILj18EiliaaiEEvT2_20rocsparse_direction_NS_24const_host_device_scalarIT0_EES1_PKS1_PKT1_SA_S7_PKT3_PKT4_S5_PT5_21rocsparse_index_base_b,comdat
	.globl	_ZN9rocsparseL20bsrxmvn_17_32_kernelILj18EiliaaiEEvT2_20rocsparse_direction_NS_24const_host_device_scalarIT0_EES1_PKS1_PKT1_SA_S7_PKT3_PKT4_S5_PT5_21rocsparse_index_base_b ; -- Begin function _ZN9rocsparseL20bsrxmvn_17_32_kernelILj18EiliaaiEEvT2_20rocsparse_direction_NS_24const_host_device_scalarIT0_EES1_PKS1_PKT1_SA_S7_PKT3_PKT4_S5_PT5_21rocsparse_index_base_b
	.p2align	8
	.type	_ZN9rocsparseL20bsrxmvn_17_32_kernelILj18EiliaaiEEvT2_20rocsparse_direction_NS_24const_host_device_scalarIT0_EES1_PKS1_PKT1_SA_S7_PKT3_PKT4_S5_PT5_21rocsparse_index_base_b,@function
_ZN9rocsparseL20bsrxmvn_17_32_kernelILj18EiliaaiEEvT2_20rocsparse_direction_NS_24const_host_device_scalarIT0_EES1_PKS1_PKT1_SA_S7_PKT3_PKT4_S5_PT5_21rocsparse_index_base_b: ; @_ZN9rocsparseL20bsrxmvn_17_32_kernelILj18EiliaaiEEvT2_20rocsparse_direction_NS_24const_host_device_scalarIT0_EES1_PKS1_PKT1_SA_S7_PKT3_PKT4_S5_PT5_21rocsparse_index_base_b
; %bb.0:
	s_clause 0x1
	s_load_b64 s[12:13], s[0:1], 0x58
	s_load_b64 s[4:5], s[0:1], 0x8
	s_mov_b32 s8, s15
	s_mov_b32 s7, -1
	s_waitcnt lgkmcnt(0)
	s_bitcmp1_b32 s13, 0
                                        ; implicit-def: $sgpr13
	s_cselect_b32 s2, -1, 0
	s_delay_alu instid0(SALU_CYCLE_1) | instskip(NEXT) | instid1(SALU_CYCLE_1)
	s_xor_b32 s6, s2, -1
	s_and_b32 vcc_lo, exec_lo, s6
	s_cbranch_vccnz .LBB209_4
; %bb.1:
	s_load_b64 s[2:3], s[0:1], 0x48
	s_and_not1_b32 vcc_lo, exec_lo, s7
	s_cbranch_vccz .LBB209_5
.LBB209_2:
	s_and_b32 vcc_lo, exec_lo, s6
	s_cbranch_vccz .LBB209_6
.LBB209_3:
	s_waitcnt lgkmcnt(0)
	s_load_b32 s3, s[2:3], 0x0
	s_cbranch_execz .LBB209_7
	s_branch .LBB209_8
.LBB209_4:
	s_load_b32 s13, s[4:5], 0x0
	s_load_b64 s[2:3], s[0:1], 0x48
	s_cbranch_execnz .LBB209_2
.LBB209_5:
	s_waitcnt lgkmcnt(0)
	s_mov_b32 s13, s4
	s_and_b32 vcc_lo, exec_lo, s6
	s_cbranch_vccnz .LBB209_3
.LBB209_6:
                                        ; implicit-def: $sgpr3
.LBB209_7:
	s_waitcnt lgkmcnt(0)
	s_mov_b32 s3, s2
.LBB209_8:
	s_waitcnt lgkmcnt(0)
	s_cmp_lg_u32 s13, 0
	s_cselect_b32 s2, -1, 0
	s_cmp_lg_u32 s3, 1
	s_cselect_b32 s4, -1, 0
	s_delay_alu instid0(SALU_CYCLE_1) | instskip(NEXT) | instid1(SALU_CYCLE_1)
	s_or_b32 s2, s2, s4
	s_and_not1_b32 vcc_lo, exec_lo, s2
	s_cbranch_vccnz .LBB209_46
; %bb.9:
	s_clause 0x1
	s_load_b128 s[4:7], s[0:1], 0x18
	s_load_b64 s[10:11], s[0:1], 0x28
	s_waitcnt lgkmcnt(0)
	s_cmp_eq_u64 s[4:5], 0
	s_cbranch_scc1 .LBB209_11
; %bb.10:
	s_ashr_i32 s9, s8, 31
	s_delay_alu instid0(SALU_CYCLE_1) | instskip(NEXT) | instid1(SALU_CYCLE_1)
	s_lshl_b64 s[8:9], s[8:9], 2
	s_add_u32 s4, s4, s8
	s_addc_u32 s5, s5, s9
	s_load_b32 s2, s[4:5], 0x0
	s_waitcnt lgkmcnt(0)
	s_sub_i32 s8, s2, s12
.LBB209_11:
	s_load_b32 s4, s[0:1], 0x4
	v_mul_u32_u24_e32 v1, 0xe39, v0
	v_mov_b32_e32 v6, 0
	s_delay_alu instid0(VALU_DEP_2) | instskip(NEXT) | instid1(VALU_DEP_1)
	v_lshrrev_b32_e32 v1, 16, v1
	v_mul_lo_u16 v2, v1, 18
	s_delay_alu instid0(VALU_DEP_1)
	v_sub_nc_u16 v7, v0, v2
	s_waitcnt lgkmcnt(0)
	s_cmp_eq_u32 s4, 1
	s_cselect_b32 s2, -1, 0
	s_cmp_lg_u32 s4, 1
	s_cselect_b32 s20, -1, 0
	s_ashr_i32 s9, s8, 31
	s_delay_alu instid0(SALU_CYCLE_1) | instskip(NEXT) | instid1(SALU_CYCLE_1)
	s_lshl_b64 s[4:5], s[8:9], 3
	s_add_u32 s6, s6, s4
	s_addc_u32 s7, s7, s5
	s_add_u32 s9, s6, 8
	s_addc_u32 s14, s7, 0
	s_add_u32 s4, s10, s4
	s_addc_u32 s5, s11, s5
	s_cmp_eq_u64 s[10:11], 0
	s_load_b64 s[10:11], s[0:1], 0x50
	s_cselect_b32 s5, s14, s5
	s_cselect_b32 s4, s9, s4
	s_load_b64 s[18:19], s[6:7], 0x0
	s_load_b64 s[14:15], s[4:5], 0x0
	s_waitcnt lgkmcnt(0)
	v_cmp_ge_i64_e64 s4, s[18:19], s[14:15]
	s_delay_alu instid0(VALU_DEP_1)
	s_and_b32 vcc_lo, exec_lo, s4
	s_cbranch_vccnz .LBB209_16
; %bb.12:
	v_mul_lo_u16 v2, v1, 15
	v_dual_mov_b32 v6, 0 :: v_dual_and_b32 v3, 0xffff, v0
	s_clause 0x1
	s_load_b128 s[4:7], s[0:1], 0x30
	s_load_b64 s[0:1], s[0:1], 0x40
	s_sub_u32 s14, s14, s12
	v_lshrrev_b16 v2, 8, v2
	v_mul_u32_u24_e32 v3, 0x195, v3
	s_subb_u32 s15, s15, 0
	s_sub_u32 s16, s18, s12
	v_and_b32_e32 v4, 0xffff, v7
	v_mul_lo_u16 v2, v2, 18
	v_lshrrev_b32_e32 v8, 17, v3
	s_subb_u32 s17, s19, 0
	s_mul_hi_u32 s9, s16, 0x144
	s_mul_i32 s22, s17, 0x144
	v_sub_nc_u16 v1, v1, v2
	v_add_co_u32 v2, s18, s18, v8
	s_delay_alu instid0(VALU_DEP_1) | instskip(NEXT) | instid1(VALU_DEP_3)
	v_add_co_ci_u32_e64 v3, null, s19, 0, s18
	v_and_b32_e32 v1, 0xff, v1
	s_delay_alu instid0(VALU_DEP_3) | instskip(NEXT) | instid1(VALU_DEP_3)
	v_sub_co_u32 v2, vcc_lo, v2, s12
	v_subrev_co_ci_u32_e32 v3, vcc_lo, 0, v3, vcc_lo
	s_delay_alu instid0(VALU_DEP_3) | instskip(SKIP_2) | instid1(VALU_DEP_2)
	v_cndmask_b32_e64 v1, v4, v1, s2
	s_mul_i32 s21, s16, 0x144
	s_add_i32 s9, s9, s22
	v_lshlrev_b64 v[4:5], 2, v[2:3]
	s_waitcnt lgkmcnt(0)
	s_add_u32 s2, s6, s21
	s_addc_u32 s6, s7, s9
	v_add_co_u32 v2, s2, s2, v0
	s_delay_alu instid0(VALU_DEP_1)
	v_add_co_ci_u32_e64 v3, null, s6, 0, s2
	v_add_co_u32 v4, vcc_lo, s4, v4
	v_add_co_ci_u32_e32 v5, vcc_lo, s5, v5, vcc_lo
	s_set_inst_prefetch_distance 0x1
	s_branch .LBB209_14
	.p2align	6
.LBB209_13:                             ;   in Loop: Header=BB209_14 Depth=1
	s_or_b32 exec_lo, exec_lo, s2
	s_add_u32 s16, s16, 1
	s_addc_u32 s17, s17, 0
	v_add_co_u32 v4, vcc_lo, v4, 4
	v_cmp_lt_i64_e64 s2, s[16:17], s[14:15]
	v_add_co_ci_u32_e32 v5, vcc_lo, 0, v5, vcc_lo
	s_delay_alu instid0(VALU_DEP_2)
	s_and_b32 vcc_lo, exec_lo, s2
	s_cbranch_vccz .LBB209_16
.LBB209_14:                             ; =>This Inner Loop Header: Depth=1
	v_add_co_u32 v9, s2, v8, s16
	s_delay_alu instid0(VALU_DEP_1) | instskip(SKIP_1) | instid1(VALU_DEP_1)
	v_add_co_ci_u32_e64 v10, null, 0, s17, s2
	s_mov_b32 s2, exec_lo
	v_cmpx_gt_i64_e64 s[14:15], v[9:10]
	s_cbranch_execz .LBB209_13
; %bb.15:                               ;   in Loop: Header=BB209_14 Depth=1
	global_load_b32 v9, v[4:5], off
	s_waitcnt vmcnt(0)
	v_subrev_nc_u32_e32 v11, s12, v9
	s_delay_alu instid0(VALU_DEP_1) | instskip(NEXT) | instid1(VALU_DEP_1)
	v_mad_u64_u32 v[9:10], null, v11, 18, v[1:2]
	v_ashrrev_i32_e32 v10, 31, v9
	v_add_co_u32 v9, vcc_lo, s0, v9
	s_delay_alu instid0(VALU_DEP_2)
	v_add_co_ci_u32_e32 v10, vcc_lo, s1, v10, vcc_lo
	global_load_i8 v11, v[2:3], off
	global_load_i8 v9, v[9:10], off
	v_add_co_u32 v2, vcc_lo, 0x144, v2
	v_add_co_ci_u32_e32 v3, vcc_lo, 0, v3, vcc_lo
	s_waitcnt vmcnt(0)
	v_mad_i32_i24 v6, v9, v11, v6
	s_branch .LBB209_13
.LBB209_16:
	s_set_inst_prefetch_distance 0x2
	v_lshlrev_b32_e32 v1, 2, v0
	s_and_b32 vcc_lo, exec_lo, s20
	ds_store_b32 v1, v6
	s_waitcnt lgkmcnt(0)
	s_barrier
	buffer_gl0_inv
	s_cbranch_vccz .LBB209_28
; %bb.17:
	v_cmp_gt_u16_e32 vcc_lo, 2, v7
	s_and_saveexec_b32 s0, vcc_lo
	s_cbranch_execz .LBB209_19
; %bb.18:
	ds_load_2addr_b32 v[2:3], v1 offset1:16
	s_waitcnt lgkmcnt(0)
	v_add_nc_u32_e32 v2, v2, v3
	ds_store_b32 v1, v2
.LBB209_19:
	s_or_b32 exec_lo, exec_lo, s0
	s_delay_alu instid0(SALU_CYCLE_1)
	s_mov_b32 s1, exec_lo
	s_waitcnt lgkmcnt(0)
	s_barrier
	buffer_gl0_inv
	v_cmpx_gt_u16_e32 8, v7
	s_cbranch_execz .LBB209_21
; %bb.20:
	ds_load_2addr_b32 v[2:3], v1 offset1:8
	s_waitcnt lgkmcnt(0)
	v_add_nc_u32_e32 v2, v2, v3
	ds_store_b32 v1, v2
.LBB209_21:
	s_or_b32 exec_lo, exec_lo, s1
	s_delay_alu instid0(SALU_CYCLE_1)
	s_mov_b32 s1, exec_lo
	s_waitcnt lgkmcnt(0)
	s_barrier
	buffer_gl0_inv
	v_cmpx_gt_u16_e32 4, v7
	s_cbranch_execz .LBB209_23
; %bb.22:
	ds_load_2addr_b32 v[2:3], v1 offset1:4
	s_waitcnt lgkmcnt(0)
	v_add_nc_u32_e32 v2, v2, v3
	ds_store_b32 v1, v2
.LBB209_23:
	s_or_b32 exec_lo, exec_lo, s1
	s_waitcnt lgkmcnt(0)
	s_barrier
	buffer_gl0_inv
	s_and_saveexec_b32 s0, vcc_lo
	s_cbranch_execz .LBB209_25
; %bb.24:
	ds_load_2addr_b32 v[2:3], v1 offset1:2
	s_waitcnt lgkmcnt(0)
	v_add_nc_u32_e32 v2, v2, v3
	ds_store_b32 v1, v2
.LBB209_25:
	s_or_b32 exec_lo, exec_lo, s0
	s_mov_b32 s0, 0
	s_mov_b32 s1, 0
	s_mov_b32 s2, exec_lo
	s_waitcnt lgkmcnt(0)
	s_barrier
	buffer_gl0_inv
                                        ; implicit-def: $vgpr2
                                        ; implicit-def: $vgpr3
	v_cmpx_gt_u32_e32 18, v0
	s_xor_b32 s2, exec_lo, s2
; %bb.26:
	v_mul_u32_u24_e32 v3, 18, v0
	s_mov_b32 s1, exec_lo
	s_delay_alu instid0(VALU_DEP_1)
	v_or_b32_e32 v2, 1, v3
	v_lshlrev_b32_e32 v3, 2, v3
; %bb.27:
	s_or_b32 exec_lo, exec_lo, s2
	s_delay_alu instid0(SALU_CYCLE_1)
	s_and_b32 vcc_lo, exec_lo, s0
	s_cbranch_vccnz .LBB209_29
	s_branch .LBB209_40
.LBB209_28:
	s_mov_b32 s1, 0
                                        ; implicit-def: $vgpr2
                                        ; implicit-def: $vgpr3
	s_cbranch_execz .LBB209_40
.LBB209_29:
	v_cmp_gt_u32_e32 vcc_lo, 36, v0
	s_and_saveexec_b32 s0, vcc_lo
	s_cbranch_execz .LBB209_31
; %bb.30:
	ds_load_b32 v2, v1 offset:1152
	ds_load_b32 v3, v1
	s_waitcnt lgkmcnt(0)
	v_add_nc_u32_e32 v2, v3, v2
	ds_store_b32 v1, v2
.LBB209_31:
	s_or_b32 exec_lo, exec_lo, s0
	s_delay_alu instid0(SALU_CYCLE_1)
	s_mov_b32 s2, exec_lo
	s_waitcnt lgkmcnt(0)
	s_barrier
	buffer_gl0_inv
	v_cmpx_gt_u32_e32 0x90, v0
	s_cbranch_execz .LBB209_33
; %bb.32:
	ds_load_2addr_b32 v[2:3], v1 offset1:144
	s_waitcnt lgkmcnt(0)
	v_add_nc_u32_e32 v2, v2, v3
	ds_store_b32 v1, v2
.LBB209_33:
	s_or_b32 exec_lo, exec_lo, s2
	s_delay_alu instid0(SALU_CYCLE_1)
	s_mov_b32 s2, exec_lo
	s_waitcnt lgkmcnt(0)
	s_barrier
	buffer_gl0_inv
	v_cmpx_gt_u32_e32 0x48, v0
	s_cbranch_execz .LBB209_35
; %bb.34:
	ds_load_2addr_b32 v[2:3], v1 offset1:72
	s_waitcnt lgkmcnt(0)
	v_add_nc_u32_e32 v2, v2, v3
	ds_store_b32 v1, v2
.LBB209_35:
	s_or_b32 exec_lo, exec_lo, s2
	s_waitcnt lgkmcnt(0)
	s_barrier
	buffer_gl0_inv
	s_and_saveexec_b32 s0, vcc_lo
	s_cbranch_execz .LBB209_37
; %bb.36:
	ds_load_2addr_b32 v[2:3], v1 offset1:36
	s_waitcnt lgkmcnt(0)
	v_add_nc_u32_e32 v2, v2, v3
	ds_store_b32 v1, v2
.LBB209_37:
	s_or_b32 exec_lo, exec_lo, s0
	s_delay_alu instid0(SALU_CYCLE_1)
	s_mov_b32 s0, exec_lo
	s_waitcnt lgkmcnt(0)
	buffer_gl0_inv
                                        ; implicit-def: $vgpr2
	v_cmpx_gt_u32_e32 18, v0
; %bb.38:
	v_add_nc_u32_e32 v2, 18, v0
	s_or_b32 s1, s1, exec_lo
                                        ; implicit-def: $vgpr6
; %bb.39:
	s_or_b32 exec_lo, exec_lo, s0
	v_mov_b32_e32 v3, v1
.LBB209_40:
	s_and_saveexec_b32 s0, s1
	s_cbranch_execz .LBB209_42
; %bb.41:
	v_lshlrev_b32_e32 v1, 2, v2
	ds_load_b32 v2, v3
	ds_load_b32 v1, v1
	s_waitcnt lgkmcnt(0)
	v_add_nc_u32_e32 v6, v1, v2
.LBB209_42:
	s_or_b32 exec_lo, exec_lo, s0
	s_delay_alu instid0(SALU_CYCLE_1)
	s_mov_b32 s0, exec_lo
	v_cmpx_gt_u32_e32 18, v0
	s_cbranch_execz .LBB209_46
; %bb.43:
	v_mul_lo_u32 v1, v6, s13
	s_cmp_eq_u32 s3, 0
	s_mov_b32 s0, 0
	s_cbranch_scc1 .LBB209_47
; %bb.44:
	s_delay_alu instid0(VALU_DEP_1) | instskip(SKIP_1) | instid1(VALU_DEP_1)
	v_mad_u64_u32 v[2:3], null, s8, 18, v[0:1]
	v_mov_b32_e32 v3, 0
	v_lshlrev_b64 v[2:3], 2, v[2:3]
	s_delay_alu instid0(VALU_DEP_1) | instskip(NEXT) | instid1(VALU_DEP_2)
	v_add_co_u32 v2, vcc_lo, s10, v2
	v_add_co_ci_u32_e32 v3, vcc_lo, s11, v3, vcc_lo
	global_load_b32 v6, v[2:3], off
	s_waitcnt vmcnt(0)
	v_mad_u64_u32 v[4:5], null, v6, s3, v[1:2]
	global_store_b32 v[2:3], v4, off
	s_and_not1_b32 vcc_lo, exec_lo, s0
	s_cbranch_vccnz .LBB209_46
.LBB209_45:
	s_delay_alu instid0(VALU_DEP_1) | instskip(SKIP_1) | instid1(VALU_DEP_1)
	v_mad_u64_u32 v[2:3], null, s8, 18, v[0:1]
	v_mov_b32_e32 v3, 0
	v_lshlrev_b64 v[2:3], 2, v[2:3]
	s_delay_alu instid0(VALU_DEP_1) | instskip(NEXT) | instid1(VALU_DEP_2)
	v_add_co_u32 v2, vcc_lo, s10, v2
	v_add_co_ci_u32_e32 v3, vcc_lo, s11, v3, vcc_lo
	global_store_b32 v[2:3], v1, off
.LBB209_46:
	s_nop 0
	s_sendmsg sendmsg(MSG_DEALLOC_VGPRS)
	s_endpgm
.LBB209_47:
	s_branch .LBB209_45
	.section	.rodata,"a",@progbits
	.p2align	6, 0x0
	.amdhsa_kernel _ZN9rocsparseL20bsrxmvn_17_32_kernelILj18EiliaaiEEvT2_20rocsparse_direction_NS_24const_host_device_scalarIT0_EES1_PKS1_PKT1_SA_S7_PKT3_PKT4_S5_PT5_21rocsparse_index_base_b
		.amdhsa_group_segment_fixed_size 1296
		.amdhsa_private_segment_fixed_size 0
		.amdhsa_kernarg_size 96
		.amdhsa_user_sgpr_count 15
		.amdhsa_user_sgpr_dispatch_ptr 0
		.amdhsa_user_sgpr_queue_ptr 0
		.amdhsa_user_sgpr_kernarg_segment_ptr 1
		.amdhsa_user_sgpr_dispatch_id 0
		.amdhsa_user_sgpr_private_segment_size 0
		.amdhsa_wavefront_size32 1
		.amdhsa_uses_dynamic_stack 0
		.amdhsa_enable_private_segment 0
		.amdhsa_system_sgpr_workgroup_id_x 1
		.amdhsa_system_sgpr_workgroup_id_y 0
		.amdhsa_system_sgpr_workgroup_id_z 0
		.amdhsa_system_sgpr_workgroup_info 0
		.amdhsa_system_vgpr_workitem_id 0
		.amdhsa_next_free_vgpr 12
		.amdhsa_next_free_sgpr 23
		.amdhsa_reserve_vcc 1
		.amdhsa_float_round_mode_32 0
		.amdhsa_float_round_mode_16_64 0
		.amdhsa_float_denorm_mode_32 3
		.amdhsa_float_denorm_mode_16_64 3
		.amdhsa_dx10_clamp 1
		.amdhsa_ieee_mode 1
		.amdhsa_fp16_overflow 0
		.amdhsa_workgroup_processor_mode 1
		.amdhsa_memory_ordered 1
		.amdhsa_forward_progress 0
		.amdhsa_shared_vgpr_count 0
		.amdhsa_exception_fp_ieee_invalid_op 0
		.amdhsa_exception_fp_denorm_src 0
		.amdhsa_exception_fp_ieee_div_zero 0
		.amdhsa_exception_fp_ieee_overflow 0
		.amdhsa_exception_fp_ieee_underflow 0
		.amdhsa_exception_fp_ieee_inexact 0
		.amdhsa_exception_int_div_zero 0
	.end_amdhsa_kernel
	.section	.text._ZN9rocsparseL20bsrxmvn_17_32_kernelILj18EiliaaiEEvT2_20rocsparse_direction_NS_24const_host_device_scalarIT0_EES1_PKS1_PKT1_SA_S7_PKT3_PKT4_S5_PT5_21rocsparse_index_base_b,"axG",@progbits,_ZN9rocsparseL20bsrxmvn_17_32_kernelILj18EiliaaiEEvT2_20rocsparse_direction_NS_24const_host_device_scalarIT0_EES1_PKS1_PKT1_SA_S7_PKT3_PKT4_S5_PT5_21rocsparse_index_base_b,comdat
.Lfunc_end209:
	.size	_ZN9rocsparseL20bsrxmvn_17_32_kernelILj18EiliaaiEEvT2_20rocsparse_direction_NS_24const_host_device_scalarIT0_EES1_PKS1_PKT1_SA_S7_PKT3_PKT4_S5_PT5_21rocsparse_index_base_b, .Lfunc_end209-_ZN9rocsparseL20bsrxmvn_17_32_kernelILj18EiliaaiEEvT2_20rocsparse_direction_NS_24const_host_device_scalarIT0_EES1_PKS1_PKT1_SA_S7_PKT3_PKT4_S5_PT5_21rocsparse_index_base_b
                                        ; -- End function
	.section	.AMDGPU.csdata,"",@progbits
; Kernel info:
; codeLenInByte = 1652
; NumSgprs: 25
; NumVgprs: 12
; ScratchSize: 0
; MemoryBound: 0
; FloatMode: 240
; IeeeMode: 1
; LDSByteSize: 1296 bytes/workgroup (compile time only)
; SGPRBlocks: 3
; VGPRBlocks: 1
; NumSGPRsForWavesPerEU: 25
; NumVGPRsForWavesPerEU: 12
; Occupancy: 14
; WaveLimiterHint : 1
; COMPUTE_PGM_RSRC2:SCRATCH_EN: 0
; COMPUTE_PGM_RSRC2:USER_SGPR: 15
; COMPUTE_PGM_RSRC2:TRAP_HANDLER: 0
; COMPUTE_PGM_RSRC2:TGID_X_EN: 1
; COMPUTE_PGM_RSRC2:TGID_Y_EN: 0
; COMPUTE_PGM_RSRC2:TGID_Z_EN: 0
; COMPUTE_PGM_RSRC2:TIDIG_COMP_CNT: 0
	.section	.text._ZN9rocsparseL20bsrxmvn_17_32_kernelILj19EiliaaiEEvT2_20rocsparse_direction_NS_24const_host_device_scalarIT0_EES1_PKS1_PKT1_SA_S7_PKT3_PKT4_S5_PT5_21rocsparse_index_base_b,"axG",@progbits,_ZN9rocsparseL20bsrxmvn_17_32_kernelILj19EiliaaiEEvT2_20rocsparse_direction_NS_24const_host_device_scalarIT0_EES1_PKS1_PKT1_SA_S7_PKT3_PKT4_S5_PT5_21rocsparse_index_base_b,comdat
	.globl	_ZN9rocsparseL20bsrxmvn_17_32_kernelILj19EiliaaiEEvT2_20rocsparse_direction_NS_24const_host_device_scalarIT0_EES1_PKS1_PKT1_SA_S7_PKT3_PKT4_S5_PT5_21rocsparse_index_base_b ; -- Begin function _ZN9rocsparseL20bsrxmvn_17_32_kernelILj19EiliaaiEEvT2_20rocsparse_direction_NS_24const_host_device_scalarIT0_EES1_PKS1_PKT1_SA_S7_PKT3_PKT4_S5_PT5_21rocsparse_index_base_b
	.p2align	8
	.type	_ZN9rocsparseL20bsrxmvn_17_32_kernelILj19EiliaaiEEvT2_20rocsparse_direction_NS_24const_host_device_scalarIT0_EES1_PKS1_PKT1_SA_S7_PKT3_PKT4_S5_PT5_21rocsparse_index_base_b,@function
_ZN9rocsparseL20bsrxmvn_17_32_kernelILj19EiliaaiEEvT2_20rocsparse_direction_NS_24const_host_device_scalarIT0_EES1_PKS1_PKT1_SA_S7_PKT3_PKT4_S5_PT5_21rocsparse_index_base_b: ; @_ZN9rocsparseL20bsrxmvn_17_32_kernelILj19EiliaaiEEvT2_20rocsparse_direction_NS_24const_host_device_scalarIT0_EES1_PKS1_PKT1_SA_S7_PKT3_PKT4_S5_PT5_21rocsparse_index_base_b
; %bb.0:
	s_clause 0x1
	s_load_b64 s[12:13], s[0:1], 0x58
	s_load_b64 s[4:5], s[0:1], 0x8
	s_mov_b32 s8, s15
	s_mov_b32 s7, -1
	s_waitcnt lgkmcnt(0)
	s_bitcmp1_b32 s13, 0
                                        ; implicit-def: $sgpr13
	s_cselect_b32 s2, -1, 0
	s_delay_alu instid0(SALU_CYCLE_1) | instskip(NEXT) | instid1(SALU_CYCLE_1)
	s_xor_b32 s6, s2, -1
	s_and_b32 vcc_lo, exec_lo, s6
	s_cbranch_vccnz .LBB210_4
; %bb.1:
	s_load_b64 s[2:3], s[0:1], 0x48
	s_and_not1_b32 vcc_lo, exec_lo, s7
	s_cbranch_vccz .LBB210_5
.LBB210_2:
	s_and_b32 vcc_lo, exec_lo, s6
	s_cbranch_vccz .LBB210_6
.LBB210_3:
	s_waitcnt lgkmcnt(0)
	s_load_b32 s3, s[2:3], 0x0
	s_cbranch_execz .LBB210_7
	s_branch .LBB210_8
.LBB210_4:
	s_load_b32 s13, s[4:5], 0x0
	s_load_b64 s[2:3], s[0:1], 0x48
	s_cbranch_execnz .LBB210_2
.LBB210_5:
	s_waitcnt lgkmcnt(0)
	s_mov_b32 s13, s4
	s_and_b32 vcc_lo, exec_lo, s6
	s_cbranch_vccnz .LBB210_3
.LBB210_6:
                                        ; implicit-def: $sgpr3
.LBB210_7:
	s_waitcnt lgkmcnt(0)
	s_mov_b32 s3, s2
.LBB210_8:
	s_waitcnt lgkmcnt(0)
	s_cmp_lg_u32 s13, 0
	s_cselect_b32 s2, -1, 0
	s_cmp_lg_u32 s3, 1
	s_cselect_b32 s4, -1, 0
	s_delay_alu instid0(SALU_CYCLE_1) | instskip(NEXT) | instid1(SALU_CYCLE_1)
	s_or_b32 s2, s2, s4
	s_and_not1_b32 vcc_lo, exec_lo, s2
	s_cbranch_vccnz .LBB210_46
; %bb.9:
	s_clause 0x1
	s_load_b128 s[4:7], s[0:1], 0x18
	s_load_b64 s[10:11], s[0:1], 0x28
	s_waitcnt lgkmcnt(0)
	s_cmp_eq_u64 s[4:5], 0
	s_cbranch_scc1 .LBB210_11
; %bb.10:
	s_ashr_i32 s9, s8, 31
	s_delay_alu instid0(SALU_CYCLE_1) | instskip(NEXT) | instid1(SALU_CYCLE_1)
	s_lshl_b64 s[8:9], s[8:9], 2
	s_add_u32 s4, s4, s8
	s_addc_u32 s5, s5, s9
	s_load_b32 s2, s[4:5], 0x0
	s_waitcnt lgkmcnt(0)
	s_sub_i32 s8, s2, s12
.LBB210_11:
	s_load_b32 s4, s[0:1], 0x4
	v_mul_u32_u24_e32 v1, 0xd7a, v0
	v_mov_b32_e32 v6, 0
	s_delay_alu instid0(VALU_DEP_2) | instskip(NEXT) | instid1(VALU_DEP_1)
	v_lshrrev_b32_e32 v1, 16, v1
	v_mul_lo_u16 v2, v1, 19
	s_delay_alu instid0(VALU_DEP_1)
	v_sub_nc_u16 v7, v0, v2
	s_waitcnt lgkmcnt(0)
	s_cmp_eq_u32 s4, 1
	s_cselect_b32 s2, -1, 0
	s_cmp_lg_u32 s4, 1
	s_cselect_b32 s20, -1, 0
	s_ashr_i32 s9, s8, 31
	s_delay_alu instid0(SALU_CYCLE_1) | instskip(NEXT) | instid1(SALU_CYCLE_1)
	s_lshl_b64 s[4:5], s[8:9], 3
	s_add_u32 s6, s6, s4
	s_addc_u32 s7, s7, s5
	s_add_u32 s9, s6, 8
	s_addc_u32 s14, s7, 0
	;; [unrolled: 2-line block ×3, first 2 shown]
	s_cmp_eq_u64 s[10:11], 0
	s_load_b64 s[10:11], s[0:1], 0x50
	s_cselect_b32 s5, s14, s5
	s_cselect_b32 s4, s9, s4
	s_load_b64 s[18:19], s[6:7], 0x0
	s_load_b64 s[14:15], s[4:5], 0x0
	s_waitcnt lgkmcnt(0)
	v_cmp_ge_i64_e64 s4, s[18:19], s[14:15]
	s_delay_alu instid0(VALU_DEP_1)
	s_and_b32 vcc_lo, exec_lo, s4
	s_cbranch_vccnz .LBB210_16
; %bb.12:
	v_mul_lo_u16 v2, v1, 14
	v_dual_mov_b32 v6, 0 :: v_dual_and_b32 v3, 0xffff, v0
	s_clause 0x1
	s_load_b128 s[4:7], s[0:1], 0x30
	s_load_b64 s[0:1], s[0:1], 0x40
	s_sub_u32 s14, s14, s12
	v_lshrrev_b16 v2, 8, v2
	v_mul_u32_u24_e32 v3, 0xb6, v3
	s_subb_u32 s15, s15, 0
	s_sub_u32 s16, s18, s12
	v_and_b32_e32 v4, 0xffff, v7
	v_mul_lo_u16 v2, v2, 19
	v_lshrrev_b32_e32 v8, 16, v3
	s_subb_u32 s17, s19, 0
	s_mul_hi_u32 s9, s16, 0x169
	s_mul_i32 s22, s17, 0x169
	v_sub_nc_u16 v1, v1, v2
	v_add_co_u32 v2, s18, s18, v8
	s_delay_alu instid0(VALU_DEP_1) | instskip(NEXT) | instid1(VALU_DEP_3)
	v_add_co_ci_u32_e64 v3, null, s19, 0, s18
	v_and_b32_e32 v1, 0xff, v1
	s_delay_alu instid0(VALU_DEP_3) | instskip(NEXT) | instid1(VALU_DEP_3)
	v_sub_co_u32 v2, vcc_lo, v2, s12
	v_subrev_co_ci_u32_e32 v3, vcc_lo, 0, v3, vcc_lo
	s_delay_alu instid0(VALU_DEP_3) | instskip(SKIP_2) | instid1(VALU_DEP_2)
	v_cndmask_b32_e64 v1, v4, v1, s2
	s_mul_i32 s21, s16, 0x169
	s_add_i32 s9, s9, s22
	v_lshlrev_b64 v[4:5], 2, v[2:3]
	s_waitcnt lgkmcnt(0)
	s_add_u32 s2, s6, s21
	s_addc_u32 s6, s7, s9
	v_add_co_u32 v2, s2, s2, v0
	s_delay_alu instid0(VALU_DEP_1)
	v_add_co_ci_u32_e64 v3, null, s6, 0, s2
	v_add_co_u32 v4, vcc_lo, s4, v4
	v_add_co_ci_u32_e32 v5, vcc_lo, s5, v5, vcc_lo
	s_set_inst_prefetch_distance 0x1
	s_branch .LBB210_14
	.p2align	6
.LBB210_13:                             ;   in Loop: Header=BB210_14 Depth=1
	s_or_b32 exec_lo, exec_lo, s2
	s_add_u32 s16, s16, 1
	s_addc_u32 s17, s17, 0
	v_add_co_u32 v4, vcc_lo, v4, 4
	v_cmp_lt_i64_e64 s2, s[16:17], s[14:15]
	v_add_co_ci_u32_e32 v5, vcc_lo, 0, v5, vcc_lo
	s_delay_alu instid0(VALU_DEP_2)
	s_and_b32 vcc_lo, exec_lo, s2
	s_cbranch_vccz .LBB210_16
.LBB210_14:                             ; =>This Inner Loop Header: Depth=1
	v_add_co_u32 v9, s2, v8, s16
	s_delay_alu instid0(VALU_DEP_1) | instskip(SKIP_1) | instid1(VALU_DEP_1)
	v_add_co_ci_u32_e64 v10, null, 0, s17, s2
	s_mov_b32 s2, exec_lo
	v_cmpx_gt_i64_e64 s[14:15], v[9:10]
	s_cbranch_execz .LBB210_13
; %bb.15:                               ;   in Loop: Header=BB210_14 Depth=1
	global_load_b32 v9, v[4:5], off
	s_waitcnt vmcnt(0)
	v_subrev_nc_u32_e32 v11, s12, v9
	s_delay_alu instid0(VALU_DEP_1) | instskip(NEXT) | instid1(VALU_DEP_1)
	v_mad_u64_u32 v[9:10], null, v11, 19, v[1:2]
	v_ashrrev_i32_e32 v10, 31, v9
	v_add_co_u32 v9, vcc_lo, s0, v9
	s_delay_alu instid0(VALU_DEP_2)
	v_add_co_ci_u32_e32 v10, vcc_lo, s1, v10, vcc_lo
	global_load_i8 v11, v[2:3], off
	global_load_i8 v9, v[9:10], off
	v_add_co_u32 v2, vcc_lo, 0x169, v2
	v_add_co_ci_u32_e32 v3, vcc_lo, 0, v3, vcc_lo
	s_waitcnt vmcnt(0)
	v_mad_i32_i24 v6, v9, v11, v6
	s_branch .LBB210_13
.LBB210_16:
	s_set_inst_prefetch_distance 0x2
	v_lshlrev_b32_e32 v1, 2, v0
	s_and_b32 vcc_lo, exec_lo, s20
	ds_store_b32 v1, v6
	s_waitcnt lgkmcnt(0)
	s_barrier
	buffer_gl0_inv
	s_cbranch_vccz .LBB210_28
; %bb.17:
	s_mov_b32 s0, exec_lo
	v_cmpx_gt_u16_e32 3, v7
	s_cbranch_execz .LBB210_19
; %bb.18:
	ds_load_2addr_b32 v[2:3], v1 offset1:16
	s_waitcnt lgkmcnt(0)
	v_add_nc_u32_e32 v2, v2, v3
	ds_store_b32 v1, v2
.LBB210_19:
	s_or_b32 exec_lo, exec_lo, s0
	s_delay_alu instid0(SALU_CYCLE_1)
	s_mov_b32 s0, exec_lo
	s_waitcnt lgkmcnt(0)
	s_barrier
	buffer_gl0_inv
	v_cmpx_gt_u16_e32 8, v7
	s_cbranch_execz .LBB210_21
; %bb.20:
	ds_load_2addr_b32 v[2:3], v1 offset1:8
	s_waitcnt lgkmcnt(0)
	v_add_nc_u32_e32 v2, v2, v3
	ds_store_b32 v1, v2
.LBB210_21:
	s_or_b32 exec_lo, exec_lo, s0
	s_delay_alu instid0(SALU_CYCLE_1)
	s_mov_b32 s0, exec_lo
	s_waitcnt lgkmcnt(0)
	s_barrier
	buffer_gl0_inv
	;; [unrolled: 14-line block ×3, first 2 shown]
	v_cmpx_gt_u16_e32 2, v7
	s_cbranch_execz .LBB210_25
; %bb.24:
	ds_load_2addr_b32 v[2:3], v1 offset1:2
	s_waitcnt lgkmcnt(0)
	v_add_nc_u32_e32 v2, v2, v3
	ds_store_b32 v1, v2
.LBB210_25:
	s_or_b32 exec_lo, exec_lo, s0
	s_mov_b32 s1, 0
	s_mov_b32 s0, 0
	s_mov_b32 s2, exec_lo
	s_waitcnt lgkmcnt(0)
	s_barrier
	buffer_gl0_inv
                                        ; implicit-def: $vgpr2
                                        ; implicit-def: $vgpr3
	v_cmpx_gt_u32_e32 19, v0
	s_xor_b32 s2, exec_lo, s2
; %bb.26:
	v_mul_u32_u24_e32 v3, 19, v0
	v_mad_u32_u24 v2, v0, 19, 1
	s_mov_b32 s0, exec_lo
	s_delay_alu instid0(VALU_DEP_2)
	v_lshlrev_b32_e32 v3, 2, v3
; %bb.27:
	s_or_b32 exec_lo, exec_lo, s2
	s_delay_alu instid0(SALU_CYCLE_1)
	s_and_b32 vcc_lo, exec_lo, s1
	s_cbranch_vccnz .LBB210_29
	s_branch .LBB210_40
.LBB210_28:
	s_mov_b32 s0, 0
                                        ; implicit-def: $vgpr2
                                        ; implicit-def: $vgpr3
	s_cbranch_execz .LBB210_40
.LBB210_29:
	s_mov_b32 s1, exec_lo
	v_cmpx_gt_u32_e32 57, v0
	s_cbranch_execz .LBB210_31
; %bb.30:
	ds_load_b32 v2, v1 offset:1216
	ds_load_b32 v3, v1
	s_waitcnt lgkmcnt(0)
	v_add_nc_u32_e32 v2, v3, v2
	ds_store_b32 v1, v2
.LBB210_31:
	s_or_b32 exec_lo, exec_lo, s1
	s_delay_alu instid0(SALU_CYCLE_1)
	s_mov_b32 s1, exec_lo
	s_waitcnt lgkmcnt(0)
	s_barrier
	buffer_gl0_inv
	v_cmpx_gt_u32_e32 0x98, v0
	s_cbranch_execz .LBB210_33
; %bb.32:
	ds_load_2addr_b32 v[2:3], v1 offset1:152
	s_waitcnt lgkmcnt(0)
	v_add_nc_u32_e32 v2, v2, v3
	ds_store_b32 v1, v2
.LBB210_33:
	s_or_b32 exec_lo, exec_lo, s1
	s_delay_alu instid0(SALU_CYCLE_1)
	s_mov_b32 s1, exec_lo
	s_waitcnt lgkmcnt(0)
	s_barrier
	buffer_gl0_inv
	v_cmpx_gt_u32_e32 0x4c, v0
	s_cbranch_execz .LBB210_35
; %bb.34:
	ds_load_2addr_b32 v[2:3], v1 offset1:76
	s_waitcnt lgkmcnt(0)
	v_add_nc_u32_e32 v2, v2, v3
	ds_store_b32 v1, v2
.LBB210_35:
	;; [unrolled: 14-line block ×3, first 2 shown]
	s_or_b32 exec_lo, exec_lo, s1
	s_delay_alu instid0(SALU_CYCLE_1)
	s_mov_b32 s1, exec_lo
	s_waitcnt lgkmcnt(0)
	buffer_gl0_inv
                                        ; implicit-def: $vgpr2
	v_cmpx_gt_u32_e32 19, v0
; %bb.38:
	v_add_nc_u32_e32 v2, 19, v0
	s_or_b32 s0, s0, exec_lo
                                        ; implicit-def: $vgpr6
; %bb.39:
	s_or_b32 exec_lo, exec_lo, s1
	v_mov_b32_e32 v3, v1
.LBB210_40:
	s_and_saveexec_b32 s1, s0
	s_cbranch_execz .LBB210_42
; %bb.41:
	v_lshlrev_b32_e32 v1, 2, v2
	ds_load_b32 v2, v3
	ds_load_b32 v1, v1
	s_waitcnt lgkmcnt(0)
	v_add_nc_u32_e32 v6, v1, v2
.LBB210_42:
	s_or_b32 exec_lo, exec_lo, s1
	s_delay_alu instid0(SALU_CYCLE_1)
	s_mov_b32 s0, exec_lo
	v_cmpx_gt_u32_e32 19, v0
	s_cbranch_execz .LBB210_46
; %bb.43:
	v_mul_lo_u32 v1, v6, s13
	s_cmp_eq_u32 s3, 0
	s_mov_b32 s0, 0
	s_cbranch_scc1 .LBB210_47
; %bb.44:
	s_delay_alu instid0(VALU_DEP_1) | instskip(SKIP_1) | instid1(VALU_DEP_1)
	v_mad_u64_u32 v[2:3], null, s8, 19, v[0:1]
	v_mov_b32_e32 v3, 0
	v_lshlrev_b64 v[2:3], 2, v[2:3]
	s_delay_alu instid0(VALU_DEP_1) | instskip(NEXT) | instid1(VALU_DEP_2)
	v_add_co_u32 v2, vcc_lo, s10, v2
	v_add_co_ci_u32_e32 v3, vcc_lo, s11, v3, vcc_lo
	global_load_b32 v6, v[2:3], off
	s_waitcnt vmcnt(0)
	v_mad_u64_u32 v[4:5], null, v6, s3, v[1:2]
	global_store_b32 v[2:3], v4, off
	s_and_not1_b32 vcc_lo, exec_lo, s0
	s_cbranch_vccnz .LBB210_46
.LBB210_45:
	s_delay_alu instid0(VALU_DEP_1) | instskip(SKIP_1) | instid1(VALU_DEP_1)
	v_mad_u64_u32 v[2:3], null, s8, 19, v[0:1]
	v_mov_b32_e32 v3, 0
	v_lshlrev_b64 v[2:3], 2, v[2:3]
	s_delay_alu instid0(VALU_DEP_1) | instskip(NEXT) | instid1(VALU_DEP_2)
	v_add_co_u32 v2, vcc_lo, s10, v2
	v_add_co_ci_u32_e32 v3, vcc_lo, s11, v3, vcc_lo
	global_store_b32 v[2:3], v1, off
.LBB210_46:
	s_nop 0
	s_sendmsg sendmsg(MSG_DEALLOC_VGPRS)
	s_endpgm
.LBB210_47:
	s_branch .LBB210_45
	.section	.rodata,"a",@progbits
	.p2align	6, 0x0
	.amdhsa_kernel _ZN9rocsparseL20bsrxmvn_17_32_kernelILj19EiliaaiEEvT2_20rocsparse_direction_NS_24const_host_device_scalarIT0_EES1_PKS1_PKT1_SA_S7_PKT3_PKT4_S5_PT5_21rocsparse_index_base_b
		.amdhsa_group_segment_fixed_size 1444
		.amdhsa_private_segment_fixed_size 0
		.amdhsa_kernarg_size 96
		.amdhsa_user_sgpr_count 15
		.amdhsa_user_sgpr_dispatch_ptr 0
		.amdhsa_user_sgpr_queue_ptr 0
		.amdhsa_user_sgpr_kernarg_segment_ptr 1
		.amdhsa_user_sgpr_dispatch_id 0
		.amdhsa_user_sgpr_private_segment_size 0
		.amdhsa_wavefront_size32 1
		.amdhsa_uses_dynamic_stack 0
		.amdhsa_enable_private_segment 0
		.amdhsa_system_sgpr_workgroup_id_x 1
		.amdhsa_system_sgpr_workgroup_id_y 0
		.amdhsa_system_sgpr_workgroup_id_z 0
		.amdhsa_system_sgpr_workgroup_info 0
		.amdhsa_system_vgpr_workitem_id 0
		.amdhsa_next_free_vgpr 12
		.amdhsa_next_free_sgpr 23
		.amdhsa_reserve_vcc 1
		.amdhsa_float_round_mode_32 0
		.amdhsa_float_round_mode_16_64 0
		.amdhsa_float_denorm_mode_32 3
		.amdhsa_float_denorm_mode_16_64 3
		.amdhsa_dx10_clamp 1
		.amdhsa_ieee_mode 1
		.amdhsa_fp16_overflow 0
		.amdhsa_workgroup_processor_mode 1
		.amdhsa_memory_ordered 1
		.amdhsa_forward_progress 0
		.amdhsa_shared_vgpr_count 0
		.amdhsa_exception_fp_ieee_invalid_op 0
		.amdhsa_exception_fp_denorm_src 0
		.amdhsa_exception_fp_ieee_div_zero 0
		.amdhsa_exception_fp_ieee_overflow 0
		.amdhsa_exception_fp_ieee_underflow 0
		.amdhsa_exception_fp_ieee_inexact 0
		.amdhsa_exception_int_div_zero 0
	.end_amdhsa_kernel
	.section	.text._ZN9rocsparseL20bsrxmvn_17_32_kernelILj19EiliaaiEEvT2_20rocsparse_direction_NS_24const_host_device_scalarIT0_EES1_PKS1_PKT1_SA_S7_PKT3_PKT4_S5_PT5_21rocsparse_index_base_b,"axG",@progbits,_ZN9rocsparseL20bsrxmvn_17_32_kernelILj19EiliaaiEEvT2_20rocsparse_direction_NS_24const_host_device_scalarIT0_EES1_PKS1_PKT1_SA_S7_PKT3_PKT4_S5_PT5_21rocsparse_index_base_b,comdat
.Lfunc_end210:
	.size	_ZN9rocsparseL20bsrxmvn_17_32_kernelILj19EiliaaiEEvT2_20rocsparse_direction_NS_24const_host_device_scalarIT0_EES1_PKS1_PKT1_SA_S7_PKT3_PKT4_S5_PT5_21rocsparse_index_base_b, .Lfunc_end210-_ZN9rocsparseL20bsrxmvn_17_32_kernelILj19EiliaaiEEvT2_20rocsparse_direction_NS_24const_host_device_scalarIT0_EES1_PKS1_PKT1_SA_S7_PKT3_PKT4_S5_PT5_21rocsparse_index_base_b
                                        ; -- End function
	.section	.AMDGPU.csdata,"",@progbits
; Kernel info:
; codeLenInByte = 1672
; NumSgprs: 25
; NumVgprs: 12
; ScratchSize: 0
; MemoryBound: 0
; FloatMode: 240
; IeeeMode: 1
; LDSByteSize: 1444 bytes/workgroup (compile time only)
; SGPRBlocks: 3
; VGPRBlocks: 1
; NumSGPRsForWavesPerEU: 25
; NumVGPRsForWavesPerEU: 12
; Occupancy: 15
; WaveLimiterHint : 1
; COMPUTE_PGM_RSRC2:SCRATCH_EN: 0
; COMPUTE_PGM_RSRC2:USER_SGPR: 15
; COMPUTE_PGM_RSRC2:TRAP_HANDLER: 0
; COMPUTE_PGM_RSRC2:TGID_X_EN: 1
; COMPUTE_PGM_RSRC2:TGID_Y_EN: 0
; COMPUTE_PGM_RSRC2:TGID_Z_EN: 0
; COMPUTE_PGM_RSRC2:TIDIG_COMP_CNT: 0
	.section	.text._ZN9rocsparseL20bsrxmvn_17_32_kernelILj20EiliaaiEEvT2_20rocsparse_direction_NS_24const_host_device_scalarIT0_EES1_PKS1_PKT1_SA_S7_PKT3_PKT4_S5_PT5_21rocsparse_index_base_b,"axG",@progbits,_ZN9rocsparseL20bsrxmvn_17_32_kernelILj20EiliaaiEEvT2_20rocsparse_direction_NS_24const_host_device_scalarIT0_EES1_PKS1_PKT1_SA_S7_PKT3_PKT4_S5_PT5_21rocsparse_index_base_b,comdat
	.globl	_ZN9rocsparseL20bsrxmvn_17_32_kernelILj20EiliaaiEEvT2_20rocsparse_direction_NS_24const_host_device_scalarIT0_EES1_PKS1_PKT1_SA_S7_PKT3_PKT4_S5_PT5_21rocsparse_index_base_b ; -- Begin function _ZN9rocsparseL20bsrxmvn_17_32_kernelILj20EiliaaiEEvT2_20rocsparse_direction_NS_24const_host_device_scalarIT0_EES1_PKS1_PKT1_SA_S7_PKT3_PKT4_S5_PT5_21rocsparse_index_base_b
	.p2align	8
	.type	_ZN9rocsparseL20bsrxmvn_17_32_kernelILj20EiliaaiEEvT2_20rocsparse_direction_NS_24const_host_device_scalarIT0_EES1_PKS1_PKT1_SA_S7_PKT3_PKT4_S5_PT5_21rocsparse_index_base_b,@function
_ZN9rocsparseL20bsrxmvn_17_32_kernelILj20EiliaaiEEvT2_20rocsparse_direction_NS_24const_host_device_scalarIT0_EES1_PKS1_PKT1_SA_S7_PKT3_PKT4_S5_PT5_21rocsparse_index_base_b: ; @_ZN9rocsparseL20bsrxmvn_17_32_kernelILj20EiliaaiEEvT2_20rocsparse_direction_NS_24const_host_device_scalarIT0_EES1_PKS1_PKT1_SA_S7_PKT3_PKT4_S5_PT5_21rocsparse_index_base_b
; %bb.0:
	s_clause 0x1
	s_load_b64 s[12:13], s[0:1], 0x58
	s_load_b64 s[4:5], s[0:1], 0x8
	s_mov_b32 s8, s15
	s_mov_b32 s7, -1
	s_waitcnt lgkmcnt(0)
	s_bitcmp1_b32 s13, 0
                                        ; implicit-def: $sgpr13
	s_cselect_b32 s2, -1, 0
	s_delay_alu instid0(SALU_CYCLE_1) | instskip(NEXT) | instid1(SALU_CYCLE_1)
	s_xor_b32 s6, s2, -1
	s_and_b32 vcc_lo, exec_lo, s6
	s_cbranch_vccnz .LBB211_4
; %bb.1:
	s_load_b64 s[2:3], s[0:1], 0x48
	s_and_not1_b32 vcc_lo, exec_lo, s7
	s_cbranch_vccz .LBB211_5
.LBB211_2:
	s_and_b32 vcc_lo, exec_lo, s6
	s_cbranch_vccz .LBB211_6
.LBB211_3:
	s_waitcnt lgkmcnt(0)
	s_load_b32 s3, s[2:3], 0x0
	s_cbranch_execz .LBB211_7
	s_branch .LBB211_8
.LBB211_4:
	s_load_b32 s13, s[4:5], 0x0
	s_load_b64 s[2:3], s[0:1], 0x48
	s_cbranch_execnz .LBB211_2
.LBB211_5:
	s_waitcnt lgkmcnt(0)
	s_mov_b32 s13, s4
	s_and_b32 vcc_lo, exec_lo, s6
	s_cbranch_vccnz .LBB211_3
.LBB211_6:
                                        ; implicit-def: $sgpr3
.LBB211_7:
	s_waitcnt lgkmcnt(0)
	s_mov_b32 s3, s2
.LBB211_8:
	s_waitcnt lgkmcnt(0)
	s_cmp_lg_u32 s13, 0
	s_cselect_b32 s2, -1, 0
	s_cmp_lg_u32 s3, 1
	s_cselect_b32 s4, -1, 0
	s_delay_alu instid0(SALU_CYCLE_1) | instskip(NEXT) | instid1(SALU_CYCLE_1)
	s_or_b32 s2, s2, s4
	s_and_not1_b32 vcc_lo, exec_lo, s2
	s_cbranch_vccnz .LBB211_46
; %bb.9:
	s_clause 0x1
	s_load_b128 s[4:7], s[0:1], 0x18
	s_load_b64 s[10:11], s[0:1], 0x28
	s_waitcnt lgkmcnt(0)
	s_cmp_eq_u64 s[4:5], 0
	s_cbranch_scc1 .LBB211_11
; %bb.10:
	s_ashr_i32 s9, s8, 31
	s_delay_alu instid0(SALU_CYCLE_1) | instskip(NEXT) | instid1(SALU_CYCLE_1)
	s_lshl_b64 s[8:9], s[8:9], 2
	s_add_u32 s4, s4, s8
	s_addc_u32 s5, s5, s9
	s_load_b32 s2, s[4:5], 0x0
	s_waitcnt lgkmcnt(0)
	s_sub_i32 s8, s2, s12
.LBB211_11:
	s_load_b32 s4, s[0:1], 0x4
	v_mul_u32_u24_e32 v1, 0xccd, v0
	v_mov_b32_e32 v6, 0
	s_delay_alu instid0(VALU_DEP_2) | instskip(NEXT) | instid1(VALU_DEP_1)
	v_lshrrev_b32_e32 v1, 16, v1
	v_mul_lo_u16 v2, v1, 20
	s_delay_alu instid0(VALU_DEP_1)
	v_sub_nc_u16 v7, v0, v2
	s_waitcnt lgkmcnt(0)
	s_cmp_eq_u32 s4, 1
	s_cselect_b32 s2, -1, 0
	s_cmp_lg_u32 s4, 1
	s_cselect_b32 s20, -1, 0
	s_ashr_i32 s9, s8, 31
	s_delay_alu instid0(SALU_CYCLE_1) | instskip(NEXT) | instid1(SALU_CYCLE_1)
	s_lshl_b64 s[4:5], s[8:9], 3
	s_add_u32 s6, s6, s4
	s_addc_u32 s7, s7, s5
	s_add_u32 s9, s6, 8
	s_addc_u32 s14, s7, 0
	;; [unrolled: 2-line block ×3, first 2 shown]
	s_cmp_eq_u64 s[10:11], 0
	s_load_b64 s[10:11], s[0:1], 0x50
	s_cselect_b32 s5, s14, s5
	s_cselect_b32 s4, s9, s4
	s_load_b64 s[18:19], s[6:7], 0x0
	s_load_b64 s[14:15], s[4:5], 0x0
	s_waitcnt lgkmcnt(0)
	v_cmp_ge_i64_e64 s4, s[18:19], s[14:15]
	s_delay_alu instid0(VALU_DEP_1)
	s_and_b32 vcc_lo, exec_lo, s4
	s_cbranch_vccnz .LBB211_16
; %bb.12:
	v_mul_lo_u16 v2, v1, 13
	v_dual_mov_b32 v6, 0 :: v_dual_and_b32 v3, 0xffff, v0
	s_clause 0x1
	s_load_b128 s[4:7], s[0:1], 0x30
	s_load_b64 s[0:1], s[0:1], 0x40
	s_sub_u32 s14, s14, s12
	v_lshrrev_b16 v2, 8, v2
	v_mul_u32_u24_e32 v3, 0xa4, v3
	s_subb_u32 s15, s15, 0
	s_sub_u32 s16, s18, s12
	v_and_b32_e32 v4, 0xffff, v7
	v_mul_lo_u16 v2, v2, 20
	v_lshrrev_b32_e32 v8, 16, v3
	s_subb_u32 s17, s19, 0
	s_mul_hi_u32 s9, s16, 0x190
	s_mul_i32 s22, s17, 0x190
	v_sub_nc_u16 v1, v1, v2
	v_add_co_u32 v2, s18, s18, v8
	s_delay_alu instid0(VALU_DEP_1) | instskip(NEXT) | instid1(VALU_DEP_3)
	v_add_co_ci_u32_e64 v3, null, s19, 0, s18
	v_and_b32_e32 v1, 0xff, v1
	s_delay_alu instid0(VALU_DEP_3) | instskip(NEXT) | instid1(VALU_DEP_3)
	v_sub_co_u32 v2, vcc_lo, v2, s12
	v_subrev_co_ci_u32_e32 v3, vcc_lo, 0, v3, vcc_lo
	s_delay_alu instid0(VALU_DEP_3) | instskip(SKIP_2) | instid1(VALU_DEP_2)
	v_cndmask_b32_e64 v1, v4, v1, s2
	s_mul_i32 s21, s16, 0x190
	s_add_i32 s9, s9, s22
	v_lshlrev_b64 v[4:5], 2, v[2:3]
	s_waitcnt lgkmcnt(0)
	s_add_u32 s2, s6, s21
	s_addc_u32 s6, s7, s9
	v_add_co_u32 v2, s2, s2, v0
	s_delay_alu instid0(VALU_DEP_1)
	v_add_co_ci_u32_e64 v3, null, s6, 0, s2
	v_add_co_u32 v4, vcc_lo, s4, v4
	v_add_co_ci_u32_e32 v5, vcc_lo, s5, v5, vcc_lo
	s_set_inst_prefetch_distance 0x1
	s_branch .LBB211_14
	.p2align	6
.LBB211_13:                             ;   in Loop: Header=BB211_14 Depth=1
	s_or_b32 exec_lo, exec_lo, s2
	s_add_u32 s16, s16, 1
	s_addc_u32 s17, s17, 0
	v_add_co_u32 v4, vcc_lo, v4, 4
	v_cmp_lt_i64_e64 s2, s[16:17], s[14:15]
	v_add_co_ci_u32_e32 v5, vcc_lo, 0, v5, vcc_lo
	s_delay_alu instid0(VALU_DEP_2)
	s_and_b32 vcc_lo, exec_lo, s2
	s_cbranch_vccz .LBB211_16
.LBB211_14:                             ; =>This Inner Loop Header: Depth=1
	v_add_co_u32 v9, s2, v8, s16
	s_delay_alu instid0(VALU_DEP_1) | instskip(SKIP_1) | instid1(VALU_DEP_1)
	v_add_co_ci_u32_e64 v10, null, 0, s17, s2
	s_mov_b32 s2, exec_lo
	v_cmpx_gt_i64_e64 s[14:15], v[9:10]
	s_cbranch_execz .LBB211_13
; %bb.15:                               ;   in Loop: Header=BB211_14 Depth=1
	global_load_b32 v9, v[4:5], off
	s_waitcnt vmcnt(0)
	v_subrev_nc_u32_e32 v11, s12, v9
	s_delay_alu instid0(VALU_DEP_1) | instskip(NEXT) | instid1(VALU_DEP_1)
	v_mad_u64_u32 v[9:10], null, v11, 20, v[1:2]
	v_ashrrev_i32_e32 v10, 31, v9
	v_add_co_u32 v9, vcc_lo, s0, v9
	s_delay_alu instid0(VALU_DEP_2)
	v_add_co_ci_u32_e32 v10, vcc_lo, s1, v10, vcc_lo
	global_load_i8 v11, v[2:3], off
	global_load_i8 v9, v[9:10], off
	v_add_co_u32 v2, vcc_lo, 0x190, v2
	v_add_co_ci_u32_e32 v3, vcc_lo, 0, v3, vcc_lo
	s_waitcnt vmcnt(0)
	v_mad_i32_i24 v6, v9, v11, v6
	s_branch .LBB211_13
.LBB211_16:
	s_set_inst_prefetch_distance 0x2
	v_lshlrev_b32_e32 v1, 2, v0
	s_and_b32 vcc_lo, exec_lo, s20
	ds_store_b32 v1, v6
	s_waitcnt lgkmcnt(0)
	s_barrier
	buffer_gl0_inv
	s_cbranch_vccz .LBB211_28
; %bb.17:
	v_cmp_gt_u16_e32 vcc_lo, 4, v7
	s_and_saveexec_b32 s0, vcc_lo
	s_cbranch_execz .LBB211_19
; %bb.18:
	ds_load_2addr_b32 v[2:3], v1 offset1:16
	s_waitcnt lgkmcnt(0)
	v_add_nc_u32_e32 v2, v2, v3
	ds_store_b32 v1, v2
.LBB211_19:
	s_or_b32 exec_lo, exec_lo, s0
	s_delay_alu instid0(SALU_CYCLE_1)
	s_mov_b32 s1, exec_lo
	s_waitcnt lgkmcnt(0)
	s_barrier
	buffer_gl0_inv
	v_cmpx_gt_u16_e32 8, v7
	s_cbranch_execz .LBB211_21
; %bb.20:
	ds_load_2addr_b32 v[2:3], v1 offset1:8
	s_waitcnt lgkmcnt(0)
	v_add_nc_u32_e32 v2, v2, v3
	ds_store_b32 v1, v2
.LBB211_21:
	s_or_b32 exec_lo, exec_lo, s1
	s_waitcnt lgkmcnt(0)
	s_barrier
	buffer_gl0_inv
	s_and_saveexec_b32 s0, vcc_lo
	s_cbranch_execz .LBB211_23
; %bb.22:
	ds_load_2addr_b32 v[2:3], v1 offset1:4
	s_waitcnt lgkmcnt(0)
	v_add_nc_u32_e32 v2, v2, v3
	ds_store_b32 v1, v2
.LBB211_23:
	s_or_b32 exec_lo, exec_lo, s0
	s_delay_alu instid0(SALU_CYCLE_1)
	s_mov_b32 s0, exec_lo
	s_waitcnt lgkmcnt(0)
	s_barrier
	buffer_gl0_inv
	v_cmpx_gt_u16_e32 2, v7
	s_cbranch_execz .LBB211_25
; %bb.24:
	ds_load_2addr_b32 v[2:3], v1 offset1:2
	s_waitcnt lgkmcnt(0)
	v_add_nc_u32_e32 v2, v2, v3
	ds_store_b32 v1, v2
.LBB211_25:
	s_or_b32 exec_lo, exec_lo, s0
	s_mov_b32 s0, 0
	s_mov_b32 s1, 0
	s_mov_b32 s2, exec_lo
	s_waitcnt lgkmcnt(0)
	s_barrier
	buffer_gl0_inv
                                        ; implicit-def: $vgpr2
                                        ; implicit-def: $vgpr3
	v_cmpx_gt_u32_e32 20, v0
	s_xor_b32 s2, exec_lo, s2
; %bb.26:
	v_mul_u32_u24_e32 v3, 20, v0
	s_mov_b32 s1, exec_lo
	s_delay_alu instid0(VALU_DEP_1)
	v_or_b32_e32 v2, 1, v3
	v_lshlrev_b32_e32 v3, 2, v3
; %bb.27:
	s_or_b32 exec_lo, exec_lo, s2
	s_delay_alu instid0(SALU_CYCLE_1)
	s_and_b32 vcc_lo, exec_lo, s0
	s_cbranch_vccnz .LBB211_29
	s_branch .LBB211_40
.LBB211_28:
	s_mov_b32 s1, 0
                                        ; implicit-def: $vgpr2
                                        ; implicit-def: $vgpr3
	s_cbranch_execz .LBB211_40
.LBB211_29:
	v_cmp_gt_u32_e32 vcc_lo, 0x50, v0
	s_and_saveexec_b32 s0, vcc_lo
	s_cbranch_execz .LBB211_31
; %bb.30:
	ds_load_2addr_stride64_b32 v[2:3], v1 offset1:5
	s_waitcnt lgkmcnt(0)
	v_add_nc_u32_e32 v2, v2, v3
	ds_store_b32 v1, v2
.LBB211_31:
	s_or_b32 exec_lo, exec_lo, s0
	s_delay_alu instid0(SALU_CYCLE_1)
	s_mov_b32 s2, exec_lo
	s_waitcnt lgkmcnt(0)
	s_barrier
	buffer_gl0_inv
	v_cmpx_gt_u32_e32 0xa0, v0
	s_cbranch_execz .LBB211_33
; %bb.32:
	ds_load_2addr_b32 v[2:3], v1 offset1:160
	s_waitcnt lgkmcnt(0)
	v_add_nc_u32_e32 v2, v2, v3
	ds_store_b32 v1, v2
.LBB211_33:
	s_or_b32 exec_lo, exec_lo, s2
	s_waitcnt lgkmcnt(0)
	s_barrier
	buffer_gl0_inv
	s_and_saveexec_b32 s0, vcc_lo
	s_cbranch_execz .LBB211_35
; %bb.34:
	ds_load_2addr_b32 v[2:3], v1 offset1:80
	s_waitcnt lgkmcnt(0)
	v_add_nc_u32_e32 v2, v2, v3
	ds_store_b32 v1, v2
.LBB211_35:
	s_or_b32 exec_lo, exec_lo, s0
	s_delay_alu instid0(SALU_CYCLE_1)
	s_mov_b32 s0, exec_lo
	s_waitcnt lgkmcnt(0)
	s_barrier
	buffer_gl0_inv
	v_cmpx_gt_u32_e32 40, v0
	s_cbranch_execz .LBB211_37
; %bb.36:
	ds_load_2addr_b32 v[2:3], v1 offset1:40
	s_waitcnt lgkmcnt(0)
	v_add_nc_u32_e32 v2, v2, v3
	ds_store_b32 v1, v2
.LBB211_37:
	s_or_b32 exec_lo, exec_lo, s0
	s_delay_alu instid0(SALU_CYCLE_1)
	s_mov_b32 s0, exec_lo
	s_waitcnt lgkmcnt(0)
	buffer_gl0_inv
                                        ; implicit-def: $vgpr2
	v_cmpx_gt_u32_e32 20, v0
; %bb.38:
	v_add_nc_u32_e32 v2, 20, v0
	s_or_b32 s1, s1, exec_lo
                                        ; implicit-def: $vgpr6
; %bb.39:
	s_or_b32 exec_lo, exec_lo, s0
	v_mov_b32_e32 v3, v1
.LBB211_40:
	s_and_saveexec_b32 s0, s1
	s_cbranch_execz .LBB211_42
; %bb.41:
	v_lshlrev_b32_e32 v1, 2, v2
	ds_load_b32 v2, v3
	ds_load_b32 v1, v1
	s_waitcnt lgkmcnt(0)
	v_add_nc_u32_e32 v6, v1, v2
.LBB211_42:
	s_or_b32 exec_lo, exec_lo, s0
	s_delay_alu instid0(SALU_CYCLE_1)
	s_mov_b32 s0, exec_lo
	v_cmpx_gt_u32_e32 20, v0
	s_cbranch_execz .LBB211_46
; %bb.43:
	v_mul_lo_u32 v1, v6, s13
	s_cmp_eq_u32 s3, 0
	s_mov_b32 s0, 0
	s_cbranch_scc1 .LBB211_47
; %bb.44:
	s_delay_alu instid0(VALU_DEP_1) | instskip(SKIP_1) | instid1(VALU_DEP_1)
	v_mad_u64_u32 v[2:3], null, s8, 20, v[0:1]
	v_mov_b32_e32 v3, 0
	v_lshlrev_b64 v[2:3], 2, v[2:3]
	s_delay_alu instid0(VALU_DEP_1) | instskip(NEXT) | instid1(VALU_DEP_2)
	v_add_co_u32 v2, vcc_lo, s10, v2
	v_add_co_ci_u32_e32 v3, vcc_lo, s11, v3, vcc_lo
	global_load_b32 v6, v[2:3], off
	s_waitcnt vmcnt(0)
	v_mad_u64_u32 v[4:5], null, v6, s3, v[1:2]
	global_store_b32 v[2:3], v4, off
	s_and_not1_b32 vcc_lo, exec_lo, s0
	s_cbranch_vccnz .LBB211_46
.LBB211_45:
	s_delay_alu instid0(VALU_DEP_1) | instskip(SKIP_1) | instid1(VALU_DEP_1)
	v_mad_u64_u32 v[2:3], null, s8, 20, v[0:1]
	v_mov_b32_e32 v3, 0
	v_lshlrev_b64 v[2:3], 2, v[2:3]
	s_delay_alu instid0(VALU_DEP_1) | instskip(NEXT) | instid1(VALU_DEP_2)
	v_add_co_u32 v2, vcc_lo, s10, v2
	v_add_co_ci_u32_e32 v3, vcc_lo, s11, v3, vcc_lo
	global_store_b32 v[2:3], v1, off
.LBB211_46:
	s_nop 0
	s_sendmsg sendmsg(MSG_DEALLOC_VGPRS)
	s_endpgm
.LBB211_47:
	s_branch .LBB211_45
	.section	.rodata,"a",@progbits
	.p2align	6, 0x0
	.amdhsa_kernel _ZN9rocsparseL20bsrxmvn_17_32_kernelILj20EiliaaiEEvT2_20rocsparse_direction_NS_24const_host_device_scalarIT0_EES1_PKS1_PKT1_SA_S7_PKT3_PKT4_S5_PT5_21rocsparse_index_base_b
		.amdhsa_group_segment_fixed_size 1600
		.amdhsa_private_segment_fixed_size 0
		.amdhsa_kernarg_size 96
		.amdhsa_user_sgpr_count 15
		.amdhsa_user_sgpr_dispatch_ptr 0
		.amdhsa_user_sgpr_queue_ptr 0
		.amdhsa_user_sgpr_kernarg_segment_ptr 1
		.amdhsa_user_sgpr_dispatch_id 0
		.amdhsa_user_sgpr_private_segment_size 0
		.amdhsa_wavefront_size32 1
		.amdhsa_uses_dynamic_stack 0
		.amdhsa_enable_private_segment 0
		.amdhsa_system_sgpr_workgroup_id_x 1
		.amdhsa_system_sgpr_workgroup_id_y 0
		.amdhsa_system_sgpr_workgroup_id_z 0
		.amdhsa_system_sgpr_workgroup_info 0
		.amdhsa_system_vgpr_workitem_id 0
		.amdhsa_next_free_vgpr 12
		.amdhsa_next_free_sgpr 23
		.amdhsa_reserve_vcc 1
		.amdhsa_float_round_mode_32 0
		.amdhsa_float_round_mode_16_64 0
		.amdhsa_float_denorm_mode_32 3
		.amdhsa_float_denorm_mode_16_64 3
		.amdhsa_dx10_clamp 1
		.amdhsa_ieee_mode 1
		.amdhsa_fp16_overflow 0
		.amdhsa_workgroup_processor_mode 1
		.amdhsa_memory_ordered 1
		.amdhsa_forward_progress 0
		.amdhsa_shared_vgpr_count 0
		.amdhsa_exception_fp_ieee_invalid_op 0
		.amdhsa_exception_fp_denorm_src 0
		.amdhsa_exception_fp_ieee_div_zero 0
		.amdhsa_exception_fp_ieee_overflow 0
		.amdhsa_exception_fp_ieee_underflow 0
		.amdhsa_exception_fp_ieee_inexact 0
		.amdhsa_exception_int_div_zero 0
	.end_amdhsa_kernel
	.section	.text._ZN9rocsparseL20bsrxmvn_17_32_kernelILj20EiliaaiEEvT2_20rocsparse_direction_NS_24const_host_device_scalarIT0_EES1_PKS1_PKT1_SA_S7_PKT3_PKT4_S5_PT5_21rocsparse_index_base_b,"axG",@progbits,_ZN9rocsparseL20bsrxmvn_17_32_kernelILj20EiliaaiEEvT2_20rocsparse_direction_NS_24const_host_device_scalarIT0_EES1_PKS1_PKT1_SA_S7_PKT3_PKT4_S5_PT5_21rocsparse_index_base_b,comdat
.Lfunc_end211:
	.size	_ZN9rocsparseL20bsrxmvn_17_32_kernelILj20EiliaaiEEvT2_20rocsparse_direction_NS_24const_host_device_scalarIT0_EES1_PKS1_PKT1_SA_S7_PKT3_PKT4_S5_PT5_21rocsparse_index_base_b, .Lfunc_end211-_ZN9rocsparseL20bsrxmvn_17_32_kernelILj20EiliaaiEEvT2_20rocsparse_direction_NS_24const_host_device_scalarIT0_EES1_PKS1_PKT1_SA_S7_PKT3_PKT4_S5_PT5_21rocsparse_index_base_b
                                        ; -- End function
	.section	.AMDGPU.csdata,"",@progbits
; Kernel info:
; codeLenInByte = 1644
; NumSgprs: 25
; NumVgprs: 12
; ScratchSize: 0
; MemoryBound: 0
; FloatMode: 240
; IeeeMode: 1
; LDSByteSize: 1600 bytes/workgroup (compile time only)
; SGPRBlocks: 3
; VGPRBlocks: 1
; NumSGPRsForWavesPerEU: 25
; NumVGPRsForWavesPerEU: 12
; Occupancy: 13
; WaveLimiterHint : 1
; COMPUTE_PGM_RSRC2:SCRATCH_EN: 0
; COMPUTE_PGM_RSRC2:USER_SGPR: 15
; COMPUTE_PGM_RSRC2:TRAP_HANDLER: 0
; COMPUTE_PGM_RSRC2:TGID_X_EN: 1
; COMPUTE_PGM_RSRC2:TGID_Y_EN: 0
; COMPUTE_PGM_RSRC2:TGID_Z_EN: 0
; COMPUTE_PGM_RSRC2:TIDIG_COMP_CNT: 0
	.section	.text._ZN9rocsparseL20bsrxmvn_17_32_kernelILj21EiliaaiEEvT2_20rocsparse_direction_NS_24const_host_device_scalarIT0_EES1_PKS1_PKT1_SA_S7_PKT3_PKT4_S5_PT5_21rocsparse_index_base_b,"axG",@progbits,_ZN9rocsparseL20bsrxmvn_17_32_kernelILj21EiliaaiEEvT2_20rocsparse_direction_NS_24const_host_device_scalarIT0_EES1_PKS1_PKT1_SA_S7_PKT3_PKT4_S5_PT5_21rocsparse_index_base_b,comdat
	.globl	_ZN9rocsparseL20bsrxmvn_17_32_kernelILj21EiliaaiEEvT2_20rocsparse_direction_NS_24const_host_device_scalarIT0_EES1_PKS1_PKT1_SA_S7_PKT3_PKT4_S5_PT5_21rocsparse_index_base_b ; -- Begin function _ZN9rocsparseL20bsrxmvn_17_32_kernelILj21EiliaaiEEvT2_20rocsparse_direction_NS_24const_host_device_scalarIT0_EES1_PKS1_PKT1_SA_S7_PKT3_PKT4_S5_PT5_21rocsparse_index_base_b
	.p2align	8
	.type	_ZN9rocsparseL20bsrxmvn_17_32_kernelILj21EiliaaiEEvT2_20rocsparse_direction_NS_24const_host_device_scalarIT0_EES1_PKS1_PKT1_SA_S7_PKT3_PKT4_S5_PT5_21rocsparse_index_base_b,@function
_ZN9rocsparseL20bsrxmvn_17_32_kernelILj21EiliaaiEEvT2_20rocsparse_direction_NS_24const_host_device_scalarIT0_EES1_PKS1_PKT1_SA_S7_PKT3_PKT4_S5_PT5_21rocsparse_index_base_b: ; @_ZN9rocsparseL20bsrxmvn_17_32_kernelILj21EiliaaiEEvT2_20rocsparse_direction_NS_24const_host_device_scalarIT0_EES1_PKS1_PKT1_SA_S7_PKT3_PKT4_S5_PT5_21rocsparse_index_base_b
; %bb.0:
	s_clause 0x1
	s_load_b64 s[12:13], s[0:1], 0x58
	s_load_b64 s[4:5], s[0:1], 0x8
	s_mov_b32 s8, s15
	s_mov_b32 s7, -1
	s_waitcnt lgkmcnt(0)
	s_bitcmp1_b32 s13, 0
                                        ; implicit-def: $sgpr13
	s_cselect_b32 s2, -1, 0
	s_delay_alu instid0(SALU_CYCLE_1) | instskip(NEXT) | instid1(SALU_CYCLE_1)
	s_xor_b32 s6, s2, -1
	s_and_b32 vcc_lo, exec_lo, s6
	s_cbranch_vccnz .LBB212_4
; %bb.1:
	s_load_b64 s[2:3], s[0:1], 0x48
	s_and_not1_b32 vcc_lo, exec_lo, s7
	s_cbranch_vccz .LBB212_5
.LBB212_2:
	s_and_b32 vcc_lo, exec_lo, s6
	s_cbranch_vccz .LBB212_6
.LBB212_3:
	s_waitcnt lgkmcnt(0)
	s_load_b32 s3, s[2:3], 0x0
	s_cbranch_execz .LBB212_7
	s_branch .LBB212_8
.LBB212_4:
	s_load_b32 s13, s[4:5], 0x0
	s_load_b64 s[2:3], s[0:1], 0x48
	s_cbranch_execnz .LBB212_2
.LBB212_5:
	s_waitcnt lgkmcnt(0)
	s_mov_b32 s13, s4
	s_and_b32 vcc_lo, exec_lo, s6
	s_cbranch_vccnz .LBB212_3
.LBB212_6:
                                        ; implicit-def: $sgpr3
.LBB212_7:
	s_waitcnt lgkmcnt(0)
	s_mov_b32 s3, s2
.LBB212_8:
	s_waitcnt lgkmcnt(0)
	s_cmp_lg_u32 s13, 0
	s_cselect_b32 s2, -1, 0
	s_cmp_lg_u32 s3, 1
	s_cselect_b32 s4, -1, 0
	s_delay_alu instid0(SALU_CYCLE_1) | instskip(NEXT) | instid1(SALU_CYCLE_1)
	s_or_b32 s2, s2, s4
	s_and_not1_b32 vcc_lo, exec_lo, s2
	s_cbranch_vccnz .LBB212_46
; %bb.9:
	s_clause 0x1
	s_load_b128 s[4:7], s[0:1], 0x18
	s_load_b64 s[10:11], s[0:1], 0x28
	s_waitcnt lgkmcnt(0)
	s_cmp_eq_u64 s[4:5], 0
	s_cbranch_scc1 .LBB212_11
; %bb.10:
	s_ashr_i32 s9, s8, 31
	s_delay_alu instid0(SALU_CYCLE_1) | instskip(NEXT) | instid1(SALU_CYCLE_1)
	s_lshl_b64 s[8:9], s[8:9], 2
	s_add_u32 s4, s4, s8
	s_addc_u32 s5, s5, s9
	s_load_b32 s2, s[4:5], 0x0
	s_waitcnt lgkmcnt(0)
	s_sub_i32 s8, s2, s12
.LBB212_11:
	s_load_b32 s4, s[0:1], 0x4
	v_mul_u32_u24_e32 v1, 0xc31, v0
	v_mov_b32_e32 v6, 0
	s_delay_alu instid0(VALU_DEP_2) | instskip(NEXT) | instid1(VALU_DEP_1)
	v_lshrrev_b32_e32 v1, 16, v1
	v_mul_lo_u16 v2, v1, 21
	s_delay_alu instid0(VALU_DEP_1)
	v_sub_nc_u16 v7, v0, v2
	s_waitcnt lgkmcnt(0)
	s_cmp_eq_u32 s4, 1
	s_cselect_b32 s2, -1, 0
	s_cmp_lg_u32 s4, 1
	s_cselect_b32 s20, -1, 0
	s_ashr_i32 s9, s8, 31
	s_delay_alu instid0(SALU_CYCLE_1) | instskip(NEXT) | instid1(SALU_CYCLE_1)
	s_lshl_b64 s[4:5], s[8:9], 3
	s_add_u32 s6, s6, s4
	s_addc_u32 s7, s7, s5
	s_add_u32 s9, s6, 8
	s_addc_u32 s14, s7, 0
	;; [unrolled: 2-line block ×3, first 2 shown]
	s_cmp_eq_u64 s[10:11], 0
	s_load_b64 s[10:11], s[0:1], 0x50
	s_cselect_b32 s5, s14, s5
	s_cselect_b32 s4, s9, s4
	s_load_b64 s[18:19], s[6:7], 0x0
	s_load_b64 s[14:15], s[4:5], 0x0
	s_waitcnt lgkmcnt(0)
	v_cmp_ge_i64_e64 s4, s[18:19], s[14:15]
	s_delay_alu instid0(VALU_DEP_1)
	s_and_b32 vcc_lo, exec_lo, s4
	s_cbranch_vccnz .LBB212_16
; %bb.12:
	v_mul_lo_u16 v2, v1, 25
	v_dual_mov_b32 v6, 0 :: v_dual_and_b32 v3, 0xffff, v0
	s_clause 0x1
	s_load_b128 s[4:7], s[0:1], 0x30
	s_load_b64 s[0:1], s[0:1], 0x40
	s_sub_u32 s14, s14, s12
	v_lshrrev_b16 v2, 9, v2
	v_mul_u32_u24_e32 v3, 0x253, v3
	s_subb_u32 s15, s15, 0
	s_sub_u32 s16, s18, s12
	v_and_b32_e32 v4, 0xffff, v7
	v_mul_lo_u16 v2, v2, 21
	v_lshrrev_b32_e32 v8, 18, v3
	s_subb_u32 s17, s19, 0
	s_mul_hi_u32 s9, s16, 0x1b9
	s_mul_i32 s22, s17, 0x1b9
	v_sub_nc_u16 v1, v1, v2
	v_add_co_u32 v2, s18, s18, v8
	s_delay_alu instid0(VALU_DEP_1) | instskip(NEXT) | instid1(VALU_DEP_3)
	v_add_co_ci_u32_e64 v3, null, s19, 0, s18
	v_and_b32_e32 v1, 0xff, v1
	s_delay_alu instid0(VALU_DEP_3) | instskip(NEXT) | instid1(VALU_DEP_3)
	v_sub_co_u32 v2, vcc_lo, v2, s12
	v_subrev_co_ci_u32_e32 v3, vcc_lo, 0, v3, vcc_lo
	s_delay_alu instid0(VALU_DEP_3) | instskip(SKIP_2) | instid1(VALU_DEP_2)
	v_cndmask_b32_e64 v1, v4, v1, s2
	s_mul_i32 s21, s16, 0x1b9
	s_add_i32 s9, s9, s22
	v_lshlrev_b64 v[4:5], 2, v[2:3]
	s_waitcnt lgkmcnt(0)
	s_add_u32 s2, s6, s21
	s_addc_u32 s6, s7, s9
	v_add_co_u32 v2, s2, s2, v0
	s_delay_alu instid0(VALU_DEP_1)
	v_add_co_ci_u32_e64 v3, null, s6, 0, s2
	v_add_co_u32 v4, vcc_lo, s4, v4
	v_add_co_ci_u32_e32 v5, vcc_lo, s5, v5, vcc_lo
	s_set_inst_prefetch_distance 0x1
	s_branch .LBB212_14
	.p2align	6
.LBB212_13:                             ;   in Loop: Header=BB212_14 Depth=1
	s_or_b32 exec_lo, exec_lo, s2
	s_add_u32 s16, s16, 1
	s_addc_u32 s17, s17, 0
	v_add_co_u32 v4, vcc_lo, v4, 4
	v_cmp_lt_i64_e64 s2, s[16:17], s[14:15]
	v_add_co_ci_u32_e32 v5, vcc_lo, 0, v5, vcc_lo
	s_delay_alu instid0(VALU_DEP_2)
	s_and_b32 vcc_lo, exec_lo, s2
	s_cbranch_vccz .LBB212_16
.LBB212_14:                             ; =>This Inner Loop Header: Depth=1
	v_add_co_u32 v9, s2, v8, s16
	s_delay_alu instid0(VALU_DEP_1) | instskip(SKIP_1) | instid1(VALU_DEP_1)
	v_add_co_ci_u32_e64 v10, null, 0, s17, s2
	s_mov_b32 s2, exec_lo
	v_cmpx_gt_i64_e64 s[14:15], v[9:10]
	s_cbranch_execz .LBB212_13
; %bb.15:                               ;   in Loop: Header=BB212_14 Depth=1
	global_load_b32 v9, v[4:5], off
	s_waitcnt vmcnt(0)
	v_subrev_nc_u32_e32 v11, s12, v9
	s_delay_alu instid0(VALU_DEP_1) | instskip(NEXT) | instid1(VALU_DEP_1)
	v_mad_u64_u32 v[9:10], null, v11, 21, v[1:2]
	v_ashrrev_i32_e32 v10, 31, v9
	v_add_co_u32 v9, vcc_lo, s0, v9
	s_delay_alu instid0(VALU_DEP_2)
	v_add_co_ci_u32_e32 v10, vcc_lo, s1, v10, vcc_lo
	global_load_i8 v11, v[2:3], off
	global_load_i8 v9, v[9:10], off
	v_add_co_u32 v2, vcc_lo, 0x1b9, v2
	v_add_co_ci_u32_e32 v3, vcc_lo, 0, v3, vcc_lo
	s_waitcnt vmcnt(0)
	v_mad_i32_i24 v6, v9, v11, v6
	s_branch .LBB212_13
.LBB212_16:
	s_set_inst_prefetch_distance 0x2
	v_lshlrev_b32_e32 v1, 2, v0
	s_and_b32 vcc_lo, exec_lo, s20
	ds_store_b32 v1, v6
	s_waitcnt lgkmcnt(0)
	s_barrier
	buffer_gl0_inv
	s_cbranch_vccz .LBB212_28
; %bb.17:
	s_mov_b32 s0, exec_lo
	v_cmpx_gt_u16_e32 5, v7
	s_cbranch_execz .LBB212_19
; %bb.18:
	ds_load_2addr_b32 v[2:3], v1 offset1:16
	s_waitcnt lgkmcnt(0)
	v_add_nc_u32_e32 v2, v2, v3
	ds_store_b32 v1, v2
.LBB212_19:
	s_or_b32 exec_lo, exec_lo, s0
	s_delay_alu instid0(SALU_CYCLE_1)
	s_mov_b32 s0, exec_lo
	s_waitcnt lgkmcnt(0)
	s_barrier
	buffer_gl0_inv
	v_cmpx_gt_u16_e32 8, v7
	s_cbranch_execz .LBB212_21
; %bb.20:
	ds_load_2addr_b32 v[2:3], v1 offset1:8
	s_waitcnt lgkmcnt(0)
	v_add_nc_u32_e32 v2, v2, v3
	ds_store_b32 v1, v2
.LBB212_21:
	s_or_b32 exec_lo, exec_lo, s0
	s_delay_alu instid0(SALU_CYCLE_1)
	s_mov_b32 s0, exec_lo
	s_waitcnt lgkmcnt(0)
	s_barrier
	buffer_gl0_inv
	v_cmpx_gt_u16_e32 4, v7
	s_cbranch_execz .LBB212_23
; %bb.22:
	ds_load_2addr_b32 v[2:3], v1 offset1:4
	s_waitcnt lgkmcnt(0)
	v_add_nc_u32_e32 v2, v2, v3
	ds_store_b32 v1, v2
.LBB212_23:
	s_or_b32 exec_lo, exec_lo, s0
	s_delay_alu instid0(SALU_CYCLE_1)
	s_mov_b32 s0, exec_lo
	s_waitcnt lgkmcnt(0)
	s_barrier
	buffer_gl0_inv
	v_cmpx_gt_u16_e32 2, v7
	s_cbranch_execz .LBB212_25
; %bb.24:
	ds_load_2addr_b32 v[2:3], v1 offset1:2
	s_waitcnt lgkmcnt(0)
	v_add_nc_u32_e32 v2, v2, v3
	ds_store_b32 v1, v2
.LBB212_25:
	s_or_b32 exec_lo, exec_lo, s0
	s_mov_b32 s1, 0
	s_mov_b32 s0, 0
	s_mov_b32 s2, exec_lo
	s_waitcnt lgkmcnt(0)
	s_barrier
	buffer_gl0_inv
                                        ; implicit-def: $vgpr2
                                        ; implicit-def: $vgpr3
	v_cmpx_gt_u32_e32 21, v0
	s_xor_b32 s2, exec_lo, s2
; %bb.26:
	v_mul_u32_u24_e32 v3, 21, v0
	v_mad_u32_u24 v2, v0, 21, 1
	s_mov_b32 s0, exec_lo
	s_delay_alu instid0(VALU_DEP_2)
	v_lshlrev_b32_e32 v3, 2, v3
; %bb.27:
	s_or_b32 exec_lo, exec_lo, s2
	s_delay_alu instid0(SALU_CYCLE_1)
	s_and_b32 vcc_lo, exec_lo, s1
	s_cbranch_vccnz .LBB212_29
	s_branch .LBB212_40
.LBB212_28:
	s_mov_b32 s0, 0
                                        ; implicit-def: $vgpr2
                                        ; implicit-def: $vgpr3
	s_cbranch_execz .LBB212_40
.LBB212_29:
	s_mov_b32 s1, exec_lo
	v_cmpx_gt_u32_e32 0x69, v0
	s_cbranch_execz .LBB212_31
; %bb.30:
	ds_load_b32 v2, v1 offset:1344
	ds_load_b32 v3, v1
	s_waitcnt lgkmcnt(0)
	v_add_nc_u32_e32 v2, v3, v2
	ds_store_b32 v1, v2
.LBB212_31:
	s_or_b32 exec_lo, exec_lo, s1
	s_delay_alu instid0(SALU_CYCLE_1)
	s_mov_b32 s1, exec_lo
	s_waitcnt lgkmcnt(0)
	s_barrier
	buffer_gl0_inv
	v_cmpx_gt_u32_e32 0xa8, v0
	s_cbranch_execz .LBB212_33
; %bb.32:
	ds_load_2addr_b32 v[2:3], v1 offset1:168
	s_waitcnt lgkmcnt(0)
	v_add_nc_u32_e32 v2, v2, v3
	ds_store_b32 v1, v2
.LBB212_33:
	s_or_b32 exec_lo, exec_lo, s1
	s_delay_alu instid0(SALU_CYCLE_1)
	s_mov_b32 s1, exec_lo
	s_waitcnt lgkmcnt(0)
	s_barrier
	buffer_gl0_inv
	v_cmpx_gt_u32_e32 0x54, v0
	s_cbranch_execz .LBB212_35
; %bb.34:
	ds_load_2addr_b32 v[2:3], v1 offset1:84
	s_waitcnt lgkmcnt(0)
	v_add_nc_u32_e32 v2, v2, v3
	ds_store_b32 v1, v2
.LBB212_35:
	;; [unrolled: 14-line block ×3, first 2 shown]
	s_or_b32 exec_lo, exec_lo, s1
	s_delay_alu instid0(SALU_CYCLE_1)
	s_mov_b32 s1, exec_lo
	s_waitcnt lgkmcnt(0)
	buffer_gl0_inv
                                        ; implicit-def: $vgpr2
	v_cmpx_gt_u32_e32 21, v0
; %bb.38:
	v_add_nc_u32_e32 v2, 21, v0
	s_or_b32 s0, s0, exec_lo
                                        ; implicit-def: $vgpr6
; %bb.39:
	s_or_b32 exec_lo, exec_lo, s1
	v_mov_b32_e32 v3, v1
.LBB212_40:
	s_and_saveexec_b32 s1, s0
	s_cbranch_execz .LBB212_42
; %bb.41:
	v_lshlrev_b32_e32 v1, 2, v2
	ds_load_b32 v2, v3
	ds_load_b32 v1, v1
	s_waitcnt lgkmcnt(0)
	v_add_nc_u32_e32 v6, v1, v2
.LBB212_42:
	s_or_b32 exec_lo, exec_lo, s1
	s_delay_alu instid0(SALU_CYCLE_1)
	s_mov_b32 s0, exec_lo
	v_cmpx_gt_u32_e32 21, v0
	s_cbranch_execz .LBB212_46
; %bb.43:
	v_mul_lo_u32 v1, v6, s13
	s_cmp_eq_u32 s3, 0
	s_mov_b32 s0, 0
	s_cbranch_scc1 .LBB212_47
; %bb.44:
	s_delay_alu instid0(VALU_DEP_1) | instskip(SKIP_1) | instid1(VALU_DEP_1)
	v_mad_u64_u32 v[2:3], null, s8, 21, v[0:1]
	v_mov_b32_e32 v3, 0
	v_lshlrev_b64 v[2:3], 2, v[2:3]
	s_delay_alu instid0(VALU_DEP_1) | instskip(NEXT) | instid1(VALU_DEP_2)
	v_add_co_u32 v2, vcc_lo, s10, v2
	v_add_co_ci_u32_e32 v3, vcc_lo, s11, v3, vcc_lo
	global_load_b32 v6, v[2:3], off
	s_waitcnt vmcnt(0)
	v_mad_u64_u32 v[4:5], null, v6, s3, v[1:2]
	global_store_b32 v[2:3], v4, off
	s_and_not1_b32 vcc_lo, exec_lo, s0
	s_cbranch_vccnz .LBB212_46
.LBB212_45:
	s_delay_alu instid0(VALU_DEP_1) | instskip(SKIP_1) | instid1(VALU_DEP_1)
	v_mad_u64_u32 v[2:3], null, s8, 21, v[0:1]
	v_mov_b32_e32 v3, 0
	v_lshlrev_b64 v[2:3], 2, v[2:3]
	s_delay_alu instid0(VALU_DEP_1) | instskip(NEXT) | instid1(VALU_DEP_2)
	v_add_co_u32 v2, vcc_lo, s10, v2
	v_add_co_ci_u32_e32 v3, vcc_lo, s11, v3, vcc_lo
	global_store_b32 v[2:3], v1, off
.LBB212_46:
	s_nop 0
	s_sendmsg sendmsg(MSG_DEALLOC_VGPRS)
	s_endpgm
.LBB212_47:
	s_branch .LBB212_45
	.section	.rodata,"a",@progbits
	.p2align	6, 0x0
	.amdhsa_kernel _ZN9rocsparseL20bsrxmvn_17_32_kernelILj21EiliaaiEEvT2_20rocsparse_direction_NS_24const_host_device_scalarIT0_EES1_PKS1_PKT1_SA_S7_PKT3_PKT4_S5_PT5_21rocsparse_index_base_b
		.amdhsa_group_segment_fixed_size 1764
		.amdhsa_private_segment_fixed_size 0
		.amdhsa_kernarg_size 96
		.amdhsa_user_sgpr_count 15
		.amdhsa_user_sgpr_dispatch_ptr 0
		.amdhsa_user_sgpr_queue_ptr 0
		.amdhsa_user_sgpr_kernarg_segment_ptr 1
		.amdhsa_user_sgpr_dispatch_id 0
		.amdhsa_user_sgpr_private_segment_size 0
		.amdhsa_wavefront_size32 1
		.amdhsa_uses_dynamic_stack 0
		.amdhsa_enable_private_segment 0
		.amdhsa_system_sgpr_workgroup_id_x 1
		.amdhsa_system_sgpr_workgroup_id_y 0
		.amdhsa_system_sgpr_workgroup_id_z 0
		.amdhsa_system_sgpr_workgroup_info 0
		.amdhsa_system_vgpr_workitem_id 0
		.amdhsa_next_free_vgpr 12
		.amdhsa_next_free_sgpr 23
		.amdhsa_reserve_vcc 1
		.amdhsa_float_round_mode_32 0
		.amdhsa_float_round_mode_16_64 0
		.amdhsa_float_denorm_mode_32 3
		.amdhsa_float_denorm_mode_16_64 3
		.amdhsa_dx10_clamp 1
		.amdhsa_ieee_mode 1
		.amdhsa_fp16_overflow 0
		.amdhsa_workgroup_processor_mode 1
		.amdhsa_memory_ordered 1
		.amdhsa_forward_progress 0
		.amdhsa_shared_vgpr_count 0
		.amdhsa_exception_fp_ieee_invalid_op 0
		.amdhsa_exception_fp_denorm_src 0
		.amdhsa_exception_fp_ieee_div_zero 0
		.amdhsa_exception_fp_ieee_overflow 0
		.amdhsa_exception_fp_ieee_underflow 0
		.amdhsa_exception_fp_ieee_inexact 0
		.amdhsa_exception_int_div_zero 0
	.end_amdhsa_kernel
	.section	.text._ZN9rocsparseL20bsrxmvn_17_32_kernelILj21EiliaaiEEvT2_20rocsparse_direction_NS_24const_host_device_scalarIT0_EES1_PKS1_PKT1_SA_S7_PKT3_PKT4_S5_PT5_21rocsparse_index_base_b,"axG",@progbits,_ZN9rocsparseL20bsrxmvn_17_32_kernelILj21EiliaaiEEvT2_20rocsparse_direction_NS_24const_host_device_scalarIT0_EES1_PKS1_PKT1_SA_S7_PKT3_PKT4_S5_PT5_21rocsparse_index_base_b,comdat
.Lfunc_end212:
	.size	_ZN9rocsparseL20bsrxmvn_17_32_kernelILj21EiliaaiEEvT2_20rocsparse_direction_NS_24const_host_device_scalarIT0_EES1_PKS1_PKT1_SA_S7_PKT3_PKT4_S5_PT5_21rocsparse_index_base_b, .Lfunc_end212-_ZN9rocsparseL20bsrxmvn_17_32_kernelILj21EiliaaiEEvT2_20rocsparse_direction_NS_24const_host_device_scalarIT0_EES1_PKS1_PKT1_SA_S7_PKT3_PKT4_S5_PT5_21rocsparse_index_base_b
                                        ; -- End function
	.section	.AMDGPU.csdata,"",@progbits
; Kernel info:
; codeLenInByte = 1676
; NumSgprs: 25
; NumVgprs: 12
; ScratchSize: 0
; MemoryBound: 0
; FloatMode: 240
; IeeeMode: 1
; LDSByteSize: 1764 bytes/workgroup (compile time only)
; SGPRBlocks: 3
; VGPRBlocks: 1
; NumSGPRsForWavesPerEU: 25
; NumVGPRsForWavesPerEU: 12
; Occupancy: 14
; WaveLimiterHint : 1
; COMPUTE_PGM_RSRC2:SCRATCH_EN: 0
; COMPUTE_PGM_RSRC2:USER_SGPR: 15
; COMPUTE_PGM_RSRC2:TRAP_HANDLER: 0
; COMPUTE_PGM_RSRC2:TGID_X_EN: 1
; COMPUTE_PGM_RSRC2:TGID_Y_EN: 0
; COMPUTE_PGM_RSRC2:TGID_Z_EN: 0
; COMPUTE_PGM_RSRC2:TIDIG_COMP_CNT: 0
	.section	.text._ZN9rocsparseL20bsrxmvn_17_32_kernelILj22EiliaaiEEvT2_20rocsparse_direction_NS_24const_host_device_scalarIT0_EES1_PKS1_PKT1_SA_S7_PKT3_PKT4_S5_PT5_21rocsparse_index_base_b,"axG",@progbits,_ZN9rocsparseL20bsrxmvn_17_32_kernelILj22EiliaaiEEvT2_20rocsparse_direction_NS_24const_host_device_scalarIT0_EES1_PKS1_PKT1_SA_S7_PKT3_PKT4_S5_PT5_21rocsparse_index_base_b,comdat
	.globl	_ZN9rocsparseL20bsrxmvn_17_32_kernelILj22EiliaaiEEvT2_20rocsparse_direction_NS_24const_host_device_scalarIT0_EES1_PKS1_PKT1_SA_S7_PKT3_PKT4_S5_PT5_21rocsparse_index_base_b ; -- Begin function _ZN9rocsparseL20bsrxmvn_17_32_kernelILj22EiliaaiEEvT2_20rocsparse_direction_NS_24const_host_device_scalarIT0_EES1_PKS1_PKT1_SA_S7_PKT3_PKT4_S5_PT5_21rocsparse_index_base_b
	.p2align	8
	.type	_ZN9rocsparseL20bsrxmvn_17_32_kernelILj22EiliaaiEEvT2_20rocsparse_direction_NS_24const_host_device_scalarIT0_EES1_PKS1_PKT1_SA_S7_PKT3_PKT4_S5_PT5_21rocsparse_index_base_b,@function
_ZN9rocsparseL20bsrxmvn_17_32_kernelILj22EiliaaiEEvT2_20rocsparse_direction_NS_24const_host_device_scalarIT0_EES1_PKS1_PKT1_SA_S7_PKT3_PKT4_S5_PT5_21rocsparse_index_base_b: ; @_ZN9rocsparseL20bsrxmvn_17_32_kernelILj22EiliaaiEEvT2_20rocsparse_direction_NS_24const_host_device_scalarIT0_EES1_PKS1_PKT1_SA_S7_PKT3_PKT4_S5_PT5_21rocsparse_index_base_b
; %bb.0:
	s_clause 0x1
	s_load_b64 s[12:13], s[0:1], 0x58
	s_load_b64 s[4:5], s[0:1], 0x8
	s_mov_b32 s8, s15
	s_mov_b32 s7, -1
	s_waitcnt lgkmcnt(0)
	s_bitcmp1_b32 s13, 0
                                        ; implicit-def: $sgpr13
	s_cselect_b32 s2, -1, 0
	s_delay_alu instid0(SALU_CYCLE_1) | instskip(NEXT) | instid1(SALU_CYCLE_1)
	s_xor_b32 s6, s2, -1
	s_and_b32 vcc_lo, exec_lo, s6
	s_cbranch_vccnz .LBB213_4
; %bb.1:
	s_load_b64 s[2:3], s[0:1], 0x48
	s_and_not1_b32 vcc_lo, exec_lo, s7
	s_cbranch_vccz .LBB213_5
.LBB213_2:
	s_and_b32 vcc_lo, exec_lo, s6
	s_cbranch_vccz .LBB213_6
.LBB213_3:
	s_waitcnt lgkmcnt(0)
	s_load_b32 s3, s[2:3], 0x0
	s_cbranch_execz .LBB213_7
	s_branch .LBB213_8
.LBB213_4:
	s_load_b32 s13, s[4:5], 0x0
	s_load_b64 s[2:3], s[0:1], 0x48
	s_cbranch_execnz .LBB213_2
.LBB213_5:
	s_waitcnt lgkmcnt(0)
	s_mov_b32 s13, s4
	s_and_b32 vcc_lo, exec_lo, s6
	s_cbranch_vccnz .LBB213_3
.LBB213_6:
                                        ; implicit-def: $sgpr3
.LBB213_7:
	s_waitcnt lgkmcnt(0)
	s_mov_b32 s3, s2
.LBB213_8:
	s_waitcnt lgkmcnt(0)
	s_cmp_lg_u32 s13, 0
	s_cselect_b32 s2, -1, 0
	s_cmp_lg_u32 s3, 1
	s_cselect_b32 s4, -1, 0
	s_delay_alu instid0(SALU_CYCLE_1) | instskip(NEXT) | instid1(SALU_CYCLE_1)
	s_or_b32 s2, s2, s4
	s_and_not1_b32 vcc_lo, exec_lo, s2
	s_cbranch_vccnz .LBB213_46
; %bb.9:
	s_clause 0x1
	s_load_b128 s[4:7], s[0:1], 0x18
	s_load_b64 s[10:11], s[0:1], 0x28
	s_waitcnt lgkmcnt(0)
	s_cmp_eq_u64 s[4:5], 0
	s_cbranch_scc1 .LBB213_11
; %bb.10:
	s_ashr_i32 s9, s8, 31
	s_delay_alu instid0(SALU_CYCLE_1) | instskip(NEXT) | instid1(SALU_CYCLE_1)
	s_lshl_b64 s[8:9], s[8:9], 2
	s_add_u32 s4, s4, s8
	s_addc_u32 s5, s5, s9
	s_load_b32 s2, s[4:5], 0x0
	s_waitcnt lgkmcnt(0)
	s_sub_i32 s8, s2, s12
.LBB213_11:
	s_load_b32 s4, s[0:1], 0x4
	v_mul_u32_u24_e32 v1, 0xba3, v0
	v_mov_b32_e32 v6, 0
	s_delay_alu instid0(VALU_DEP_2) | instskip(NEXT) | instid1(VALU_DEP_1)
	v_lshrrev_b32_e32 v1, 16, v1
	v_mul_lo_u16 v2, v1, 22
	s_delay_alu instid0(VALU_DEP_1)
	v_sub_nc_u16 v7, v0, v2
	s_waitcnt lgkmcnt(0)
	s_cmp_eq_u32 s4, 1
	s_cselect_b32 s2, -1, 0
	s_cmp_lg_u32 s4, 1
	s_cselect_b32 s20, -1, 0
	s_ashr_i32 s9, s8, 31
	s_delay_alu instid0(SALU_CYCLE_1) | instskip(NEXT) | instid1(SALU_CYCLE_1)
	s_lshl_b64 s[4:5], s[8:9], 3
	s_add_u32 s6, s6, s4
	s_addc_u32 s7, s7, s5
	s_add_u32 s9, s6, 8
	s_addc_u32 s14, s7, 0
	;; [unrolled: 2-line block ×3, first 2 shown]
	s_cmp_eq_u64 s[10:11], 0
	s_load_b64 s[10:11], s[0:1], 0x50
	s_cselect_b32 s5, s14, s5
	s_cselect_b32 s4, s9, s4
	s_load_b64 s[18:19], s[6:7], 0x0
	s_load_b64 s[14:15], s[4:5], 0x0
	s_waitcnt lgkmcnt(0)
	v_cmp_ge_i64_e64 s4, s[18:19], s[14:15]
	s_delay_alu instid0(VALU_DEP_1)
	s_and_b32 vcc_lo, exec_lo, s4
	s_cbranch_vccnz .LBB213_16
; %bb.12:
	v_mul_lo_u16 v2, v1, 12
	v_dual_mov_b32 v6, 0 :: v_dual_and_b32 v3, 0xffff, v0
	s_clause 0x1
	s_load_b128 s[4:7], s[0:1], 0x30
	s_load_b64 s[0:1], s[0:1], 0x40
	s_sub_u32 s14, s14, s12
	v_lshrrev_b16 v2, 8, v2
	v_mul_u32_u24_e32 v3, 0x10f, v3
	s_subb_u32 s15, s15, 0
	s_sub_u32 s16, s18, s12
	v_and_b32_e32 v4, 0xffff, v7
	v_mul_lo_u16 v2, v2, 22
	v_lshrrev_b32_e32 v8, 17, v3
	s_subb_u32 s17, s19, 0
	s_mul_hi_u32 s9, s16, 0x1e4
	s_mul_i32 s22, s17, 0x1e4
	v_sub_nc_u16 v1, v1, v2
	v_add_co_u32 v2, s18, s18, v8
	s_delay_alu instid0(VALU_DEP_1) | instskip(NEXT) | instid1(VALU_DEP_3)
	v_add_co_ci_u32_e64 v3, null, s19, 0, s18
	v_and_b32_e32 v1, 0xff, v1
	s_delay_alu instid0(VALU_DEP_3) | instskip(NEXT) | instid1(VALU_DEP_3)
	v_sub_co_u32 v2, vcc_lo, v2, s12
	v_subrev_co_ci_u32_e32 v3, vcc_lo, 0, v3, vcc_lo
	s_delay_alu instid0(VALU_DEP_3) | instskip(SKIP_2) | instid1(VALU_DEP_2)
	v_cndmask_b32_e64 v1, v4, v1, s2
	s_mul_i32 s21, s16, 0x1e4
	s_add_i32 s9, s9, s22
	v_lshlrev_b64 v[4:5], 2, v[2:3]
	s_waitcnt lgkmcnt(0)
	s_add_u32 s2, s6, s21
	s_addc_u32 s6, s7, s9
	v_add_co_u32 v2, s2, s2, v0
	s_delay_alu instid0(VALU_DEP_1)
	v_add_co_ci_u32_e64 v3, null, s6, 0, s2
	v_add_co_u32 v4, vcc_lo, s4, v4
	v_add_co_ci_u32_e32 v5, vcc_lo, s5, v5, vcc_lo
	s_set_inst_prefetch_distance 0x1
	s_branch .LBB213_14
	.p2align	6
.LBB213_13:                             ;   in Loop: Header=BB213_14 Depth=1
	s_or_b32 exec_lo, exec_lo, s2
	s_add_u32 s16, s16, 1
	s_addc_u32 s17, s17, 0
	v_add_co_u32 v4, vcc_lo, v4, 4
	v_cmp_lt_i64_e64 s2, s[16:17], s[14:15]
	v_add_co_ci_u32_e32 v5, vcc_lo, 0, v5, vcc_lo
	s_delay_alu instid0(VALU_DEP_2)
	s_and_b32 vcc_lo, exec_lo, s2
	s_cbranch_vccz .LBB213_16
.LBB213_14:                             ; =>This Inner Loop Header: Depth=1
	v_add_co_u32 v9, s2, v8, s16
	s_delay_alu instid0(VALU_DEP_1) | instskip(SKIP_1) | instid1(VALU_DEP_1)
	v_add_co_ci_u32_e64 v10, null, 0, s17, s2
	s_mov_b32 s2, exec_lo
	v_cmpx_gt_i64_e64 s[14:15], v[9:10]
	s_cbranch_execz .LBB213_13
; %bb.15:                               ;   in Loop: Header=BB213_14 Depth=1
	global_load_b32 v9, v[4:5], off
	s_waitcnt vmcnt(0)
	v_subrev_nc_u32_e32 v11, s12, v9
	s_delay_alu instid0(VALU_DEP_1) | instskip(NEXT) | instid1(VALU_DEP_1)
	v_mad_u64_u32 v[9:10], null, v11, 22, v[1:2]
	v_ashrrev_i32_e32 v10, 31, v9
	v_add_co_u32 v9, vcc_lo, s0, v9
	s_delay_alu instid0(VALU_DEP_2)
	v_add_co_ci_u32_e32 v10, vcc_lo, s1, v10, vcc_lo
	global_load_i8 v11, v[2:3], off
	global_load_i8 v9, v[9:10], off
	v_add_co_u32 v2, vcc_lo, 0x1e4, v2
	v_add_co_ci_u32_e32 v3, vcc_lo, 0, v3, vcc_lo
	s_waitcnt vmcnt(0)
	v_mad_i32_i24 v6, v9, v11, v6
	s_branch .LBB213_13
.LBB213_16:
	s_set_inst_prefetch_distance 0x2
	v_lshlrev_b32_e32 v1, 2, v0
	s_and_b32 vcc_lo, exec_lo, s20
	ds_store_b32 v1, v6
	s_waitcnt lgkmcnt(0)
	s_barrier
	buffer_gl0_inv
	s_cbranch_vccz .LBB213_28
; %bb.17:
	s_mov_b32 s0, exec_lo
	v_cmpx_gt_u16_e32 6, v7
	s_cbranch_execz .LBB213_19
; %bb.18:
	ds_load_2addr_b32 v[2:3], v1 offset1:16
	s_waitcnt lgkmcnt(0)
	v_add_nc_u32_e32 v2, v2, v3
	ds_store_b32 v1, v2
.LBB213_19:
	s_or_b32 exec_lo, exec_lo, s0
	s_delay_alu instid0(SALU_CYCLE_1)
	s_mov_b32 s0, exec_lo
	s_waitcnt lgkmcnt(0)
	s_barrier
	buffer_gl0_inv
	v_cmpx_gt_u16_e32 8, v7
	s_cbranch_execz .LBB213_21
; %bb.20:
	ds_load_2addr_b32 v[2:3], v1 offset1:8
	s_waitcnt lgkmcnt(0)
	v_add_nc_u32_e32 v2, v2, v3
	ds_store_b32 v1, v2
.LBB213_21:
	s_or_b32 exec_lo, exec_lo, s0
	s_delay_alu instid0(SALU_CYCLE_1)
	s_mov_b32 s0, exec_lo
	s_waitcnt lgkmcnt(0)
	s_barrier
	buffer_gl0_inv
	;; [unrolled: 14-line block ×3, first 2 shown]
	v_cmpx_gt_u16_e32 2, v7
	s_cbranch_execz .LBB213_25
; %bb.24:
	ds_load_2addr_b32 v[2:3], v1 offset1:2
	s_waitcnt lgkmcnt(0)
	v_add_nc_u32_e32 v2, v2, v3
	ds_store_b32 v1, v2
.LBB213_25:
	s_or_b32 exec_lo, exec_lo, s0
	s_mov_b32 s1, 0
	s_mov_b32 s0, 0
	s_mov_b32 s2, exec_lo
	s_waitcnt lgkmcnt(0)
	s_barrier
	buffer_gl0_inv
                                        ; implicit-def: $vgpr2
                                        ; implicit-def: $vgpr3
	v_cmpx_gt_u32_e32 22, v0
	s_xor_b32 s2, exec_lo, s2
; %bb.26:
	v_mul_u32_u24_e32 v3, 22, v0
	s_mov_b32 s0, exec_lo
	s_delay_alu instid0(VALU_DEP_1)
	v_or_b32_e32 v2, 1, v3
	v_lshlrev_b32_e32 v3, 2, v3
; %bb.27:
	s_or_b32 exec_lo, exec_lo, s2
	s_delay_alu instid0(SALU_CYCLE_1)
	s_and_b32 vcc_lo, exec_lo, s1
	s_cbranch_vccnz .LBB213_29
	s_branch .LBB213_40
.LBB213_28:
	s_mov_b32 s0, 0
                                        ; implicit-def: $vgpr2
                                        ; implicit-def: $vgpr3
	s_cbranch_execz .LBB213_40
.LBB213_29:
	s_mov_b32 s1, exec_lo
	v_cmpx_gt_u32_e32 0x84, v0
	s_cbranch_execz .LBB213_31
; %bb.30:
	ds_load_b32 v2, v1 offset:1408
	ds_load_b32 v3, v1
	s_waitcnt lgkmcnt(0)
	v_add_nc_u32_e32 v2, v3, v2
	ds_store_b32 v1, v2
.LBB213_31:
	s_or_b32 exec_lo, exec_lo, s1
	s_delay_alu instid0(SALU_CYCLE_1)
	s_mov_b32 s1, exec_lo
	s_waitcnt lgkmcnt(0)
	s_barrier
	buffer_gl0_inv
	v_cmpx_gt_u32_e32 0xb0, v0
	s_cbranch_execz .LBB213_33
; %bb.32:
	ds_load_2addr_b32 v[2:3], v1 offset1:176
	s_waitcnt lgkmcnt(0)
	v_add_nc_u32_e32 v2, v2, v3
	ds_store_b32 v1, v2
.LBB213_33:
	s_or_b32 exec_lo, exec_lo, s1
	s_delay_alu instid0(SALU_CYCLE_1)
	s_mov_b32 s1, exec_lo
	s_waitcnt lgkmcnt(0)
	s_barrier
	buffer_gl0_inv
	v_cmpx_gt_u32_e32 0x58, v0
	s_cbranch_execz .LBB213_35
; %bb.34:
	ds_load_2addr_b32 v[2:3], v1 offset1:88
	s_waitcnt lgkmcnt(0)
	v_add_nc_u32_e32 v2, v2, v3
	ds_store_b32 v1, v2
.LBB213_35:
	;; [unrolled: 14-line block ×3, first 2 shown]
	s_or_b32 exec_lo, exec_lo, s1
	s_delay_alu instid0(SALU_CYCLE_1)
	s_mov_b32 s1, exec_lo
	s_waitcnt lgkmcnt(0)
	buffer_gl0_inv
                                        ; implicit-def: $vgpr2
	v_cmpx_gt_u32_e32 22, v0
; %bb.38:
	v_add_nc_u32_e32 v2, 22, v0
	s_or_b32 s0, s0, exec_lo
                                        ; implicit-def: $vgpr6
; %bb.39:
	s_or_b32 exec_lo, exec_lo, s1
	v_mov_b32_e32 v3, v1
.LBB213_40:
	s_and_saveexec_b32 s1, s0
	s_cbranch_execz .LBB213_42
; %bb.41:
	v_lshlrev_b32_e32 v1, 2, v2
	ds_load_b32 v2, v3
	ds_load_b32 v1, v1
	s_waitcnt lgkmcnt(0)
	v_add_nc_u32_e32 v6, v1, v2
.LBB213_42:
	s_or_b32 exec_lo, exec_lo, s1
	s_delay_alu instid0(SALU_CYCLE_1)
	s_mov_b32 s0, exec_lo
	v_cmpx_gt_u32_e32 22, v0
	s_cbranch_execz .LBB213_46
; %bb.43:
	v_mul_lo_u32 v1, v6, s13
	s_cmp_eq_u32 s3, 0
	s_mov_b32 s0, 0
	s_cbranch_scc1 .LBB213_47
; %bb.44:
	s_delay_alu instid0(VALU_DEP_1) | instskip(SKIP_1) | instid1(VALU_DEP_1)
	v_mad_u64_u32 v[2:3], null, s8, 22, v[0:1]
	v_mov_b32_e32 v3, 0
	v_lshlrev_b64 v[2:3], 2, v[2:3]
	s_delay_alu instid0(VALU_DEP_1) | instskip(NEXT) | instid1(VALU_DEP_2)
	v_add_co_u32 v2, vcc_lo, s10, v2
	v_add_co_ci_u32_e32 v3, vcc_lo, s11, v3, vcc_lo
	global_load_b32 v6, v[2:3], off
	s_waitcnt vmcnt(0)
	v_mad_u64_u32 v[4:5], null, v6, s3, v[1:2]
	global_store_b32 v[2:3], v4, off
	s_and_not1_b32 vcc_lo, exec_lo, s0
	s_cbranch_vccnz .LBB213_46
.LBB213_45:
	s_delay_alu instid0(VALU_DEP_1) | instskip(SKIP_1) | instid1(VALU_DEP_1)
	v_mad_u64_u32 v[2:3], null, s8, 22, v[0:1]
	v_mov_b32_e32 v3, 0
	v_lshlrev_b64 v[2:3], 2, v[2:3]
	s_delay_alu instid0(VALU_DEP_1) | instskip(NEXT) | instid1(VALU_DEP_2)
	v_add_co_u32 v2, vcc_lo, s10, v2
	v_add_co_ci_u32_e32 v3, vcc_lo, s11, v3, vcc_lo
	global_store_b32 v[2:3], v1, off
.LBB213_46:
	s_nop 0
	s_sendmsg sendmsg(MSG_DEALLOC_VGPRS)
	s_endpgm
.LBB213_47:
	s_branch .LBB213_45
	.section	.rodata,"a",@progbits
	.p2align	6, 0x0
	.amdhsa_kernel _ZN9rocsparseL20bsrxmvn_17_32_kernelILj22EiliaaiEEvT2_20rocsparse_direction_NS_24const_host_device_scalarIT0_EES1_PKS1_PKT1_SA_S7_PKT3_PKT4_S5_PT5_21rocsparse_index_base_b
		.amdhsa_group_segment_fixed_size 1936
		.amdhsa_private_segment_fixed_size 0
		.amdhsa_kernarg_size 96
		.amdhsa_user_sgpr_count 15
		.amdhsa_user_sgpr_dispatch_ptr 0
		.amdhsa_user_sgpr_queue_ptr 0
		.amdhsa_user_sgpr_kernarg_segment_ptr 1
		.amdhsa_user_sgpr_dispatch_id 0
		.amdhsa_user_sgpr_private_segment_size 0
		.amdhsa_wavefront_size32 1
		.amdhsa_uses_dynamic_stack 0
		.amdhsa_enable_private_segment 0
		.amdhsa_system_sgpr_workgroup_id_x 1
		.amdhsa_system_sgpr_workgroup_id_y 0
		.amdhsa_system_sgpr_workgroup_id_z 0
		.amdhsa_system_sgpr_workgroup_info 0
		.amdhsa_system_vgpr_workitem_id 0
		.amdhsa_next_free_vgpr 12
		.amdhsa_next_free_sgpr 23
		.amdhsa_reserve_vcc 1
		.amdhsa_float_round_mode_32 0
		.amdhsa_float_round_mode_16_64 0
		.amdhsa_float_denorm_mode_32 3
		.amdhsa_float_denorm_mode_16_64 3
		.amdhsa_dx10_clamp 1
		.amdhsa_ieee_mode 1
		.amdhsa_fp16_overflow 0
		.amdhsa_workgroup_processor_mode 1
		.amdhsa_memory_ordered 1
		.amdhsa_forward_progress 0
		.amdhsa_shared_vgpr_count 0
		.amdhsa_exception_fp_ieee_invalid_op 0
		.amdhsa_exception_fp_denorm_src 0
		.amdhsa_exception_fp_ieee_div_zero 0
		.amdhsa_exception_fp_ieee_overflow 0
		.amdhsa_exception_fp_ieee_underflow 0
		.amdhsa_exception_fp_ieee_inexact 0
		.amdhsa_exception_int_div_zero 0
	.end_amdhsa_kernel
	.section	.text._ZN9rocsparseL20bsrxmvn_17_32_kernelILj22EiliaaiEEvT2_20rocsparse_direction_NS_24const_host_device_scalarIT0_EES1_PKS1_PKT1_SA_S7_PKT3_PKT4_S5_PT5_21rocsparse_index_base_b,"axG",@progbits,_ZN9rocsparseL20bsrxmvn_17_32_kernelILj22EiliaaiEEvT2_20rocsparse_direction_NS_24const_host_device_scalarIT0_EES1_PKS1_PKT1_SA_S7_PKT3_PKT4_S5_PT5_21rocsparse_index_base_b,comdat
.Lfunc_end213:
	.size	_ZN9rocsparseL20bsrxmvn_17_32_kernelILj22EiliaaiEEvT2_20rocsparse_direction_NS_24const_host_device_scalarIT0_EES1_PKS1_PKT1_SA_S7_PKT3_PKT4_S5_PT5_21rocsparse_index_base_b, .Lfunc_end213-_ZN9rocsparseL20bsrxmvn_17_32_kernelILj22EiliaaiEEvT2_20rocsparse_direction_NS_24const_host_device_scalarIT0_EES1_PKS1_PKT1_SA_S7_PKT3_PKT4_S5_PT5_21rocsparse_index_base_b
                                        ; -- End function
	.section	.AMDGPU.csdata,"",@progbits
; Kernel info:
; codeLenInByte = 1672
; NumSgprs: 25
; NumVgprs: 12
; ScratchSize: 0
; MemoryBound: 0
; FloatMode: 240
; IeeeMode: 1
; LDSByteSize: 1936 bytes/workgroup (compile time only)
; SGPRBlocks: 3
; VGPRBlocks: 1
; NumSGPRsForWavesPerEU: 25
; NumVGPRsForWavesPerEU: 12
; Occupancy: 16
; WaveLimiterHint : 1
; COMPUTE_PGM_RSRC2:SCRATCH_EN: 0
; COMPUTE_PGM_RSRC2:USER_SGPR: 15
; COMPUTE_PGM_RSRC2:TRAP_HANDLER: 0
; COMPUTE_PGM_RSRC2:TGID_X_EN: 1
; COMPUTE_PGM_RSRC2:TGID_Y_EN: 0
; COMPUTE_PGM_RSRC2:TGID_Z_EN: 0
; COMPUTE_PGM_RSRC2:TIDIG_COMP_CNT: 0
	.section	.text._ZN9rocsparseL20bsrxmvn_17_32_kernelILj23EiliaaiEEvT2_20rocsparse_direction_NS_24const_host_device_scalarIT0_EES1_PKS1_PKT1_SA_S7_PKT3_PKT4_S5_PT5_21rocsparse_index_base_b,"axG",@progbits,_ZN9rocsparseL20bsrxmvn_17_32_kernelILj23EiliaaiEEvT2_20rocsparse_direction_NS_24const_host_device_scalarIT0_EES1_PKS1_PKT1_SA_S7_PKT3_PKT4_S5_PT5_21rocsparse_index_base_b,comdat
	.globl	_ZN9rocsparseL20bsrxmvn_17_32_kernelILj23EiliaaiEEvT2_20rocsparse_direction_NS_24const_host_device_scalarIT0_EES1_PKS1_PKT1_SA_S7_PKT3_PKT4_S5_PT5_21rocsparse_index_base_b ; -- Begin function _ZN9rocsparseL20bsrxmvn_17_32_kernelILj23EiliaaiEEvT2_20rocsparse_direction_NS_24const_host_device_scalarIT0_EES1_PKS1_PKT1_SA_S7_PKT3_PKT4_S5_PT5_21rocsparse_index_base_b
	.p2align	8
	.type	_ZN9rocsparseL20bsrxmvn_17_32_kernelILj23EiliaaiEEvT2_20rocsparse_direction_NS_24const_host_device_scalarIT0_EES1_PKS1_PKT1_SA_S7_PKT3_PKT4_S5_PT5_21rocsparse_index_base_b,@function
_ZN9rocsparseL20bsrxmvn_17_32_kernelILj23EiliaaiEEvT2_20rocsparse_direction_NS_24const_host_device_scalarIT0_EES1_PKS1_PKT1_SA_S7_PKT3_PKT4_S5_PT5_21rocsparse_index_base_b: ; @_ZN9rocsparseL20bsrxmvn_17_32_kernelILj23EiliaaiEEvT2_20rocsparse_direction_NS_24const_host_device_scalarIT0_EES1_PKS1_PKT1_SA_S7_PKT3_PKT4_S5_PT5_21rocsparse_index_base_b
; %bb.0:
	s_clause 0x1
	s_load_b64 s[10:11], s[0:1], 0x58
	s_load_b64 s[4:5], s[0:1], 0x8
	s_mov_b32 s8, s15
	s_mov_b32 s7, -1
	s_waitcnt lgkmcnt(0)
	s_bitcmp1_b32 s11, 0
                                        ; implicit-def: $sgpr11
	s_cselect_b32 s2, -1, 0
	s_delay_alu instid0(SALU_CYCLE_1) | instskip(NEXT) | instid1(SALU_CYCLE_1)
	s_xor_b32 s6, s2, -1
	s_and_b32 vcc_lo, exec_lo, s6
	s_cbranch_vccnz .LBB214_4
; %bb.1:
	s_load_b64 s[2:3], s[0:1], 0x48
	s_and_not1_b32 vcc_lo, exec_lo, s7
	s_cbranch_vccz .LBB214_5
.LBB214_2:
	s_and_b32 vcc_lo, exec_lo, s6
	s_cbranch_vccz .LBB214_6
.LBB214_3:
	s_waitcnt lgkmcnt(0)
	s_load_b32 s3, s[2:3], 0x0
	s_cbranch_execz .LBB214_7
	s_branch .LBB214_8
.LBB214_4:
	s_load_b32 s11, s[4:5], 0x0
	s_load_b64 s[2:3], s[0:1], 0x48
	s_cbranch_execnz .LBB214_2
.LBB214_5:
	s_waitcnt lgkmcnt(0)
	s_mov_b32 s11, s4
	s_and_b32 vcc_lo, exec_lo, s6
	s_cbranch_vccnz .LBB214_3
.LBB214_6:
                                        ; implicit-def: $sgpr3
.LBB214_7:
	s_waitcnt lgkmcnt(0)
	s_mov_b32 s3, s2
.LBB214_8:
	s_waitcnt lgkmcnt(0)
	s_cmp_lg_u32 s11, 0
	s_cselect_b32 s2, -1, 0
	s_cmp_lg_u32 s3, 1
	s_cselect_b32 s4, -1, 0
	s_delay_alu instid0(SALU_CYCLE_1) | instskip(NEXT) | instid1(SALU_CYCLE_1)
	s_or_b32 s2, s2, s4
	s_and_not1_b32 vcc_lo, exec_lo, s2
	s_cbranch_vccnz .LBB214_46
; %bb.9:
	s_clause 0x1
	s_load_b128 s[4:7], s[0:1], 0x18
	s_load_b64 s[12:13], s[0:1], 0x28
	s_waitcnt lgkmcnt(0)
	s_cmp_eq_u64 s[4:5], 0
	s_cbranch_scc1 .LBB214_11
; %bb.10:
	s_ashr_i32 s9, s8, 31
	s_delay_alu instid0(SALU_CYCLE_1) | instskip(NEXT) | instid1(SALU_CYCLE_1)
	s_lshl_b64 s[8:9], s[8:9], 2
	s_add_u32 s4, s4, s8
	s_addc_u32 s5, s5, s9
	s_load_b32 s2, s[4:5], 0x0
	s_waitcnt lgkmcnt(0)
	s_sub_i32 s8, s2, s10
.LBB214_11:
	s_load_b32 s4, s[0:1], 0x4
	v_mul_u32_u24_e32 v1, 0xb22, v0
	v_mov_b32_e32 v6, 0
	s_delay_alu instid0(VALU_DEP_2) | instskip(NEXT) | instid1(VALU_DEP_1)
	v_lshrrev_b32_e32 v1, 16, v1
	v_mul_lo_u16 v2, v1, 23
	s_delay_alu instid0(VALU_DEP_1)
	v_sub_nc_u16 v7, v0, v2
	s_waitcnt lgkmcnt(0)
	s_cmp_eq_u32 s4, 1
	s_cselect_b32 s2, -1, 0
	s_cmp_lg_u32 s4, 1
	s_cselect_b32 s16, -1, 0
	s_ashr_i32 s9, s8, 31
	s_delay_alu instid0(SALU_CYCLE_1) | instskip(NEXT) | instid1(SALU_CYCLE_1)
	s_lshl_b64 s[4:5], s[8:9], 3
	s_add_u32 s6, s6, s4
	s_addc_u32 s7, s7, s5
	s_add_u32 s9, s6, 8
	s_addc_u32 s14, s7, 0
	;; [unrolled: 2-line block ×3, first 2 shown]
	s_cmp_eq_u64 s[12:13], 0
	s_cselect_b32 s5, s14, s5
	s_cselect_b32 s4, s9, s4
	s_load_b64 s[14:15], s[6:7], 0x0
	s_load_b64 s[6:7], s[4:5], 0x0
	;; [unrolled: 1-line block ×3, first 2 shown]
	s_waitcnt lgkmcnt(0)
	v_cmp_ge_i64_e64 s9, s[14:15], s[6:7]
	s_delay_alu instid0(VALU_DEP_1)
	s_and_b32 vcc_lo, exec_lo, s9
	s_cbranch_vccnz .LBB214_16
; %bb.12:
	v_dual_mov_b32 v6, 0 :: v_dual_and_b32 v1, 0xffff, v1
	v_cmp_lt_u32_e32 vcc_lo, 0x210, v0
	s_clause 0x1
	s_load_b128 s[20:23], s[0:1], 0x30
	s_load_b64 s[0:1], s[0:1], 0x40
	v_subrev_nc_u32_e32 v3, 23, v1
	s_sub_u32 s6, s6, s10
	v_cndmask_b32_e64 v8, 0, 1, vcc_lo
	v_cmp_gt_u32_e32 vcc_lo, 0x211, v0
	v_and_b32_e32 v2, 0xffff, v7
	s_subb_u32 s7, s7, 0
	s_sub_u32 s12, s14, s10
	s_subb_u32 s13, s15, 0
	v_cndmask_b32_e32 v1, v3, v1, vcc_lo
	s_mul_i32 s9, s13, 0x211
	s_delay_alu instid0(VALU_DEP_1) | instskip(SKIP_1) | instid1(VALU_DEP_1)
	v_cndmask_b32_e64 v1, v2, v1, s2
	v_add_co_u32 v2, s2, s14, v8
	v_add_co_ci_u32_e64 v3, null, s15, 0, s2
	s_mul_hi_u32 s2, s12, 0x211
	s_delay_alu instid0(VALU_DEP_2) | instskip(NEXT) | instid1(VALU_DEP_2)
	v_sub_co_u32 v2, vcc_lo, v2, s10
	v_subrev_co_ci_u32_e32 v3, vcc_lo, 0, v3, vcc_lo
	s_mul_i32 s14, s12, 0x211
	s_add_i32 s2, s2, s9
	s_waitcnt lgkmcnt(0)
	s_add_u32 s9, s22, s14
	v_lshlrev_b64 v[4:5], 2, v[2:3]
	s_addc_u32 s2, s23, s2
	v_add_co_u32 v2, s9, s9, v0
	s_delay_alu instid0(VALU_DEP_1) | instskip(NEXT) | instid1(VALU_DEP_3)
	v_add_co_ci_u32_e64 v3, null, s2, 0, s9
	v_add_co_u32 v4, vcc_lo, s20, v4
	s_delay_alu instid0(VALU_DEP_4)
	v_add_co_ci_u32_e32 v5, vcc_lo, s21, v5, vcc_lo
	s_set_inst_prefetch_distance 0x1
	s_branch .LBB214_14
	.p2align	6
.LBB214_13:                             ;   in Loop: Header=BB214_14 Depth=1
	s_or_b32 exec_lo, exec_lo, s2
	s_add_u32 s12, s12, 1
	s_addc_u32 s13, s13, 0
	v_add_co_u32 v4, vcc_lo, v4, 4
	v_cmp_lt_i64_e64 s2, s[12:13], s[6:7]
	v_add_co_ci_u32_e32 v5, vcc_lo, 0, v5, vcc_lo
	s_delay_alu instid0(VALU_DEP_2)
	s_and_b32 vcc_lo, exec_lo, s2
	s_cbranch_vccz .LBB214_16
.LBB214_14:                             ; =>This Inner Loop Header: Depth=1
	v_add_co_u32 v9, s2, v8, s12
	s_delay_alu instid0(VALU_DEP_1) | instskip(SKIP_1) | instid1(VALU_DEP_1)
	v_add_co_ci_u32_e64 v10, null, 0, s13, s2
	s_mov_b32 s2, exec_lo
	v_cmpx_gt_i64_e64 s[6:7], v[9:10]
	s_cbranch_execz .LBB214_13
; %bb.15:                               ;   in Loop: Header=BB214_14 Depth=1
	global_load_b32 v9, v[4:5], off
	s_waitcnt vmcnt(0)
	v_subrev_nc_u32_e32 v11, s10, v9
	s_delay_alu instid0(VALU_DEP_1) | instskip(NEXT) | instid1(VALU_DEP_1)
	v_mad_u64_u32 v[9:10], null, v11, 23, v[1:2]
	v_ashrrev_i32_e32 v10, 31, v9
	v_add_co_u32 v9, vcc_lo, s0, v9
	s_delay_alu instid0(VALU_DEP_2)
	v_add_co_ci_u32_e32 v10, vcc_lo, s1, v10, vcc_lo
	global_load_i8 v11, v[2:3], off
	global_load_i8 v9, v[9:10], off
	v_add_co_u32 v2, vcc_lo, 0x211, v2
	v_add_co_ci_u32_e32 v3, vcc_lo, 0, v3, vcc_lo
	s_waitcnt vmcnt(0)
	v_mad_i32_i24 v6, v9, v11, v6
	s_branch .LBB214_13
.LBB214_16:
	s_set_inst_prefetch_distance 0x2
	v_lshlrev_b32_e32 v1, 2, v0
	s_and_b32 vcc_lo, exec_lo, s16
	ds_store_b32 v1, v6
	s_waitcnt lgkmcnt(0)
	s_barrier
	buffer_gl0_inv
	s_cbranch_vccz .LBB214_28
; %bb.17:
	s_mov_b32 s0, exec_lo
	v_cmpx_gt_u16_e32 7, v7
	s_cbranch_execz .LBB214_19
; %bb.18:
	ds_load_2addr_b32 v[2:3], v1 offset1:16
	s_waitcnt lgkmcnt(0)
	v_add_nc_u32_e32 v2, v2, v3
	ds_store_b32 v1, v2
.LBB214_19:
	s_or_b32 exec_lo, exec_lo, s0
	s_delay_alu instid0(SALU_CYCLE_1)
	s_mov_b32 s0, exec_lo
	s_waitcnt lgkmcnt(0)
	s_barrier
	buffer_gl0_inv
	v_cmpx_gt_u16_e32 8, v7
	s_cbranch_execz .LBB214_21
; %bb.20:
	ds_load_2addr_b32 v[2:3], v1 offset1:8
	s_waitcnt lgkmcnt(0)
	v_add_nc_u32_e32 v2, v2, v3
	ds_store_b32 v1, v2
.LBB214_21:
	s_or_b32 exec_lo, exec_lo, s0
	s_delay_alu instid0(SALU_CYCLE_1)
	s_mov_b32 s0, exec_lo
	s_waitcnt lgkmcnt(0)
	s_barrier
	buffer_gl0_inv
	;; [unrolled: 14-line block ×3, first 2 shown]
	v_cmpx_gt_u16_e32 2, v7
	s_cbranch_execz .LBB214_25
; %bb.24:
	ds_load_2addr_b32 v[2:3], v1 offset1:2
	s_waitcnt lgkmcnt(0)
	v_add_nc_u32_e32 v2, v2, v3
	ds_store_b32 v1, v2
.LBB214_25:
	s_or_b32 exec_lo, exec_lo, s0
	s_mov_b32 s1, 0
	s_mov_b32 s0, 0
	s_mov_b32 s2, exec_lo
	s_waitcnt lgkmcnt(0)
	s_barrier
	buffer_gl0_inv
                                        ; implicit-def: $vgpr2
                                        ; implicit-def: $vgpr3
	v_cmpx_gt_u32_e32 23, v0
	s_xor_b32 s2, exec_lo, s2
; %bb.26:
	v_mul_u32_u24_e32 v3, 23, v0
	v_mad_u32_u24 v2, v0, 23, 1
	s_mov_b32 s0, exec_lo
	s_delay_alu instid0(VALU_DEP_2)
	v_lshlrev_b32_e32 v3, 2, v3
; %bb.27:
	s_or_b32 exec_lo, exec_lo, s2
	s_delay_alu instid0(SALU_CYCLE_1)
	s_and_b32 vcc_lo, exec_lo, s1
	s_cbranch_vccnz .LBB214_29
	s_branch .LBB214_40
.LBB214_28:
	s_mov_b32 s0, 0
                                        ; implicit-def: $vgpr2
                                        ; implicit-def: $vgpr3
	s_cbranch_execz .LBB214_40
.LBB214_29:
	s_mov_b32 s1, exec_lo
	v_cmpx_gt_u32_e32 0xa1, v0
	s_cbranch_execz .LBB214_31
; %bb.30:
	ds_load_b32 v2, v1 offset:1472
	ds_load_b32 v3, v1
	s_waitcnt lgkmcnt(0)
	v_add_nc_u32_e32 v2, v3, v2
	ds_store_b32 v1, v2
.LBB214_31:
	s_or_b32 exec_lo, exec_lo, s1
	s_delay_alu instid0(SALU_CYCLE_1)
	s_mov_b32 s1, exec_lo
	s_waitcnt lgkmcnt(0)
	s_barrier
	buffer_gl0_inv
	v_cmpx_gt_u32_e32 0xb8, v0
	s_cbranch_execz .LBB214_33
; %bb.32:
	ds_load_2addr_b32 v[2:3], v1 offset1:184
	s_waitcnt lgkmcnt(0)
	v_add_nc_u32_e32 v2, v2, v3
	ds_store_b32 v1, v2
.LBB214_33:
	s_or_b32 exec_lo, exec_lo, s1
	s_delay_alu instid0(SALU_CYCLE_1)
	s_mov_b32 s1, exec_lo
	s_waitcnt lgkmcnt(0)
	s_barrier
	buffer_gl0_inv
	v_cmpx_gt_u32_e32 0x5c, v0
	s_cbranch_execz .LBB214_35
; %bb.34:
	ds_load_2addr_b32 v[2:3], v1 offset1:92
	s_waitcnt lgkmcnt(0)
	v_add_nc_u32_e32 v2, v2, v3
	ds_store_b32 v1, v2
.LBB214_35:
	;; [unrolled: 14-line block ×3, first 2 shown]
	s_or_b32 exec_lo, exec_lo, s1
	s_delay_alu instid0(SALU_CYCLE_1)
	s_mov_b32 s1, exec_lo
	s_waitcnt lgkmcnt(0)
	buffer_gl0_inv
                                        ; implicit-def: $vgpr2
	v_cmpx_gt_u32_e32 23, v0
; %bb.38:
	v_add_nc_u32_e32 v2, 23, v0
	s_or_b32 s0, s0, exec_lo
                                        ; implicit-def: $vgpr6
; %bb.39:
	s_or_b32 exec_lo, exec_lo, s1
	v_mov_b32_e32 v3, v1
.LBB214_40:
	s_and_saveexec_b32 s1, s0
	s_cbranch_execz .LBB214_42
; %bb.41:
	v_lshlrev_b32_e32 v1, 2, v2
	ds_load_b32 v2, v3
	ds_load_b32 v1, v1
	s_waitcnt lgkmcnt(0)
	v_add_nc_u32_e32 v6, v1, v2
.LBB214_42:
	s_or_b32 exec_lo, exec_lo, s1
	s_delay_alu instid0(SALU_CYCLE_1)
	s_mov_b32 s0, exec_lo
	v_cmpx_gt_u32_e32 23, v0
	s_cbranch_execz .LBB214_46
; %bb.43:
	v_mul_lo_u32 v1, v6, s11
	s_cmp_eq_u32 s3, 0
	s_mov_b32 s0, 0
	s_cbranch_scc1 .LBB214_47
; %bb.44:
	s_delay_alu instid0(VALU_DEP_1) | instskip(SKIP_1) | instid1(VALU_DEP_1)
	v_mad_u64_u32 v[2:3], null, s8, 23, v[0:1]
	v_mov_b32_e32 v3, 0
	v_lshlrev_b64 v[2:3], 2, v[2:3]
	s_delay_alu instid0(VALU_DEP_1) | instskip(NEXT) | instid1(VALU_DEP_2)
	v_add_co_u32 v2, vcc_lo, s4, v2
	v_add_co_ci_u32_e32 v3, vcc_lo, s5, v3, vcc_lo
	global_load_b32 v6, v[2:3], off
	s_waitcnt vmcnt(0)
	v_mad_u64_u32 v[4:5], null, v6, s3, v[1:2]
	global_store_b32 v[2:3], v4, off
	s_and_not1_b32 vcc_lo, exec_lo, s0
	s_cbranch_vccnz .LBB214_46
.LBB214_45:
	s_delay_alu instid0(VALU_DEP_1) | instskip(SKIP_1) | instid1(VALU_DEP_1)
	v_mad_u64_u32 v[2:3], null, s8, 23, v[0:1]
	v_mov_b32_e32 v3, 0
	v_lshlrev_b64 v[2:3], 2, v[2:3]
	s_delay_alu instid0(VALU_DEP_1) | instskip(NEXT) | instid1(VALU_DEP_2)
	v_add_co_u32 v2, vcc_lo, s4, v2
	v_add_co_ci_u32_e32 v3, vcc_lo, s5, v3, vcc_lo
	global_store_b32 v[2:3], v1, off
.LBB214_46:
	s_nop 0
	s_sendmsg sendmsg(MSG_DEALLOC_VGPRS)
	s_endpgm
.LBB214_47:
	s_branch .LBB214_45
	.section	.rodata,"a",@progbits
	.p2align	6, 0x0
	.amdhsa_kernel _ZN9rocsparseL20bsrxmvn_17_32_kernelILj23EiliaaiEEvT2_20rocsparse_direction_NS_24const_host_device_scalarIT0_EES1_PKS1_PKT1_SA_S7_PKT3_PKT4_S5_PT5_21rocsparse_index_base_b
		.amdhsa_group_segment_fixed_size 2116
		.amdhsa_private_segment_fixed_size 0
		.amdhsa_kernarg_size 96
		.amdhsa_user_sgpr_count 15
		.amdhsa_user_sgpr_dispatch_ptr 0
		.amdhsa_user_sgpr_queue_ptr 0
		.amdhsa_user_sgpr_kernarg_segment_ptr 1
		.amdhsa_user_sgpr_dispatch_id 0
		.amdhsa_user_sgpr_private_segment_size 0
		.amdhsa_wavefront_size32 1
		.amdhsa_uses_dynamic_stack 0
		.amdhsa_enable_private_segment 0
		.amdhsa_system_sgpr_workgroup_id_x 1
		.amdhsa_system_sgpr_workgroup_id_y 0
		.amdhsa_system_sgpr_workgroup_id_z 0
		.amdhsa_system_sgpr_workgroup_info 0
		.amdhsa_system_vgpr_workitem_id 0
		.amdhsa_next_free_vgpr 12
		.amdhsa_next_free_sgpr 24
		.amdhsa_reserve_vcc 1
		.amdhsa_float_round_mode_32 0
		.amdhsa_float_round_mode_16_64 0
		.amdhsa_float_denorm_mode_32 3
		.amdhsa_float_denorm_mode_16_64 3
		.amdhsa_dx10_clamp 1
		.amdhsa_ieee_mode 1
		.amdhsa_fp16_overflow 0
		.amdhsa_workgroup_processor_mode 1
		.amdhsa_memory_ordered 1
		.amdhsa_forward_progress 0
		.amdhsa_shared_vgpr_count 0
		.amdhsa_exception_fp_ieee_invalid_op 0
		.amdhsa_exception_fp_denorm_src 0
		.amdhsa_exception_fp_ieee_div_zero 0
		.amdhsa_exception_fp_ieee_overflow 0
		.amdhsa_exception_fp_ieee_underflow 0
		.amdhsa_exception_fp_ieee_inexact 0
		.amdhsa_exception_int_div_zero 0
	.end_amdhsa_kernel
	.section	.text._ZN9rocsparseL20bsrxmvn_17_32_kernelILj23EiliaaiEEvT2_20rocsparse_direction_NS_24const_host_device_scalarIT0_EES1_PKS1_PKT1_SA_S7_PKT3_PKT4_S5_PT5_21rocsparse_index_base_b,"axG",@progbits,_ZN9rocsparseL20bsrxmvn_17_32_kernelILj23EiliaaiEEvT2_20rocsparse_direction_NS_24const_host_device_scalarIT0_EES1_PKS1_PKT1_SA_S7_PKT3_PKT4_S5_PT5_21rocsparse_index_base_b,comdat
.Lfunc_end214:
	.size	_ZN9rocsparseL20bsrxmvn_17_32_kernelILj23EiliaaiEEvT2_20rocsparse_direction_NS_24const_host_device_scalarIT0_EES1_PKS1_PKT1_SA_S7_PKT3_PKT4_S5_PT5_21rocsparse_index_base_b, .Lfunc_end214-_ZN9rocsparseL20bsrxmvn_17_32_kernelILj23EiliaaiEEvT2_20rocsparse_direction_NS_24const_host_device_scalarIT0_EES1_PKS1_PKT1_SA_S7_PKT3_PKT4_S5_PT5_21rocsparse_index_base_b
                                        ; -- End function
	.section	.AMDGPU.csdata,"",@progbits
; Kernel info:
; codeLenInByte = 1656
; NumSgprs: 26
; NumVgprs: 12
; ScratchSize: 0
; MemoryBound: 0
; FloatMode: 240
; IeeeMode: 1
; LDSByteSize: 2116 bytes/workgroup (compile time only)
; SGPRBlocks: 3
; VGPRBlocks: 1
; NumSGPRsForWavesPerEU: 26
; NumVGPRsForWavesPerEU: 12
; Occupancy: 13
; WaveLimiterHint : 1
; COMPUTE_PGM_RSRC2:SCRATCH_EN: 0
; COMPUTE_PGM_RSRC2:USER_SGPR: 15
; COMPUTE_PGM_RSRC2:TRAP_HANDLER: 0
; COMPUTE_PGM_RSRC2:TGID_X_EN: 1
; COMPUTE_PGM_RSRC2:TGID_Y_EN: 0
; COMPUTE_PGM_RSRC2:TGID_Z_EN: 0
; COMPUTE_PGM_RSRC2:TIDIG_COMP_CNT: 0
	.section	.text._ZN9rocsparseL20bsrxmvn_17_32_kernelILj24EiliaaiEEvT2_20rocsparse_direction_NS_24const_host_device_scalarIT0_EES1_PKS1_PKT1_SA_S7_PKT3_PKT4_S5_PT5_21rocsparse_index_base_b,"axG",@progbits,_ZN9rocsparseL20bsrxmvn_17_32_kernelILj24EiliaaiEEvT2_20rocsparse_direction_NS_24const_host_device_scalarIT0_EES1_PKS1_PKT1_SA_S7_PKT3_PKT4_S5_PT5_21rocsparse_index_base_b,comdat
	.globl	_ZN9rocsparseL20bsrxmvn_17_32_kernelILj24EiliaaiEEvT2_20rocsparse_direction_NS_24const_host_device_scalarIT0_EES1_PKS1_PKT1_SA_S7_PKT3_PKT4_S5_PT5_21rocsparse_index_base_b ; -- Begin function _ZN9rocsparseL20bsrxmvn_17_32_kernelILj24EiliaaiEEvT2_20rocsparse_direction_NS_24const_host_device_scalarIT0_EES1_PKS1_PKT1_SA_S7_PKT3_PKT4_S5_PT5_21rocsparse_index_base_b
	.p2align	8
	.type	_ZN9rocsparseL20bsrxmvn_17_32_kernelILj24EiliaaiEEvT2_20rocsparse_direction_NS_24const_host_device_scalarIT0_EES1_PKS1_PKT1_SA_S7_PKT3_PKT4_S5_PT5_21rocsparse_index_base_b,@function
_ZN9rocsparseL20bsrxmvn_17_32_kernelILj24EiliaaiEEvT2_20rocsparse_direction_NS_24const_host_device_scalarIT0_EES1_PKS1_PKT1_SA_S7_PKT3_PKT4_S5_PT5_21rocsparse_index_base_b: ; @_ZN9rocsparseL20bsrxmvn_17_32_kernelILj24EiliaaiEEvT2_20rocsparse_direction_NS_24const_host_device_scalarIT0_EES1_PKS1_PKT1_SA_S7_PKT3_PKT4_S5_PT5_21rocsparse_index_base_b
; %bb.0:
	s_clause 0x1
	s_load_b64 s[10:11], s[0:1], 0x58
	s_load_b64 s[4:5], s[0:1], 0x8
	s_mov_b32 s8, s15
	s_mov_b32 s7, -1
	s_waitcnt lgkmcnt(0)
	s_bitcmp1_b32 s11, 0
                                        ; implicit-def: $sgpr11
	s_cselect_b32 s2, -1, 0
	s_delay_alu instid0(SALU_CYCLE_1) | instskip(NEXT) | instid1(SALU_CYCLE_1)
	s_xor_b32 s6, s2, -1
	s_and_b32 vcc_lo, exec_lo, s6
	s_cbranch_vccnz .LBB215_4
; %bb.1:
	s_load_b64 s[2:3], s[0:1], 0x48
	s_and_not1_b32 vcc_lo, exec_lo, s7
	s_cbranch_vccz .LBB215_5
.LBB215_2:
	s_and_b32 vcc_lo, exec_lo, s6
	s_cbranch_vccz .LBB215_6
.LBB215_3:
	s_waitcnt lgkmcnt(0)
	s_load_b32 s3, s[2:3], 0x0
	s_cbranch_execz .LBB215_7
	s_branch .LBB215_8
.LBB215_4:
	s_load_b32 s11, s[4:5], 0x0
	s_load_b64 s[2:3], s[0:1], 0x48
	s_cbranch_execnz .LBB215_2
.LBB215_5:
	s_waitcnt lgkmcnt(0)
	s_mov_b32 s11, s4
	s_and_b32 vcc_lo, exec_lo, s6
	s_cbranch_vccnz .LBB215_3
.LBB215_6:
                                        ; implicit-def: $sgpr3
.LBB215_7:
	s_waitcnt lgkmcnt(0)
	s_mov_b32 s3, s2
.LBB215_8:
	s_waitcnt lgkmcnt(0)
	s_cmp_lg_u32 s11, 0
	s_cselect_b32 s2, -1, 0
	s_cmp_lg_u32 s3, 1
	s_cselect_b32 s4, -1, 0
	s_delay_alu instid0(SALU_CYCLE_1) | instskip(NEXT) | instid1(SALU_CYCLE_1)
	s_or_b32 s2, s2, s4
	s_and_not1_b32 vcc_lo, exec_lo, s2
	s_cbranch_vccnz .LBB215_46
; %bb.9:
	s_clause 0x1
	s_load_b128 s[4:7], s[0:1], 0x18
	s_load_b64 s[12:13], s[0:1], 0x28
	s_waitcnt lgkmcnt(0)
	s_cmp_eq_u64 s[4:5], 0
	s_cbranch_scc1 .LBB215_11
; %bb.10:
	s_ashr_i32 s9, s8, 31
	s_delay_alu instid0(SALU_CYCLE_1) | instskip(NEXT) | instid1(SALU_CYCLE_1)
	s_lshl_b64 s[8:9], s[8:9], 2
	s_add_u32 s4, s4, s8
	s_addc_u32 s5, s5, s9
	s_load_b32 s2, s[4:5], 0x0
	s_waitcnt lgkmcnt(0)
	s_sub_i32 s8, s2, s10
.LBB215_11:
	s_load_b32 s4, s[0:1], 0x4
	v_mul_u32_u24_e32 v1, 0xaab, v0
	v_mov_b32_e32 v6, 0
	s_delay_alu instid0(VALU_DEP_2) | instskip(NEXT) | instid1(VALU_DEP_1)
	v_lshrrev_b32_e32 v1, 16, v1
	v_mul_lo_u16 v2, v1, 24
	s_delay_alu instid0(VALU_DEP_1)
	v_sub_nc_u16 v7, v0, v2
	s_waitcnt lgkmcnt(0)
	s_cmp_eq_u32 s4, 1
	s_cselect_b32 s2, -1, 0
	s_cmp_lg_u32 s4, 1
	s_cselect_b32 s16, -1, 0
	s_ashr_i32 s9, s8, 31
	s_delay_alu instid0(SALU_CYCLE_1) | instskip(NEXT) | instid1(SALU_CYCLE_1)
	s_lshl_b64 s[4:5], s[8:9], 3
	s_add_u32 s6, s6, s4
	s_addc_u32 s7, s7, s5
	s_add_u32 s9, s6, 8
	s_addc_u32 s14, s7, 0
	;; [unrolled: 2-line block ×3, first 2 shown]
	s_cmp_eq_u64 s[12:13], 0
	s_cselect_b32 s5, s14, s5
	s_cselect_b32 s4, s9, s4
	s_load_b64 s[14:15], s[6:7], 0x0
	s_load_b64 s[6:7], s[4:5], 0x0
	;; [unrolled: 1-line block ×3, first 2 shown]
	s_waitcnt lgkmcnt(0)
	v_cmp_ge_i64_e64 s9, s[14:15], s[6:7]
	s_delay_alu instid0(VALU_DEP_1)
	s_and_b32 vcc_lo, exec_lo, s9
	s_cbranch_vccnz .LBB215_16
; %bb.12:
	v_dual_mov_b32 v6, 0 :: v_dual_and_b32 v1, 0xffff, v1
	v_cmp_lt_u32_e32 vcc_lo, 0x23f, v0
	s_clause 0x1
	s_load_b128 s[20:23], s[0:1], 0x30
	s_load_b64 s[0:1], s[0:1], 0x40
	v_subrev_nc_u32_e32 v3, 24, v1
	s_sub_u32 s6, s6, s10
	v_cndmask_b32_e64 v8, 0, 1, vcc_lo
	v_cmp_gt_u32_e32 vcc_lo, 0x240, v0
	v_and_b32_e32 v2, 0xffff, v7
	s_subb_u32 s7, s7, 0
	s_sub_u32 s12, s14, s10
	s_subb_u32 s13, s15, 0
	v_cndmask_b32_e32 v1, v3, v1, vcc_lo
	s_mul_i32 s9, s13, 0x240
	s_delay_alu instid0(VALU_DEP_1) | instskip(SKIP_1) | instid1(VALU_DEP_1)
	v_cndmask_b32_e64 v1, v2, v1, s2
	v_add_co_u32 v2, s2, s14, v8
	v_add_co_ci_u32_e64 v3, null, s15, 0, s2
	s_mul_hi_u32 s2, s12, 0x240
	s_delay_alu instid0(VALU_DEP_2) | instskip(NEXT) | instid1(VALU_DEP_2)
	v_sub_co_u32 v2, vcc_lo, v2, s10
	v_subrev_co_ci_u32_e32 v3, vcc_lo, 0, v3, vcc_lo
	s_mul_i32 s14, s12, 0x240
	s_add_i32 s2, s2, s9
	s_waitcnt lgkmcnt(0)
	s_add_u32 s9, s22, s14
	v_lshlrev_b64 v[4:5], 2, v[2:3]
	s_addc_u32 s2, s23, s2
	v_add_co_u32 v2, s9, s9, v0
	s_delay_alu instid0(VALU_DEP_1) | instskip(NEXT) | instid1(VALU_DEP_3)
	v_add_co_ci_u32_e64 v3, null, s2, 0, s9
	v_add_co_u32 v4, vcc_lo, s20, v4
	s_delay_alu instid0(VALU_DEP_4)
	v_add_co_ci_u32_e32 v5, vcc_lo, s21, v5, vcc_lo
	s_set_inst_prefetch_distance 0x1
	s_branch .LBB215_14
	.p2align	6
.LBB215_13:                             ;   in Loop: Header=BB215_14 Depth=1
	s_or_b32 exec_lo, exec_lo, s2
	s_add_u32 s12, s12, 1
	s_addc_u32 s13, s13, 0
	v_add_co_u32 v4, vcc_lo, v4, 4
	v_cmp_lt_i64_e64 s2, s[12:13], s[6:7]
	v_add_co_ci_u32_e32 v5, vcc_lo, 0, v5, vcc_lo
	s_delay_alu instid0(VALU_DEP_2)
	s_and_b32 vcc_lo, exec_lo, s2
	s_cbranch_vccz .LBB215_16
.LBB215_14:                             ; =>This Inner Loop Header: Depth=1
	v_add_co_u32 v9, s2, v8, s12
	s_delay_alu instid0(VALU_DEP_1) | instskip(SKIP_1) | instid1(VALU_DEP_1)
	v_add_co_ci_u32_e64 v10, null, 0, s13, s2
	s_mov_b32 s2, exec_lo
	v_cmpx_gt_i64_e64 s[6:7], v[9:10]
	s_cbranch_execz .LBB215_13
; %bb.15:                               ;   in Loop: Header=BB215_14 Depth=1
	global_load_b32 v9, v[4:5], off
	s_waitcnt vmcnt(0)
	v_subrev_nc_u32_e32 v11, s10, v9
	s_delay_alu instid0(VALU_DEP_1) | instskip(NEXT) | instid1(VALU_DEP_1)
	v_mad_u64_u32 v[9:10], null, v11, 24, v[1:2]
	v_ashrrev_i32_e32 v10, 31, v9
	v_add_co_u32 v9, vcc_lo, s0, v9
	s_delay_alu instid0(VALU_DEP_2)
	v_add_co_ci_u32_e32 v10, vcc_lo, s1, v10, vcc_lo
	global_load_i8 v11, v[2:3], off
	global_load_i8 v9, v[9:10], off
	v_add_co_u32 v2, vcc_lo, 0x240, v2
	v_add_co_ci_u32_e32 v3, vcc_lo, 0, v3, vcc_lo
	s_waitcnt vmcnt(0)
	v_mad_i32_i24 v6, v9, v11, v6
	s_branch .LBB215_13
.LBB215_16:
	s_set_inst_prefetch_distance 0x2
	v_lshlrev_b32_e32 v1, 2, v0
	s_and_b32 vcc_lo, exec_lo, s16
	ds_store_b32 v1, v6
	s_waitcnt lgkmcnt(0)
	s_barrier
	buffer_gl0_inv
	s_cbranch_vccz .LBB215_28
; %bb.17:
	v_cmp_gt_u16_e32 vcc_lo, 8, v7
	s_and_saveexec_b32 s0, vcc_lo
	s_cbranch_execz .LBB215_19
; %bb.18:
	ds_load_2addr_b32 v[2:3], v1 offset1:16
	s_waitcnt lgkmcnt(0)
	v_add_nc_u32_e32 v2, v2, v3
	ds_store_b32 v1, v2
.LBB215_19:
	s_or_b32 exec_lo, exec_lo, s0
	s_waitcnt lgkmcnt(0)
	s_barrier
	buffer_gl0_inv
	s_and_saveexec_b32 s0, vcc_lo
	s_cbranch_execz .LBB215_21
; %bb.20:
	ds_load_2addr_b32 v[2:3], v1 offset1:8
	s_waitcnt lgkmcnt(0)
	v_add_nc_u32_e32 v2, v2, v3
	ds_store_b32 v1, v2
.LBB215_21:
	s_or_b32 exec_lo, exec_lo, s0
	s_delay_alu instid0(SALU_CYCLE_1)
	s_mov_b32 s0, exec_lo
	s_waitcnt lgkmcnt(0)
	s_barrier
	buffer_gl0_inv
	v_cmpx_gt_u16_e32 4, v7
	s_cbranch_execz .LBB215_23
; %bb.22:
	ds_load_2addr_b32 v[2:3], v1 offset1:4
	s_waitcnt lgkmcnt(0)
	v_add_nc_u32_e32 v2, v2, v3
	ds_store_b32 v1, v2
.LBB215_23:
	s_or_b32 exec_lo, exec_lo, s0
	s_delay_alu instid0(SALU_CYCLE_1)
	s_mov_b32 s0, exec_lo
	s_waitcnt lgkmcnt(0)
	s_barrier
	buffer_gl0_inv
	v_cmpx_gt_u16_e32 2, v7
	s_cbranch_execz .LBB215_25
; %bb.24:
	ds_load_2addr_b32 v[2:3], v1 offset1:2
	s_waitcnt lgkmcnt(0)
	v_add_nc_u32_e32 v2, v2, v3
	ds_store_b32 v1, v2
.LBB215_25:
	s_or_b32 exec_lo, exec_lo, s0
	s_mov_b32 s1, 0
	s_mov_b32 s0, 0
	s_mov_b32 s2, exec_lo
	s_waitcnt lgkmcnt(0)
	s_barrier
	buffer_gl0_inv
                                        ; implicit-def: $vgpr2
                                        ; implicit-def: $vgpr3
	v_cmpx_gt_u32_e32 24, v0
	s_xor_b32 s2, exec_lo, s2
; %bb.26:
	v_mul_u32_u24_e32 v3, 24, v0
	s_mov_b32 s0, exec_lo
	s_delay_alu instid0(VALU_DEP_1)
	v_or_b32_e32 v2, 1, v3
	v_lshlrev_b32_e32 v3, 2, v3
; %bb.27:
	s_or_b32 exec_lo, exec_lo, s2
	s_delay_alu instid0(SALU_CYCLE_1)
	s_and_b32 vcc_lo, exec_lo, s1
	s_cbranch_vccnz .LBB215_29
	s_branch .LBB215_40
.LBB215_28:
	s_mov_b32 s0, 0
                                        ; implicit-def: $vgpr2
                                        ; implicit-def: $vgpr3
	s_cbranch_execz .LBB215_40
.LBB215_29:
	v_cmp_gt_u32_e32 vcc_lo, 0xc0, v0
	s_and_saveexec_b32 s1, vcc_lo
	s_cbranch_execz .LBB215_31
; %bb.30:
	ds_load_2addr_stride64_b32 v[2:3], v1 offset1:6
	s_waitcnt lgkmcnt(0)
	v_add_nc_u32_e32 v2, v2, v3
	ds_store_b32 v1, v2
.LBB215_31:
	s_or_b32 exec_lo, exec_lo, s1
	s_waitcnt lgkmcnt(0)
	s_barrier
	buffer_gl0_inv
	s_and_saveexec_b32 s1, vcc_lo
	s_cbranch_execz .LBB215_33
; %bb.32:
	ds_load_2addr_stride64_b32 v[2:3], v1 offset1:3
	s_waitcnt lgkmcnt(0)
	v_add_nc_u32_e32 v2, v2, v3
	ds_store_b32 v1, v2
.LBB215_33:
	s_or_b32 exec_lo, exec_lo, s1
	s_delay_alu instid0(SALU_CYCLE_1)
	s_mov_b32 s1, exec_lo
	s_waitcnt lgkmcnt(0)
	s_barrier
	buffer_gl0_inv
	v_cmpx_gt_u32_e32 0x60, v0
	s_cbranch_execz .LBB215_35
; %bb.34:
	ds_load_2addr_b32 v[2:3], v1 offset1:96
	s_waitcnt lgkmcnt(0)
	v_add_nc_u32_e32 v2, v2, v3
	ds_store_b32 v1, v2
.LBB215_35:
	s_or_b32 exec_lo, exec_lo, s1
	s_delay_alu instid0(SALU_CYCLE_1)
	s_mov_b32 s1, exec_lo
	s_waitcnt lgkmcnt(0)
	s_barrier
	buffer_gl0_inv
	v_cmpx_gt_u32_e32 48, v0
	s_cbranch_execz .LBB215_37
; %bb.36:
	ds_load_2addr_b32 v[2:3], v1 offset1:48
	s_waitcnt lgkmcnt(0)
	v_add_nc_u32_e32 v2, v2, v3
	ds_store_b32 v1, v2
.LBB215_37:
	s_or_b32 exec_lo, exec_lo, s1
	s_delay_alu instid0(SALU_CYCLE_1)
	s_mov_b32 s1, exec_lo
	s_waitcnt lgkmcnt(0)
	buffer_gl0_inv
                                        ; implicit-def: $vgpr2
	v_cmpx_gt_u32_e32 24, v0
; %bb.38:
	v_add_nc_u32_e32 v2, 24, v0
	s_or_b32 s0, s0, exec_lo
                                        ; implicit-def: $vgpr6
; %bb.39:
	s_or_b32 exec_lo, exec_lo, s1
	v_mov_b32_e32 v3, v1
.LBB215_40:
	s_and_saveexec_b32 s1, s0
	s_cbranch_execz .LBB215_42
; %bb.41:
	v_lshlrev_b32_e32 v1, 2, v2
	ds_load_b32 v2, v3
	ds_load_b32 v1, v1
	s_waitcnt lgkmcnt(0)
	v_add_nc_u32_e32 v6, v1, v2
.LBB215_42:
	s_or_b32 exec_lo, exec_lo, s1
	s_delay_alu instid0(SALU_CYCLE_1)
	s_mov_b32 s0, exec_lo
	v_cmpx_gt_u32_e32 24, v0
	s_cbranch_execz .LBB215_46
; %bb.43:
	v_mul_lo_u32 v1, v6, s11
	s_cmp_eq_u32 s3, 0
	s_mov_b32 s0, 0
	s_cbranch_scc1 .LBB215_47
; %bb.44:
	s_delay_alu instid0(VALU_DEP_1) | instskip(SKIP_1) | instid1(VALU_DEP_1)
	v_mad_u64_u32 v[2:3], null, s8, 24, v[0:1]
	v_mov_b32_e32 v3, 0
	v_lshlrev_b64 v[2:3], 2, v[2:3]
	s_delay_alu instid0(VALU_DEP_1) | instskip(NEXT) | instid1(VALU_DEP_2)
	v_add_co_u32 v2, vcc_lo, s4, v2
	v_add_co_ci_u32_e32 v3, vcc_lo, s5, v3, vcc_lo
	global_load_b32 v6, v[2:3], off
	s_waitcnt vmcnt(0)
	v_mad_u64_u32 v[4:5], null, v6, s3, v[1:2]
	global_store_b32 v[2:3], v4, off
	s_and_not1_b32 vcc_lo, exec_lo, s0
	s_cbranch_vccnz .LBB215_46
.LBB215_45:
	s_delay_alu instid0(VALU_DEP_1) | instskip(SKIP_1) | instid1(VALU_DEP_1)
	v_mad_u64_u32 v[2:3], null, s8, 24, v[0:1]
	v_mov_b32_e32 v3, 0
	v_lshlrev_b64 v[2:3], 2, v[2:3]
	s_delay_alu instid0(VALU_DEP_1) | instskip(NEXT) | instid1(VALU_DEP_2)
	v_add_co_u32 v2, vcc_lo, s4, v2
	v_add_co_ci_u32_e32 v3, vcc_lo, s5, v3, vcc_lo
	global_store_b32 v[2:3], v1, off
.LBB215_46:
	s_nop 0
	s_sendmsg sendmsg(MSG_DEALLOC_VGPRS)
	s_endpgm
.LBB215_47:
	s_branch .LBB215_45
	.section	.rodata,"a",@progbits
	.p2align	6, 0x0
	.amdhsa_kernel _ZN9rocsparseL20bsrxmvn_17_32_kernelILj24EiliaaiEEvT2_20rocsparse_direction_NS_24const_host_device_scalarIT0_EES1_PKS1_PKT1_SA_S7_PKT3_PKT4_S5_PT5_21rocsparse_index_base_b
		.amdhsa_group_segment_fixed_size 2304
		.amdhsa_private_segment_fixed_size 0
		.amdhsa_kernarg_size 96
		.amdhsa_user_sgpr_count 15
		.amdhsa_user_sgpr_dispatch_ptr 0
		.amdhsa_user_sgpr_queue_ptr 0
		.amdhsa_user_sgpr_kernarg_segment_ptr 1
		.amdhsa_user_sgpr_dispatch_id 0
		.amdhsa_user_sgpr_private_segment_size 0
		.amdhsa_wavefront_size32 1
		.amdhsa_uses_dynamic_stack 0
		.amdhsa_enable_private_segment 0
		.amdhsa_system_sgpr_workgroup_id_x 1
		.amdhsa_system_sgpr_workgroup_id_y 0
		.amdhsa_system_sgpr_workgroup_id_z 0
		.amdhsa_system_sgpr_workgroup_info 0
		.amdhsa_system_vgpr_workitem_id 0
		.amdhsa_next_free_vgpr 12
		.amdhsa_next_free_sgpr 24
		.amdhsa_reserve_vcc 1
		.amdhsa_float_round_mode_32 0
		.amdhsa_float_round_mode_16_64 0
		.amdhsa_float_denorm_mode_32 3
		.amdhsa_float_denorm_mode_16_64 3
		.amdhsa_dx10_clamp 1
		.amdhsa_ieee_mode 1
		.amdhsa_fp16_overflow 0
		.amdhsa_workgroup_processor_mode 1
		.amdhsa_memory_ordered 1
		.amdhsa_forward_progress 0
		.amdhsa_shared_vgpr_count 0
		.amdhsa_exception_fp_ieee_invalid_op 0
		.amdhsa_exception_fp_denorm_src 0
		.amdhsa_exception_fp_ieee_div_zero 0
		.amdhsa_exception_fp_ieee_overflow 0
		.amdhsa_exception_fp_ieee_underflow 0
		.amdhsa_exception_fp_ieee_inexact 0
		.amdhsa_exception_int_div_zero 0
	.end_amdhsa_kernel
	.section	.text._ZN9rocsparseL20bsrxmvn_17_32_kernelILj24EiliaaiEEvT2_20rocsparse_direction_NS_24const_host_device_scalarIT0_EES1_PKS1_PKT1_SA_S7_PKT3_PKT4_S5_PT5_21rocsparse_index_base_b,"axG",@progbits,_ZN9rocsparseL20bsrxmvn_17_32_kernelILj24EiliaaiEEvT2_20rocsparse_direction_NS_24const_host_device_scalarIT0_EES1_PKS1_PKT1_SA_S7_PKT3_PKT4_S5_PT5_21rocsparse_index_base_b,comdat
.Lfunc_end215:
	.size	_ZN9rocsparseL20bsrxmvn_17_32_kernelILj24EiliaaiEEvT2_20rocsparse_direction_NS_24const_host_device_scalarIT0_EES1_PKS1_PKT1_SA_S7_PKT3_PKT4_S5_PT5_21rocsparse_index_base_b, .Lfunc_end215-_ZN9rocsparseL20bsrxmvn_17_32_kernelILj24EiliaaiEEvT2_20rocsparse_direction_NS_24const_host_device_scalarIT0_EES1_PKS1_PKT1_SA_S7_PKT3_PKT4_S5_PT5_21rocsparse_index_base_b
                                        ; -- End function
	.section	.AMDGPU.csdata,"",@progbits
; Kernel info:
; codeLenInByte = 1624
; NumSgprs: 26
; NumVgprs: 12
; ScratchSize: 0
; MemoryBound: 0
; FloatMode: 240
; IeeeMode: 1
; LDSByteSize: 2304 bytes/workgroup (compile time only)
; SGPRBlocks: 3
; VGPRBlocks: 1
; NumSGPRsForWavesPerEU: 26
; NumVGPRsForWavesPerEU: 12
; Occupancy: 14
; WaveLimiterHint : 1
; COMPUTE_PGM_RSRC2:SCRATCH_EN: 0
; COMPUTE_PGM_RSRC2:USER_SGPR: 15
; COMPUTE_PGM_RSRC2:TRAP_HANDLER: 0
; COMPUTE_PGM_RSRC2:TGID_X_EN: 1
; COMPUTE_PGM_RSRC2:TGID_Y_EN: 0
; COMPUTE_PGM_RSRC2:TGID_Z_EN: 0
; COMPUTE_PGM_RSRC2:TIDIG_COMP_CNT: 0
	.section	.text._ZN9rocsparseL20bsrxmvn_17_32_kernelILj25EiliaaiEEvT2_20rocsparse_direction_NS_24const_host_device_scalarIT0_EES1_PKS1_PKT1_SA_S7_PKT3_PKT4_S5_PT5_21rocsparse_index_base_b,"axG",@progbits,_ZN9rocsparseL20bsrxmvn_17_32_kernelILj25EiliaaiEEvT2_20rocsparse_direction_NS_24const_host_device_scalarIT0_EES1_PKS1_PKT1_SA_S7_PKT3_PKT4_S5_PT5_21rocsparse_index_base_b,comdat
	.globl	_ZN9rocsparseL20bsrxmvn_17_32_kernelILj25EiliaaiEEvT2_20rocsparse_direction_NS_24const_host_device_scalarIT0_EES1_PKS1_PKT1_SA_S7_PKT3_PKT4_S5_PT5_21rocsparse_index_base_b ; -- Begin function _ZN9rocsparseL20bsrxmvn_17_32_kernelILj25EiliaaiEEvT2_20rocsparse_direction_NS_24const_host_device_scalarIT0_EES1_PKS1_PKT1_SA_S7_PKT3_PKT4_S5_PT5_21rocsparse_index_base_b
	.p2align	8
	.type	_ZN9rocsparseL20bsrxmvn_17_32_kernelILj25EiliaaiEEvT2_20rocsparse_direction_NS_24const_host_device_scalarIT0_EES1_PKS1_PKT1_SA_S7_PKT3_PKT4_S5_PT5_21rocsparse_index_base_b,@function
_ZN9rocsparseL20bsrxmvn_17_32_kernelILj25EiliaaiEEvT2_20rocsparse_direction_NS_24const_host_device_scalarIT0_EES1_PKS1_PKT1_SA_S7_PKT3_PKT4_S5_PT5_21rocsparse_index_base_b: ; @_ZN9rocsparseL20bsrxmvn_17_32_kernelILj25EiliaaiEEvT2_20rocsparse_direction_NS_24const_host_device_scalarIT0_EES1_PKS1_PKT1_SA_S7_PKT3_PKT4_S5_PT5_21rocsparse_index_base_b
; %bb.0:
	s_clause 0x1
	s_load_b64 s[10:11], s[0:1], 0x58
	s_load_b64 s[4:5], s[0:1], 0x8
	s_mov_b32 s8, s15
	s_mov_b32 s7, -1
	s_waitcnt lgkmcnt(0)
	s_bitcmp1_b32 s11, 0
                                        ; implicit-def: $sgpr11
	s_cselect_b32 s2, -1, 0
	s_delay_alu instid0(SALU_CYCLE_1) | instskip(NEXT) | instid1(SALU_CYCLE_1)
	s_xor_b32 s6, s2, -1
	s_and_b32 vcc_lo, exec_lo, s6
	s_cbranch_vccnz .LBB216_4
; %bb.1:
	s_load_b64 s[2:3], s[0:1], 0x48
	s_and_not1_b32 vcc_lo, exec_lo, s7
	s_cbranch_vccz .LBB216_5
.LBB216_2:
	s_and_b32 vcc_lo, exec_lo, s6
	s_cbranch_vccz .LBB216_6
.LBB216_3:
	s_waitcnt lgkmcnt(0)
	s_load_b32 s3, s[2:3], 0x0
	s_cbranch_execz .LBB216_7
	s_branch .LBB216_8
.LBB216_4:
	s_load_b32 s11, s[4:5], 0x0
	s_load_b64 s[2:3], s[0:1], 0x48
	s_cbranch_execnz .LBB216_2
.LBB216_5:
	s_waitcnt lgkmcnt(0)
	s_mov_b32 s11, s4
	s_and_b32 vcc_lo, exec_lo, s6
	s_cbranch_vccnz .LBB216_3
.LBB216_6:
                                        ; implicit-def: $sgpr3
.LBB216_7:
	s_waitcnt lgkmcnt(0)
	s_mov_b32 s3, s2
.LBB216_8:
	s_waitcnt lgkmcnt(0)
	s_cmp_lg_u32 s11, 0
	s_cselect_b32 s2, -1, 0
	s_cmp_lg_u32 s3, 1
	s_cselect_b32 s4, -1, 0
	s_delay_alu instid0(SALU_CYCLE_1) | instskip(NEXT) | instid1(SALU_CYCLE_1)
	s_or_b32 s2, s2, s4
	s_and_not1_b32 vcc_lo, exec_lo, s2
	s_cbranch_vccnz .LBB216_46
; %bb.9:
	s_clause 0x1
	s_load_b128 s[4:7], s[0:1], 0x18
	s_load_b64 s[12:13], s[0:1], 0x28
	s_waitcnt lgkmcnt(0)
	s_cmp_eq_u64 s[4:5], 0
	s_cbranch_scc1 .LBB216_11
; %bb.10:
	s_ashr_i32 s9, s8, 31
	s_delay_alu instid0(SALU_CYCLE_1) | instskip(NEXT) | instid1(SALU_CYCLE_1)
	s_lshl_b64 s[8:9], s[8:9], 2
	s_add_u32 s4, s4, s8
	s_addc_u32 s5, s5, s9
	s_load_b32 s2, s[4:5], 0x0
	s_waitcnt lgkmcnt(0)
	s_sub_i32 s8, s2, s10
.LBB216_11:
	s_load_b32 s4, s[0:1], 0x4
	v_mul_u32_u24_e32 v1, 0xa3e, v0
	v_mov_b32_e32 v6, 0
	s_delay_alu instid0(VALU_DEP_2) | instskip(NEXT) | instid1(VALU_DEP_1)
	v_lshrrev_b32_e32 v1, 16, v1
	v_mul_lo_u16 v2, v1, 25
	s_delay_alu instid0(VALU_DEP_1)
	v_sub_nc_u16 v7, v0, v2
	s_waitcnt lgkmcnt(0)
	s_cmp_eq_u32 s4, 1
	s_cselect_b32 s2, -1, 0
	s_cmp_lg_u32 s4, 1
	s_cselect_b32 s16, -1, 0
	s_ashr_i32 s9, s8, 31
	s_delay_alu instid0(SALU_CYCLE_1) | instskip(NEXT) | instid1(SALU_CYCLE_1)
	s_lshl_b64 s[4:5], s[8:9], 3
	s_add_u32 s6, s6, s4
	s_addc_u32 s7, s7, s5
	s_add_u32 s9, s6, 8
	s_addc_u32 s14, s7, 0
	;; [unrolled: 2-line block ×3, first 2 shown]
	s_cmp_eq_u64 s[12:13], 0
	s_cselect_b32 s5, s14, s5
	s_cselect_b32 s4, s9, s4
	s_load_b64 s[14:15], s[6:7], 0x0
	s_load_b64 s[6:7], s[4:5], 0x0
	;; [unrolled: 1-line block ×3, first 2 shown]
	s_waitcnt lgkmcnt(0)
	v_cmp_ge_i64_e64 s9, s[14:15], s[6:7]
	s_delay_alu instid0(VALU_DEP_1)
	s_and_b32 vcc_lo, exec_lo, s9
	s_cbranch_vccnz .LBB216_16
; %bb.12:
	v_dual_mov_b32 v6, 0 :: v_dual_and_b32 v1, 0xffff, v1
	v_cmp_lt_u32_e32 vcc_lo, 0x270, v0
	s_clause 0x1
	s_load_b128 s[20:23], s[0:1], 0x30
	s_load_b64 s[0:1], s[0:1], 0x40
	v_subrev_nc_u32_e32 v3, 25, v1
	s_sub_u32 s6, s6, s10
	v_cndmask_b32_e64 v8, 0, 1, vcc_lo
	v_cmp_gt_u32_e32 vcc_lo, 0x271, v0
	v_and_b32_e32 v2, 0xffff, v7
	s_subb_u32 s7, s7, 0
	s_sub_u32 s12, s14, s10
	s_subb_u32 s13, s15, 0
	v_cndmask_b32_e32 v1, v3, v1, vcc_lo
	s_mul_i32 s9, s13, 0x271
	s_delay_alu instid0(VALU_DEP_1) | instskip(SKIP_1) | instid1(VALU_DEP_1)
	v_cndmask_b32_e64 v1, v2, v1, s2
	v_add_co_u32 v2, s2, s14, v8
	v_add_co_ci_u32_e64 v3, null, s15, 0, s2
	s_mul_hi_u32 s2, s12, 0x271
	s_delay_alu instid0(VALU_DEP_2) | instskip(NEXT) | instid1(VALU_DEP_2)
	v_sub_co_u32 v2, vcc_lo, v2, s10
	v_subrev_co_ci_u32_e32 v3, vcc_lo, 0, v3, vcc_lo
	s_mul_i32 s14, s12, 0x271
	s_add_i32 s2, s2, s9
	s_waitcnt lgkmcnt(0)
	s_add_u32 s9, s22, s14
	v_lshlrev_b64 v[4:5], 2, v[2:3]
	s_addc_u32 s2, s23, s2
	v_add_co_u32 v2, s9, s9, v0
	s_delay_alu instid0(VALU_DEP_1) | instskip(NEXT) | instid1(VALU_DEP_3)
	v_add_co_ci_u32_e64 v3, null, s2, 0, s9
	v_add_co_u32 v4, vcc_lo, s20, v4
	s_delay_alu instid0(VALU_DEP_4)
	v_add_co_ci_u32_e32 v5, vcc_lo, s21, v5, vcc_lo
	s_set_inst_prefetch_distance 0x1
	s_branch .LBB216_14
	.p2align	6
.LBB216_13:                             ;   in Loop: Header=BB216_14 Depth=1
	s_or_b32 exec_lo, exec_lo, s2
	s_add_u32 s12, s12, 1
	s_addc_u32 s13, s13, 0
	v_add_co_u32 v4, vcc_lo, v4, 4
	v_cmp_lt_i64_e64 s2, s[12:13], s[6:7]
	v_add_co_ci_u32_e32 v5, vcc_lo, 0, v5, vcc_lo
	s_delay_alu instid0(VALU_DEP_2)
	s_and_b32 vcc_lo, exec_lo, s2
	s_cbranch_vccz .LBB216_16
.LBB216_14:                             ; =>This Inner Loop Header: Depth=1
	v_add_co_u32 v9, s2, v8, s12
	s_delay_alu instid0(VALU_DEP_1) | instskip(SKIP_1) | instid1(VALU_DEP_1)
	v_add_co_ci_u32_e64 v10, null, 0, s13, s2
	s_mov_b32 s2, exec_lo
	v_cmpx_gt_i64_e64 s[6:7], v[9:10]
	s_cbranch_execz .LBB216_13
; %bb.15:                               ;   in Loop: Header=BB216_14 Depth=1
	global_load_b32 v9, v[4:5], off
	s_waitcnt vmcnt(0)
	v_subrev_nc_u32_e32 v11, s10, v9
	s_delay_alu instid0(VALU_DEP_1) | instskip(NEXT) | instid1(VALU_DEP_1)
	v_mad_u64_u32 v[9:10], null, v11, 25, v[1:2]
	v_ashrrev_i32_e32 v10, 31, v9
	v_add_co_u32 v9, vcc_lo, s0, v9
	s_delay_alu instid0(VALU_DEP_2)
	v_add_co_ci_u32_e32 v10, vcc_lo, s1, v10, vcc_lo
	global_load_i8 v11, v[2:3], off
	global_load_i8 v9, v[9:10], off
	v_add_co_u32 v2, vcc_lo, 0x271, v2
	v_add_co_ci_u32_e32 v3, vcc_lo, 0, v3, vcc_lo
	s_waitcnt vmcnt(0)
	v_mad_i32_i24 v6, v9, v11, v6
	s_branch .LBB216_13
.LBB216_16:
	s_set_inst_prefetch_distance 0x2
	v_lshlrev_b32_e32 v1, 2, v0
	s_and_b32 vcc_lo, exec_lo, s16
	ds_store_b32 v1, v6
	s_waitcnt lgkmcnt(0)
	s_barrier
	buffer_gl0_inv
	s_cbranch_vccz .LBB216_28
; %bb.17:
	s_mov_b32 s0, exec_lo
	v_cmpx_gt_u16_e32 9, v7
	s_cbranch_execz .LBB216_19
; %bb.18:
	ds_load_2addr_b32 v[2:3], v1 offset1:16
	s_waitcnt lgkmcnt(0)
	v_add_nc_u32_e32 v2, v2, v3
	ds_store_b32 v1, v2
.LBB216_19:
	s_or_b32 exec_lo, exec_lo, s0
	s_delay_alu instid0(SALU_CYCLE_1)
	s_mov_b32 s0, exec_lo
	s_waitcnt lgkmcnt(0)
	s_barrier
	buffer_gl0_inv
	v_cmpx_gt_u16_e32 8, v7
	s_cbranch_execz .LBB216_21
; %bb.20:
	ds_load_2addr_b32 v[2:3], v1 offset1:8
	s_waitcnt lgkmcnt(0)
	v_add_nc_u32_e32 v2, v2, v3
	ds_store_b32 v1, v2
.LBB216_21:
	s_or_b32 exec_lo, exec_lo, s0
	s_delay_alu instid0(SALU_CYCLE_1)
	s_mov_b32 s0, exec_lo
	s_waitcnt lgkmcnt(0)
	s_barrier
	buffer_gl0_inv
	v_cmpx_gt_u16_e32 4, v7
	s_cbranch_execz .LBB216_23
; %bb.22:
	ds_load_2addr_b32 v[2:3], v1 offset1:4
	s_waitcnt lgkmcnt(0)
	v_add_nc_u32_e32 v2, v2, v3
	ds_store_b32 v1, v2
.LBB216_23:
	s_or_b32 exec_lo, exec_lo, s0
	s_delay_alu instid0(SALU_CYCLE_1)
	s_mov_b32 s0, exec_lo
	s_waitcnt lgkmcnt(0)
	s_barrier
	buffer_gl0_inv
	v_cmpx_gt_u16_e32 2, v7
	s_cbranch_execz .LBB216_25
; %bb.24:
	ds_load_2addr_b32 v[2:3], v1 offset1:2
	s_waitcnt lgkmcnt(0)
	v_add_nc_u32_e32 v2, v2, v3
	ds_store_b32 v1, v2
.LBB216_25:
	s_or_b32 exec_lo, exec_lo, s0
	s_mov_b32 s1, 0
	s_mov_b32 s0, 0
	s_mov_b32 s2, exec_lo
	s_waitcnt lgkmcnt(0)
	s_barrier
	buffer_gl0_inv
                                        ; implicit-def: $vgpr2
                                        ; implicit-def: $vgpr3
	v_cmpx_gt_u32_e32 25, v0
	s_xor_b32 s2, exec_lo, s2
; %bb.26:
	v_mul_u32_u24_e32 v3, 25, v0
	v_mad_u32_u24 v2, v0, 25, 1
	s_mov_b32 s0, exec_lo
	s_delay_alu instid0(VALU_DEP_2)
	v_lshlrev_b32_e32 v3, 2, v3
; %bb.27:
	s_or_b32 exec_lo, exec_lo, s2
	s_delay_alu instid0(SALU_CYCLE_1)
	s_and_b32 vcc_lo, exec_lo, s1
	s_cbranch_vccnz .LBB216_29
	s_branch .LBB216_40
.LBB216_28:
	s_mov_b32 s0, 0
                                        ; implicit-def: $vgpr2
                                        ; implicit-def: $vgpr3
	s_cbranch_execz .LBB216_40
.LBB216_29:
	s_mov_b32 s1, exec_lo
	v_cmpx_gt_u32_e32 0xe1, v0
	s_cbranch_execz .LBB216_31
; %bb.30:
	ds_load_b32 v2, v1 offset:1600
	ds_load_b32 v3, v1
	s_waitcnt lgkmcnt(0)
	v_add_nc_u32_e32 v2, v3, v2
	ds_store_b32 v1, v2
.LBB216_31:
	s_or_b32 exec_lo, exec_lo, s1
	s_delay_alu instid0(SALU_CYCLE_1)
	s_mov_b32 s1, exec_lo
	s_waitcnt lgkmcnt(0)
	s_barrier
	buffer_gl0_inv
	v_cmpx_gt_u32_e32 0xc8, v0
	s_cbranch_execz .LBB216_33
; %bb.32:
	ds_load_2addr_b32 v[2:3], v1 offset1:200
	s_waitcnt lgkmcnt(0)
	v_add_nc_u32_e32 v2, v2, v3
	ds_store_b32 v1, v2
.LBB216_33:
	s_or_b32 exec_lo, exec_lo, s1
	s_delay_alu instid0(SALU_CYCLE_1)
	s_mov_b32 s1, exec_lo
	s_waitcnt lgkmcnt(0)
	s_barrier
	buffer_gl0_inv
	v_cmpx_gt_u32_e32 0x64, v0
	s_cbranch_execz .LBB216_35
; %bb.34:
	ds_load_2addr_b32 v[2:3], v1 offset1:100
	s_waitcnt lgkmcnt(0)
	v_add_nc_u32_e32 v2, v2, v3
	ds_store_b32 v1, v2
.LBB216_35:
	;; [unrolled: 14-line block ×3, first 2 shown]
	s_or_b32 exec_lo, exec_lo, s1
	s_delay_alu instid0(SALU_CYCLE_1)
	s_mov_b32 s1, exec_lo
	s_waitcnt lgkmcnt(0)
	buffer_gl0_inv
                                        ; implicit-def: $vgpr2
	v_cmpx_gt_u32_e32 25, v0
; %bb.38:
	v_add_nc_u32_e32 v2, 25, v0
	s_or_b32 s0, s0, exec_lo
                                        ; implicit-def: $vgpr6
; %bb.39:
	s_or_b32 exec_lo, exec_lo, s1
	v_mov_b32_e32 v3, v1
.LBB216_40:
	s_and_saveexec_b32 s1, s0
	s_cbranch_execz .LBB216_42
; %bb.41:
	v_lshlrev_b32_e32 v1, 2, v2
	ds_load_b32 v2, v3
	ds_load_b32 v1, v1
	s_waitcnt lgkmcnt(0)
	v_add_nc_u32_e32 v6, v1, v2
.LBB216_42:
	s_or_b32 exec_lo, exec_lo, s1
	s_delay_alu instid0(SALU_CYCLE_1)
	s_mov_b32 s0, exec_lo
	v_cmpx_gt_u32_e32 25, v0
	s_cbranch_execz .LBB216_46
; %bb.43:
	v_mul_lo_u32 v1, v6, s11
	s_cmp_eq_u32 s3, 0
	s_mov_b32 s0, 0
	s_cbranch_scc1 .LBB216_47
; %bb.44:
	s_delay_alu instid0(VALU_DEP_1) | instskip(SKIP_1) | instid1(VALU_DEP_1)
	v_mad_u64_u32 v[2:3], null, s8, 25, v[0:1]
	v_mov_b32_e32 v3, 0
	v_lshlrev_b64 v[2:3], 2, v[2:3]
	s_delay_alu instid0(VALU_DEP_1) | instskip(NEXT) | instid1(VALU_DEP_2)
	v_add_co_u32 v2, vcc_lo, s4, v2
	v_add_co_ci_u32_e32 v3, vcc_lo, s5, v3, vcc_lo
	global_load_b32 v6, v[2:3], off
	s_waitcnt vmcnt(0)
	v_mad_u64_u32 v[4:5], null, v6, s3, v[1:2]
	global_store_b32 v[2:3], v4, off
	s_and_not1_b32 vcc_lo, exec_lo, s0
	s_cbranch_vccnz .LBB216_46
.LBB216_45:
	s_delay_alu instid0(VALU_DEP_1) | instskip(SKIP_1) | instid1(VALU_DEP_1)
	v_mad_u64_u32 v[2:3], null, s8, 25, v[0:1]
	v_mov_b32_e32 v3, 0
	v_lshlrev_b64 v[2:3], 2, v[2:3]
	s_delay_alu instid0(VALU_DEP_1) | instskip(NEXT) | instid1(VALU_DEP_2)
	v_add_co_u32 v2, vcc_lo, s4, v2
	v_add_co_ci_u32_e32 v3, vcc_lo, s5, v3, vcc_lo
	global_store_b32 v[2:3], v1, off
.LBB216_46:
	s_nop 0
	s_sendmsg sendmsg(MSG_DEALLOC_VGPRS)
	s_endpgm
.LBB216_47:
	s_branch .LBB216_45
	.section	.rodata,"a",@progbits
	.p2align	6, 0x0
	.amdhsa_kernel _ZN9rocsparseL20bsrxmvn_17_32_kernelILj25EiliaaiEEvT2_20rocsparse_direction_NS_24const_host_device_scalarIT0_EES1_PKS1_PKT1_SA_S7_PKT3_PKT4_S5_PT5_21rocsparse_index_base_b
		.amdhsa_group_segment_fixed_size 2500
		.amdhsa_private_segment_fixed_size 0
		.amdhsa_kernarg_size 96
		.amdhsa_user_sgpr_count 15
		.amdhsa_user_sgpr_dispatch_ptr 0
		.amdhsa_user_sgpr_queue_ptr 0
		.amdhsa_user_sgpr_kernarg_segment_ptr 1
		.amdhsa_user_sgpr_dispatch_id 0
		.amdhsa_user_sgpr_private_segment_size 0
		.amdhsa_wavefront_size32 1
		.amdhsa_uses_dynamic_stack 0
		.amdhsa_enable_private_segment 0
		.amdhsa_system_sgpr_workgroup_id_x 1
		.amdhsa_system_sgpr_workgroup_id_y 0
		.amdhsa_system_sgpr_workgroup_id_z 0
		.amdhsa_system_sgpr_workgroup_info 0
		.amdhsa_system_vgpr_workitem_id 0
		.amdhsa_next_free_vgpr 12
		.amdhsa_next_free_sgpr 24
		.amdhsa_reserve_vcc 1
		.amdhsa_float_round_mode_32 0
		.amdhsa_float_round_mode_16_64 0
		.amdhsa_float_denorm_mode_32 3
		.amdhsa_float_denorm_mode_16_64 3
		.amdhsa_dx10_clamp 1
		.amdhsa_ieee_mode 1
		.amdhsa_fp16_overflow 0
		.amdhsa_workgroup_processor_mode 1
		.amdhsa_memory_ordered 1
		.amdhsa_forward_progress 0
		.amdhsa_shared_vgpr_count 0
		.amdhsa_exception_fp_ieee_invalid_op 0
		.amdhsa_exception_fp_denorm_src 0
		.amdhsa_exception_fp_ieee_div_zero 0
		.amdhsa_exception_fp_ieee_overflow 0
		.amdhsa_exception_fp_ieee_underflow 0
		.amdhsa_exception_fp_ieee_inexact 0
		.amdhsa_exception_int_div_zero 0
	.end_amdhsa_kernel
	.section	.text._ZN9rocsparseL20bsrxmvn_17_32_kernelILj25EiliaaiEEvT2_20rocsparse_direction_NS_24const_host_device_scalarIT0_EES1_PKS1_PKT1_SA_S7_PKT3_PKT4_S5_PT5_21rocsparse_index_base_b,"axG",@progbits,_ZN9rocsparseL20bsrxmvn_17_32_kernelILj25EiliaaiEEvT2_20rocsparse_direction_NS_24const_host_device_scalarIT0_EES1_PKS1_PKT1_SA_S7_PKT3_PKT4_S5_PT5_21rocsparse_index_base_b,comdat
.Lfunc_end216:
	.size	_ZN9rocsparseL20bsrxmvn_17_32_kernelILj25EiliaaiEEvT2_20rocsparse_direction_NS_24const_host_device_scalarIT0_EES1_PKS1_PKT1_SA_S7_PKT3_PKT4_S5_PT5_21rocsparse_index_base_b, .Lfunc_end216-_ZN9rocsparseL20bsrxmvn_17_32_kernelILj25EiliaaiEEvT2_20rocsparse_direction_NS_24const_host_device_scalarIT0_EES1_PKS1_PKT1_SA_S7_PKT3_PKT4_S5_PT5_21rocsparse_index_base_b
                                        ; -- End function
	.section	.AMDGPU.csdata,"",@progbits
; Kernel info:
; codeLenInByte = 1656
; NumSgprs: 26
; NumVgprs: 12
; ScratchSize: 0
; MemoryBound: 0
; FloatMode: 240
; IeeeMode: 1
; LDSByteSize: 2500 bytes/workgroup (compile time only)
; SGPRBlocks: 3
; VGPRBlocks: 1
; NumSGPRsForWavesPerEU: 26
; NumVGPRsForWavesPerEU: 12
; Occupancy: 15
; WaveLimiterHint : 1
; COMPUTE_PGM_RSRC2:SCRATCH_EN: 0
; COMPUTE_PGM_RSRC2:USER_SGPR: 15
; COMPUTE_PGM_RSRC2:TRAP_HANDLER: 0
; COMPUTE_PGM_RSRC2:TGID_X_EN: 1
; COMPUTE_PGM_RSRC2:TGID_Y_EN: 0
; COMPUTE_PGM_RSRC2:TGID_Z_EN: 0
; COMPUTE_PGM_RSRC2:TIDIG_COMP_CNT: 0
	.section	.text._ZN9rocsparseL20bsrxmvn_17_32_kernelILj26EiliaaiEEvT2_20rocsparse_direction_NS_24const_host_device_scalarIT0_EES1_PKS1_PKT1_SA_S7_PKT3_PKT4_S5_PT5_21rocsparse_index_base_b,"axG",@progbits,_ZN9rocsparseL20bsrxmvn_17_32_kernelILj26EiliaaiEEvT2_20rocsparse_direction_NS_24const_host_device_scalarIT0_EES1_PKS1_PKT1_SA_S7_PKT3_PKT4_S5_PT5_21rocsparse_index_base_b,comdat
	.globl	_ZN9rocsparseL20bsrxmvn_17_32_kernelILj26EiliaaiEEvT2_20rocsparse_direction_NS_24const_host_device_scalarIT0_EES1_PKS1_PKT1_SA_S7_PKT3_PKT4_S5_PT5_21rocsparse_index_base_b ; -- Begin function _ZN9rocsparseL20bsrxmvn_17_32_kernelILj26EiliaaiEEvT2_20rocsparse_direction_NS_24const_host_device_scalarIT0_EES1_PKS1_PKT1_SA_S7_PKT3_PKT4_S5_PT5_21rocsparse_index_base_b
	.p2align	8
	.type	_ZN9rocsparseL20bsrxmvn_17_32_kernelILj26EiliaaiEEvT2_20rocsparse_direction_NS_24const_host_device_scalarIT0_EES1_PKS1_PKT1_SA_S7_PKT3_PKT4_S5_PT5_21rocsparse_index_base_b,@function
_ZN9rocsparseL20bsrxmvn_17_32_kernelILj26EiliaaiEEvT2_20rocsparse_direction_NS_24const_host_device_scalarIT0_EES1_PKS1_PKT1_SA_S7_PKT3_PKT4_S5_PT5_21rocsparse_index_base_b: ; @_ZN9rocsparseL20bsrxmvn_17_32_kernelILj26EiliaaiEEvT2_20rocsparse_direction_NS_24const_host_device_scalarIT0_EES1_PKS1_PKT1_SA_S7_PKT3_PKT4_S5_PT5_21rocsparse_index_base_b
; %bb.0:
	s_clause 0x1
	s_load_b64 s[10:11], s[0:1], 0x58
	s_load_b64 s[4:5], s[0:1], 0x8
	s_mov_b32 s8, s15
	s_mov_b32 s7, -1
	s_waitcnt lgkmcnt(0)
	s_bitcmp1_b32 s11, 0
                                        ; implicit-def: $sgpr11
	s_cselect_b32 s2, -1, 0
	s_delay_alu instid0(SALU_CYCLE_1) | instskip(NEXT) | instid1(SALU_CYCLE_1)
	s_xor_b32 s6, s2, -1
	s_and_b32 vcc_lo, exec_lo, s6
	s_cbranch_vccnz .LBB217_4
; %bb.1:
	s_load_b64 s[2:3], s[0:1], 0x48
	s_and_not1_b32 vcc_lo, exec_lo, s7
	s_cbranch_vccz .LBB217_5
.LBB217_2:
	s_and_b32 vcc_lo, exec_lo, s6
	s_cbranch_vccz .LBB217_6
.LBB217_3:
	s_waitcnt lgkmcnt(0)
	s_load_b32 s3, s[2:3], 0x0
	s_cbranch_execz .LBB217_7
	s_branch .LBB217_8
.LBB217_4:
	s_load_b32 s11, s[4:5], 0x0
	s_load_b64 s[2:3], s[0:1], 0x48
	s_cbranch_execnz .LBB217_2
.LBB217_5:
	s_waitcnt lgkmcnt(0)
	s_mov_b32 s11, s4
	s_and_b32 vcc_lo, exec_lo, s6
	s_cbranch_vccnz .LBB217_3
.LBB217_6:
                                        ; implicit-def: $sgpr3
.LBB217_7:
	s_waitcnt lgkmcnt(0)
	s_mov_b32 s3, s2
.LBB217_8:
	s_waitcnt lgkmcnt(0)
	s_cmp_lg_u32 s11, 0
	s_cselect_b32 s2, -1, 0
	s_cmp_lg_u32 s3, 1
	s_cselect_b32 s4, -1, 0
	s_delay_alu instid0(SALU_CYCLE_1) | instskip(NEXT) | instid1(SALU_CYCLE_1)
	s_or_b32 s2, s2, s4
	s_and_not1_b32 vcc_lo, exec_lo, s2
	s_cbranch_vccnz .LBB217_46
; %bb.9:
	s_clause 0x1
	s_load_b128 s[4:7], s[0:1], 0x18
	s_load_b64 s[12:13], s[0:1], 0x28
	s_waitcnt lgkmcnt(0)
	s_cmp_eq_u64 s[4:5], 0
	s_cbranch_scc1 .LBB217_11
; %bb.10:
	s_ashr_i32 s9, s8, 31
	s_delay_alu instid0(SALU_CYCLE_1) | instskip(NEXT) | instid1(SALU_CYCLE_1)
	s_lshl_b64 s[8:9], s[8:9], 2
	s_add_u32 s4, s4, s8
	s_addc_u32 s5, s5, s9
	s_load_b32 s2, s[4:5], 0x0
	s_waitcnt lgkmcnt(0)
	s_sub_i32 s8, s2, s10
.LBB217_11:
	s_load_b32 s4, s[0:1], 0x4
	v_mul_u32_u24_e32 v1, 0x9d9, v0
	v_mov_b32_e32 v6, 0
	s_delay_alu instid0(VALU_DEP_2) | instskip(NEXT) | instid1(VALU_DEP_1)
	v_lshrrev_b32_e32 v1, 16, v1
	v_mul_lo_u16 v2, v1, 26
	s_delay_alu instid0(VALU_DEP_1)
	v_sub_nc_u16 v7, v0, v2
	s_waitcnt lgkmcnt(0)
	s_cmp_eq_u32 s4, 1
	s_cselect_b32 s2, -1, 0
	s_cmp_lg_u32 s4, 1
	s_cselect_b32 s16, -1, 0
	s_ashr_i32 s9, s8, 31
	s_delay_alu instid0(SALU_CYCLE_1) | instskip(NEXT) | instid1(SALU_CYCLE_1)
	s_lshl_b64 s[4:5], s[8:9], 3
	s_add_u32 s6, s6, s4
	s_addc_u32 s7, s7, s5
	s_add_u32 s9, s6, 8
	s_addc_u32 s14, s7, 0
	;; [unrolled: 2-line block ×3, first 2 shown]
	s_cmp_eq_u64 s[12:13], 0
	s_cselect_b32 s5, s14, s5
	s_cselect_b32 s4, s9, s4
	s_load_b64 s[14:15], s[6:7], 0x0
	s_load_b64 s[6:7], s[4:5], 0x0
	;; [unrolled: 1-line block ×3, first 2 shown]
	s_waitcnt lgkmcnt(0)
	v_cmp_ge_i64_e64 s9, s[14:15], s[6:7]
	s_delay_alu instid0(VALU_DEP_1)
	s_and_b32 vcc_lo, exec_lo, s9
	s_cbranch_vccnz .LBB217_16
; %bb.12:
	v_dual_mov_b32 v6, 0 :: v_dual_and_b32 v1, 0xffff, v1
	v_cmp_lt_u32_e32 vcc_lo, 0x2a3, v0
	s_clause 0x1
	s_load_b128 s[20:23], s[0:1], 0x30
	s_load_b64 s[0:1], s[0:1], 0x40
	v_subrev_nc_u32_e32 v3, 26, v1
	s_sub_u32 s6, s6, s10
	v_cndmask_b32_e64 v8, 0, 1, vcc_lo
	v_cmp_gt_u32_e32 vcc_lo, 0x2a4, v0
	v_and_b32_e32 v2, 0xffff, v7
	s_subb_u32 s7, s7, 0
	s_sub_u32 s12, s14, s10
	s_subb_u32 s13, s15, 0
	v_cndmask_b32_e32 v1, v3, v1, vcc_lo
	s_mul_i32 s9, s13, 0x2a4
	s_delay_alu instid0(VALU_DEP_1) | instskip(SKIP_1) | instid1(VALU_DEP_1)
	v_cndmask_b32_e64 v1, v2, v1, s2
	v_add_co_u32 v2, s2, s14, v8
	v_add_co_ci_u32_e64 v3, null, s15, 0, s2
	s_mul_hi_u32 s2, s12, 0x2a4
	s_delay_alu instid0(VALU_DEP_2) | instskip(NEXT) | instid1(VALU_DEP_2)
	v_sub_co_u32 v2, vcc_lo, v2, s10
	v_subrev_co_ci_u32_e32 v3, vcc_lo, 0, v3, vcc_lo
	s_mul_i32 s14, s12, 0x2a4
	s_add_i32 s2, s2, s9
	s_waitcnt lgkmcnt(0)
	s_add_u32 s9, s22, s14
	v_lshlrev_b64 v[4:5], 2, v[2:3]
	s_addc_u32 s2, s23, s2
	v_add_co_u32 v2, s9, s9, v0
	s_delay_alu instid0(VALU_DEP_1) | instskip(NEXT) | instid1(VALU_DEP_3)
	v_add_co_ci_u32_e64 v3, null, s2, 0, s9
	v_add_co_u32 v4, vcc_lo, s20, v4
	s_delay_alu instid0(VALU_DEP_4)
	v_add_co_ci_u32_e32 v5, vcc_lo, s21, v5, vcc_lo
	s_set_inst_prefetch_distance 0x1
	s_branch .LBB217_14
	.p2align	6
.LBB217_13:                             ;   in Loop: Header=BB217_14 Depth=1
	s_or_b32 exec_lo, exec_lo, s2
	s_add_u32 s12, s12, 1
	s_addc_u32 s13, s13, 0
	v_add_co_u32 v4, vcc_lo, v4, 4
	v_cmp_lt_i64_e64 s2, s[12:13], s[6:7]
	v_add_co_ci_u32_e32 v5, vcc_lo, 0, v5, vcc_lo
	s_delay_alu instid0(VALU_DEP_2)
	s_and_b32 vcc_lo, exec_lo, s2
	s_cbranch_vccz .LBB217_16
.LBB217_14:                             ; =>This Inner Loop Header: Depth=1
	v_add_co_u32 v9, s2, v8, s12
	s_delay_alu instid0(VALU_DEP_1) | instskip(SKIP_1) | instid1(VALU_DEP_1)
	v_add_co_ci_u32_e64 v10, null, 0, s13, s2
	s_mov_b32 s2, exec_lo
	v_cmpx_gt_i64_e64 s[6:7], v[9:10]
	s_cbranch_execz .LBB217_13
; %bb.15:                               ;   in Loop: Header=BB217_14 Depth=1
	global_load_b32 v9, v[4:5], off
	s_waitcnt vmcnt(0)
	v_subrev_nc_u32_e32 v11, s10, v9
	s_delay_alu instid0(VALU_DEP_1) | instskip(NEXT) | instid1(VALU_DEP_1)
	v_mad_u64_u32 v[9:10], null, v11, 26, v[1:2]
	v_ashrrev_i32_e32 v10, 31, v9
	v_add_co_u32 v9, vcc_lo, s0, v9
	s_delay_alu instid0(VALU_DEP_2)
	v_add_co_ci_u32_e32 v10, vcc_lo, s1, v10, vcc_lo
	global_load_i8 v11, v[2:3], off
	global_load_i8 v9, v[9:10], off
	v_add_co_u32 v2, vcc_lo, 0x2a4, v2
	v_add_co_ci_u32_e32 v3, vcc_lo, 0, v3, vcc_lo
	s_waitcnt vmcnt(0)
	v_mad_i32_i24 v6, v9, v11, v6
	s_branch .LBB217_13
.LBB217_16:
	s_set_inst_prefetch_distance 0x2
	v_lshlrev_b32_e32 v1, 2, v0
	s_and_b32 vcc_lo, exec_lo, s16
	ds_store_b32 v1, v6
	s_waitcnt lgkmcnt(0)
	s_barrier
	buffer_gl0_inv
	s_cbranch_vccz .LBB217_28
; %bb.17:
	s_mov_b32 s0, exec_lo
	v_cmpx_gt_u16_e32 10, v7
	s_cbranch_execz .LBB217_19
; %bb.18:
	ds_load_2addr_b32 v[2:3], v1 offset1:16
	s_waitcnt lgkmcnt(0)
	v_add_nc_u32_e32 v2, v2, v3
	ds_store_b32 v1, v2
.LBB217_19:
	s_or_b32 exec_lo, exec_lo, s0
	s_delay_alu instid0(SALU_CYCLE_1)
	s_mov_b32 s0, exec_lo
	s_waitcnt lgkmcnt(0)
	s_barrier
	buffer_gl0_inv
	v_cmpx_gt_u16_e32 8, v7
	s_cbranch_execz .LBB217_21
; %bb.20:
	ds_load_2addr_b32 v[2:3], v1 offset1:8
	s_waitcnt lgkmcnt(0)
	v_add_nc_u32_e32 v2, v2, v3
	ds_store_b32 v1, v2
.LBB217_21:
	s_or_b32 exec_lo, exec_lo, s0
	s_delay_alu instid0(SALU_CYCLE_1)
	s_mov_b32 s0, exec_lo
	s_waitcnt lgkmcnt(0)
	s_barrier
	buffer_gl0_inv
	;; [unrolled: 14-line block ×3, first 2 shown]
	v_cmpx_gt_u16_e32 2, v7
	s_cbranch_execz .LBB217_25
; %bb.24:
	ds_load_2addr_b32 v[2:3], v1 offset1:2
	s_waitcnt lgkmcnt(0)
	v_add_nc_u32_e32 v2, v2, v3
	ds_store_b32 v1, v2
.LBB217_25:
	s_or_b32 exec_lo, exec_lo, s0
	s_mov_b32 s1, 0
	s_mov_b32 s0, 0
	s_mov_b32 s2, exec_lo
	s_waitcnt lgkmcnt(0)
	s_barrier
	buffer_gl0_inv
                                        ; implicit-def: $vgpr2
                                        ; implicit-def: $vgpr3
	v_cmpx_gt_u32_e32 26, v0
	s_xor_b32 s2, exec_lo, s2
; %bb.26:
	v_mul_u32_u24_e32 v3, 26, v0
	s_mov_b32 s0, exec_lo
	s_delay_alu instid0(VALU_DEP_1)
	v_or_b32_e32 v2, 1, v3
	v_lshlrev_b32_e32 v3, 2, v3
; %bb.27:
	s_or_b32 exec_lo, exec_lo, s2
	s_delay_alu instid0(SALU_CYCLE_1)
	s_and_b32 vcc_lo, exec_lo, s1
	s_cbranch_vccnz .LBB217_29
	s_branch .LBB217_40
.LBB217_28:
	s_mov_b32 s0, 0
                                        ; implicit-def: $vgpr2
                                        ; implicit-def: $vgpr3
	s_cbranch_execz .LBB217_40
.LBB217_29:
	s_mov_b32 s1, exec_lo
	v_cmpx_gt_u32_e32 0x104, v0
	s_cbranch_execz .LBB217_31
; %bb.30:
	ds_load_b32 v2, v1 offset:1664
	ds_load_b32 v3, v1
	s_waitcnt lgkmcnt(0)
	v_add_nc_u32_e32 v2, v3, v2
	ds_store_b32 v1, v2
.LBB217_31:
	s_or_b32 exec_lo, exec_lo, s1
	s_delay_alu instid0(SALU_CYCLE_1)
	s_mov_b32 s1, exec_lo
	s_waitcnt lgkmcnt(0)
	s_barrier
	buffer_gl0_inv
	v_cmpx_gt_u32_e32 0xd0, v0
	s_cbranch_execz .LBB217_33
; %bb.32:
	ds_load_2addr_b32 v[2:3], v1 offset1:208
	s_waitcnt lgkmcnt(0)
	v_add_nc_u32_e32 v2, v2, v3
	ds_store_b32 v1, v2
.LBB217_33:
	s_or_b32 exec_lo, exec_lo, s1
	s_delay_alu instid0(SALU_CYCLE_1)
	s_mov_b32 s1, exec_lo
	s_waitcnt lgkmcnt(0)
	s_barrier
	buffer_gl0_inv
	v_cmpx_gt_u32_e32 0x68, v0
	s_cbranch_execz .LBB217_35
; %bb.34:
	ds_load_2addr_b32 v[2:3], v1 offset1:104
	s_waitcnt lgkmcnt(0)
	v_add_nc_u32_e32 v2, v2, v3
	ds_store_b32 v1, v2
.LBB217_35:
	;; [unrolled: 14-line block ×3, first 2 shown]
	s_or_b32 exec_lo, exec_lo, s1
	s_delay_alu instid0(SALU_CYCLE_1)
	s_mov_b32 s1, exec_lo
	s_waitcnt lgkmcnt(0)
	buffer_gl0_inv
                                        ; implicit-def: $vgpr2
	v_cmpx_gt_u32_e32 26, v0
; %bb.38:
	v_add_nc_u32_e32 v2, 26, v0
	s_or_b32 s0, s0, exec_lo
                                        ; implicit-def: $vgpr6
; %bb.39:
	s_or_b32 exec_lo, exec_lo, s1
	v_mov_b32_e32 v3, v1
.LBB217_40:
	s_and_saveexec_b32 s1, s0
	s_cbranch_execz .LBB217_42
; %bb.41:
	v_lshlrev_b32_e32 v1, 2, v2
	ds_load_b32 v2, v3
	ds_load_b32 v1, v1
	s_waitcnt lgkmcnt(0)
	v_add_nc_u32_e32 v6, v1, v2
.LBB217_42:
	s_or_b32 exec_lo, exec_lo, s1
	s_delay_alu instid0(SALU_CYCLE_1)
	s_mov_b32 s0, exec_lo
	v_cmpx_gt_u32_e32 26, v0
	s_cbranch_execz .LBB217_46
; %bb.43:
	v_mul_lo_u32 v1, v6, s11
	s_cmp_eq_u32 s3, 0
	s_mov_b32 s0, 0
	s_cbranch_scc1 .LBB217_47
; %bb.44:
	s_delay_alu instid0(VALU_DEP_1) | instskip(SKIP_1) | instid1(VALU_DEP_1)
	v_mad_u64_u32 v[2:3], null, s8, 26, v[0:1]
	v_mov_b32_e32 v3, 0
	v_lshlrev_b64 v[2:3], 2, v[2:3]
	s_delay_alu instid0(VALU_DEP_1) | instskip(NEXT) | instid1(VALU_DEP_2)
	v_add_co_u32 v2, vcc_lo, s4, v2
	v_add_co_ci_u32_e32 v3, vcc_lo, s5, v3, vcc_lo
	global_load_b32 v6, v[2:3], off
	s_waitcnt vmcnt(0)
	v_mad_u64_u32 v[4:5], null, v6, s3, v[1:2]
	global_store_b32 v[2:3], v4, off
	s_and_not1_b32 vcc_lo, exec_lo, s0
	s_cbranch_vccnz .LBB217_46
.LBB217_45:
	s_delay_alu instid0(VALU_DEP_1) | instskip(SKIP_1) | instid1(VALU_DEP_1)
	v_mad_u64_u32 v[2:3], null, s8, 26, v[0:1]
	v_mov_b32_e32 v3, 0
	v_lshlrev_b64 v[2:3], 2, v[2:3]
	s_delay_alu instid0(VALU_DEP_1) | instskip(NEXT) | instid1(VALU_DEP_2)
	v_add_co_u32 v2, vcc_lo, s4, v2
	v_add_co_ci_u32_e32 v3, vcc_lo, s5, v3, vcc_lo
	global_store_b32 v[2:3], v1, off
.LBB217_46:
	s_nop 0
	s_sendmsg sendmsg(MSG_DEALLOC_VGPRS)
	s_endpgm
.LBB217_47:
	s_branch .LBB217_45
	.section	.rodata,"a",@progbits
	.p2align	6, 0x0
	.amdhsa_kernel _ZN9rocsparseL20bsrxmvn_17_32_kernelILj26EiliaaiEEvT2_20rocsparse_direction_NS_24const_host_device_scalarIT0_EES1_PKS1_PKT1_SA_S7_PKT3_PKT4_S5_PT5_21rocsparse_index_base_b
		.amdhsa_group_segment_fixed_size 2704
		.amdhsa_private_segment_fixed_size 0
		.amdhsa_kernarg_size 96
		.amdhsa_user_sgpr_count 15
		.amdhsa_user_sgpr_dispatch_ptr 0
		.amdhsa_user_sgpr_queue_ptr 0
		.amdhsa_user_sgpr_kernarg_segment_ptr 1
		.amdhsa_user_sgpr_dispatch_id 0
		.amdhsa_user_sgpr_private_segment_size 0
		.amdhsa_wavefront_size32 1
		.amdhsa_uses_dynamic_stack 0
		.amdhsa_enable_private_segment 0
		.amdhsa_system_sgpr_workgroup_id_x 1
		.amdhsa_system_sgpr_workgroup_id_y 0
		.amdhsa_system_sgpr_workgroup_id_z 0
		.amdhsa_system_sgpr_workgroup_info 0
		.amdhsa_system_vgpr_workitem_id 0
		.amdhsa_next_free_vgpr 12
		.amdhsa_next_free_sgpr 24
		.amdhsa_reserve_vcc 1
		.amdhsa_float_round_mode_32 0
		.amdhsa_float_round_mode_16_64 0
		.amdhsa_float_denorm_mode_32 3
		.amdhsa_float_denorm_mode_16_64 3
		.amdhsa_dx10_clamp 1
		.amdhsa_ieee_mode 1
		.amdhsa_fp16_overflow 0
		.amdhsa_workgroup_processor_mode 1
		.amdhsa_memory_ordered 1
		.amdhsa_forward_progress 0
		.amdhsa_shared_vgpr_count 0
		.amdhsa_exception_fp_ieee_invalid_op 0
		.amdhsa_exception_fp_denorm_src 0
		.amdhsa_exception_fp_ieee_div_zero 0
		.amdhsa_exception_fp_ieee_overflow 0
		.amdhsa_exception_fp_ieee_underflow 0
		.amdhsa_exception_fp_ieee_inexact 0
		.amdhsa_exception_int_div_zero 0
	.end_amdhsa_kernel
	.section	.text._ZN9rocsparseL20bsrxmvn_17_32_kernelILj26EiliaaiEEvT2_20rocsparse_direction_NS_24const_host_device_scalarIT0_EES1_PKS1_PKT1_SA_S7_PKT3_PKT4_S5_PT5_21rocsparse_index_base_b,"axG",@progbits,_ZN9rocsparseL20bsrxmvn_17_32_kernelILj26EiliaaiEEvT2_20rocsparse_direction_NS_24const_host_device_scalarIT0_EES1_PKS1_PKT1_SA_S7_PKT3_PKT4_S5_PT5_21rocsparse_index_base_b,comdat
.Lfunc_end217:
	.size	_ZN9rocsparseL20bsrxmvn_17_32_kernelILj26EiliaaiEEvT2_20rocsparse_direction_NS_24const_host_device_scalarIT0_EES1_PKS1_PKT1_SA_S7_PKT3_PKT4_S5_PT5_21rocsparse_index_base_b, .Lfunc_end217-_ZN9rocsparseL20bsrxmvn_17_32_kernelILj26EiliaaiEEvT2_20rocsparse_direction_NS_24const_host_device_scalarIT0_EES1_PKS1_PKT1_SA_S7_PKT3_PKT4_S5_PT5_21rocsparse_index_base_b
                                        ; -- End function
	.section	.AMDGPU.csdata,"",@progbits
; Kernel info:
; codeLenInByte = 1652
; NumSgprs: 26
; NumVgprs: 12
; ScratchSize: 0
; MemoryBound: 0
; FloatMode: 240
; IeeeMode: 1
; LDSByteSize: 2704 bytes/workgroup (compile time only)
; SGPRBlocks: 3
; VGPRBlocks: 1
; NumSGPRsForWavesPerEU: 26
; NumVGPRsForWavesPerEU: 12
; Occupancy: 11
; WaveLimiterHint : 1
; COMPUTE_PGM_RSRC2:SCRATCH_EN: 0
; COMPUTE_PGM_RSRC2:USER_SGPR: 15
; COMPUTE_PGM_RSRC2:TRAP_HANDLER: 0
; COMPUTE_PGM_RSRC2:TGID_X_EN: 1
; COMPUTE_PGM_RSRC2:TGID_Y_EN: 0
; COMPUTE_PGM_RSRC2:TGID_Z_EN: 0
; COMPUTE_PGM_RSRC2:TIDIG_COMP_CNT: 0
	.section	.text._ZN9rocsparseL20bsrxmvn_17_32_kernelILj27EiliaaiEEvT2_20rocsparse_direction_NS_24const_host_device_scalarIT0_EES1_PKS1_PKT1_SA_S7_PKT3_PKT4_S5_PT5_21rocsparse_index_base_b,"axG",@progbits,_ZN9rocsparseL20bsrxmvn_17_32_kernelILj27EiliaaiEEvT2_20rocsparse_direction_NS_24const_host_device_scalarIT0_EES1_PKS1_PKT1_SA_S7_PKT3_PKT4_S5_PT5_21rocsparse_index_base_b,comdat
	.globl	_ZN9rocsparseL20bsrxmvn_17_32_kernelILj27EiliaaiEEvT2_20rocsparse_direction_NS_24const_host_device_scalarIT0_EES1_PKS1_PKT1_SA_S7_PKT3_PKT4_S5_PT5_21rocsparse_index_base_b ; -- Begin function _ZN9rocsparseL20bsrxmvn_17_32_kernelILj27EiliaaiEEvT2_20rocsparse_direction_NS_24const_host_device_scalarIT0_EES1_PKS1_PKT1_SA_S7_PKT3_PKT4_S5_PT5_21rocsparse_index_base_b
	.p2align	8
	.type	_ZN9rocsparseL20bsrxmvn_17_32_kernelILj27EiliaaiEEvT2_20rocsparse_direction_NS_24const_host_device_scalarIT0_EES1_PKS1_PKT1_SA_S7_PKT3_PKT4_S5_PT5_21rocsparse_index_base_b,@function
_ZN9rocsparseL20bsrxmvn_17_32_kernelILj27EiliaaiEEvT2_20rocsparse_direction_NS_24const_host_device_scalarIT0_EES1_PKS1_PKT1_SA_S7_PKT3_PKT4_S5_PT5_21rocsparse_index_base_b: ; @_ZN9rocsparseL20bsrxmvn_17_32_kernelILj27EiliaaiEEvT2_20rocsparse_direction_NS_24const_host_device_scalarIT0_EES1_PKS1_PKT1_SA_S7_PKT3_PKT4_S5_PT5_21rocsparse_index_base_b
; %bb.0:
	s_clause 0x1
	s_load_b64 s[10:11], s[0:1], 0x58
	s_load_b64 s[4:5], s[0:1], 0x8
	s_mov_b32 s8, s15
	s_mov_b32 s7, -1
	s_waitcnt lgkmcnt(0)
	s_bitcmp1_b32 s11, 0
                                        ; implicit-def: $sgpr11
	s_cselect_b32 s2, -1, 0
	s_delay_alu instid0(SALU_CYCLE_1) | instskip(NEXT) | instid1(SALU_CYCLE_1)
	s_xor_b32 s6, s2, -1
	s_and_b32 vcc_lo, exec_lo, s6
	s_cbranch_vccnz .LBB218_4
; %bb.1:
	s_load_b64 s[2:3], s[0:1], 0x48
	s_and_not1_b32 vcc_lo, exec_lo, s7
	s_cbranch_vccz .LBB218_5
.LBB218_2:
	s_and_b32 vcc_lo, exec_lo, s6
	s_cbranch_vccz .LBB218_6
.LBB218_3:
	s_waitcnt lgkmcnt(0)
	s_load_b32 s3, s[2:3], 0x0
	s_cbranch_execz .LBB218_7
	s_branch .LBB218_8
.LBB218_4:
	s_load_b32 s11, s[4:5], 0x0
	s_load_b64 s[2:3], s[0:1], 0x48
	s_cbranch_execnz .LBB218_2
.LBB218_5:
	s_waitcnt lgkmcnt(0)
	s_mov_b32 s11, s4
	s_and_b32 vcc_lo, exec_lo, s6
	s_cbranch_vccnz .LBB218_3
.LBB218_6:
                                        ; implicit-def: $sgpr3
.LBB218_7:
	s_waitcnt lgkmcnt(0)
	s_mov_b32 s3, s2
.LBB218_8:
	s_waitcnt lgkmcnt(0)
	s_cmp_lg_u32 s11, 0
	s_cselect_b32 s2, -1, 0
	s_cmp_lg_u32 s3, 1
	s_cselect_b32 s4, -1, 0
	s_delay_alu instid0(SALU_CYCLE_1) | instskip(NEXT) | instid1(SALU_CYCLE_1)
	s_or_b32 s2, s2, s4
	s_and_not1_b32 vcc_lo, exec_lo, s2
	s_cbranch_vccnz .LBB218_46
; %bb.9:
	s_clause 0x1
	s_load_b128 s[4:7], s[0:1], 0x18
	s_load_b64 s[12:13], s[0:1], 0x28
	s_waitcnt lgkmcnt(0)
	s_cmp_eq_u64 s[4:5], 0
	s_cbranch_scc1 .LBB218_11
; %bb.10:
	s_ashr_i32 s9, s8, 31
	s_delay_alu instid0(SALU_CYCLE_1) | instskip(NEXT) | instid1(SALU_CYCLE_1)
	s_lshl_b64 s[8:9], s[8:9], 2
	s_add_u32 s4, s4, s8
	s_addc_u32 s5, s5, s9
	s_load_b32 s2, s[4:5], 0x0
	s_waitcnt lgkmcnt(0)
	s_sub_i32 s8, s2, s10
.LBB218_11:
	s_load_b32 s4, s[0:1], 0x4
	v_mul_u32_u24_e32 v1, 0x97c, v0
	v_mov_b32_e32 v6, 0
	s_delay_alu instid0(VALU_DEP_2) | instskip(NEXT) | instid1(VALU_DEP_1)
	v_lshrrev_b32_e32 v1, 16, v1
	v_mul_lo_u16 v2, v1, 27
	s_delay_alu instid0(VALU_DEP_1)
	v_sub_nc_u16 v7, v0, v2
	s_waitcnt lgkmcnt(0)
	s_cmp_eq_u32 s4, 1
	s_cselect_b32 s2, -1, 0
	s_cmp_lg_u32 s4, 1
	s_cselect_b32 s16, -1, 0
	s_ashr_i32 s9, s8, 31
	s_delay_alu instid0(SALU_CYCLE_1) | instskip(NEXT) | instid1(SALU_CYCLE_1)
	s_lshl_b64 s[4:5], s[8:9], 3
	s_add_u32 s6, s6, s4
	s_addc_u32 s7, s7, s5
	s_add_u32 s9, s6, 8
	s_addc_u32 s14, s7, 0
	;; [unrolled: 2-line block ×3, first 2 shown]
	s_cmp_eq_u64 s[12:13], 0
	s_cselect_b32 s5, s14, s5
	s_cselect_b32 s4, s9, s4
	s_load_b64 s[14:15], s[6:7], 0x0
	s_load_b64 s[6:7], s[4:5], 0x0
	;; [unrolled: 1-line block ×3, first 2 shown]
	s_waitcnt lgkmcnt(0)
	v_cmp_ge_i64_e64 s9, s[14:15], s[6:7]
	s_delay_alu instid0(VALU_DEP_1)
	s_and_b32 vcc_lo, exec_lo, s9
	s_cbranch_vccnz .LBB218_16
; %bb.12:
	v_dual_mov_b32 v6, 0 :: v_dual_and_b32 v1, 0xffff, v1
	v_cmp_lt_u32_e32 vcc_lo, 0x2d8, v0
	s_clause 0x1
	s_load_b128 s[20:23], s[0:1], 0x30
	s_load_b64 s[0:1], s[0:1], 0x40
	v_subrev_nc_u32_e32 v3, 27, v1
	s_sub_u32 s6, s6, s10
	v_cndmask_b32_e64 v8, 0, 1, vcc_lo
	v_cmp_gt_u32_e32 vcc_lo, 0x2d9, v0
	v_and_b32_e32 v2, 0xffff, v7
	s_subb_u32 s7, s7, 0
	s_sub_u32 s12, s14, s10
	s_subb_u32 s13, s15, 0
	v_cndmask_b32_e32 v1, v3, v1, vcc_lo
	s_mul_i32 s9, s13, 0x2d9
	s_delay_alu instid0(VALU_DEP_1) | instskip(SKIP_1) | instid1(VALU_DEP_1)
	v_cndmask_b32_e64 v1, v2, v1, s2
	v_add_co_u32 v2, s2, s14, v8
	v_add_co_ci_u32_e64 v3, null, s15, 0, s2
	s_mul_hi_u32 s2, s12, 0x2d9
	s_delay_alu instid0(VALU_DEP_2) | instskip(NEXT) | instid1(VALU_DEP_2)
	v_sub_co_u32 v2, vcc_lo, v2, s10
	v_subrev_co_ci_u32_e32 v3, vcc_lo, 0, v3, vcc_lo
	s_mul_i32 s14, s12, 0x2d9
	s_add_i32 s2, s2, s9
	s_waitcnt lgkmcnt(0)
	s_add_u32 s9, s22, s14
	v_lshlrev_b64 v[4:5], 2, v[2:3]
	s_addc_u32 s2, s23, s2
	v_add_co_u32 v2, s9, s9, v0
	s_delay_alu instid0(VALU_DEP_1) | instskip(NEXT) | instid1(VALU_DEP_3)
	v_add_co_ci_u32_e64 v3, null, s2, 0, s9
	v_add_co_u32 v4, vcc_lo, s20, v4
	s_delay_alu instid0(VALU_DEP_4)
	v_add_co_ci_u32_e32 v5, vcc_lo, s21, v5, vcc_lo
	s_set_inst_prefetch_distance 0x1
	s_branch .LBB218_14
	.p2align	6
.LBB218_13:                             ;   in Loop: Header=BB218_14 Depth=1
	s_or_b32 exec_lo, exec_lo, s2
	s_add_u32 s12, s12, 1
	s_addc_u32 s13, s13, 0
	v_add_co_u32 v4, vcc_lo, v4, 4
	v_cmp_lt_i64_e64 s2, s[12:13], s[6:7]
	v_add_co_ci_u32_e32 v5, vcc_lo, 0, v5, vcc_lo
	s_delay_alu instid0(VALU_DEP_2)
	s_and_b32 vcc_lo, exec_lo, s2
	s_cbranch_vccz .LBB218_16
.LBB218_14:                             ; =>This Inner Loop Header: Depth=1
	v_add_co_u32 v9, s2, v8, s12
	s_delay_alu instid0(VALU_DEP_1) | instskip(SKIP_1) | instid1(VALU_DEP_1)
	v_add_co_ci_u32_e64 v10, null, 0, s13, s2
	s_mov_b32 s2, exec_lo
	v_cmpx_gt_i64_e64 s[6:7], v[9:10]
	s_cbranch_execz .LBB218_13
; %bb.15:                               ;   in Loop: Header=BB218_14 Depth=1
	global_load_b32 v9, v[4:5], off
	s_waitcnt vmcnt(0)
	v_subrev_nc_u32_e32 v11, s10, v9
	s_delay_alu instid0(VALU_DEP_1) | instskip(NEXT) | instid1(VALU_DEP_1)
	v_mad_u64_u32 v[9:10], null, v11, 27, v[1:2]
	v_ashrrev_i32_e32 v10, 31, v9
	v_add_co_u32 v9, vcc_lo, s0, v9
	s_delay_alu instid0(VALU_DEP_2)
	v_add_co_ci_u32_e32 v10, vcc_lo, s1, v10, vcc_lo
	global_load_i8 v11, v[2:3], off
	global_load_i8 v9, v[9:10], off
	v_add_co_u32 v2, vcc_lo, 0x2d9, v2
	v_add_co_ci_u32_e32 v3, vcc_lo, 0, v3, vcc_lo
	s_waitcnt vmcnt(0)
	v_mad_i32_i24 v6, v9, v11, v6
	s_branch .LBB218_13
.LBB218_16:
	s_set_inst_prefetch_distance 0x2
	v_lshlrev_b32_e32 v1, 2, v0
	s_and_b32 vcc_lo, exec_lo, s16
	ds_store_b32 v1, v6
	s_waitcnt lgkmcnt(0)
	s_barrier
	buffer_gl0_inv
	s_cbranch_vccz .LBB218_28
; %bb.17:
	s_mov_b32 s0, exec_lo
	v_cmpx_gt_u16_e32 11, v7
	s_cbranch_execz .LBB218_19
; %bb.18:
	ds_load_2addr_b32 v[2:3], v1 offset1:16
	s_waitcnt lgkmcnt(0)
	v_add_nc_u32_e32 v2, v2, v3
	ds_store_b32 v1, v2
.LBB218_19:
	s_or_b32 exec_lo, exec_lo, s0
	s_delay_alu instid0(SALU_CYCLE_1)
	s_mov_b32 s0, exec_lo
	s_waitcnt lgkmcnt(0)
	s_barrier
	buffer_gl0_inv
	v_cmpx_gt_u16_e32 8, v7
	s_cbranch_execz .LBB218_21
; %bb.20:
	ds_load_2addr_b32 v[2:3], v1 offset1:8
	s_waitcnt lgkmcnt(0)
	v_add_nc_u32_e32 v2, v2, v3
	ds_store_b32 v1, v2
.LBB218_21:
	s_or_b32 exec_lo, exec_lo, s0
	s_delay_alu instid0(SALU_CYCLE_1)
	s_mov_b32 s0, exec_lo
	s_waitcnt lgkmcnt(0)
	s_barrier
	buffer_gl0_inv
	;; [unrolled: 14-line block ×3, first 2 shown]
	v_cmpx_gt_u16_e32 2, v7
	s_cbranch_execz .LBB218_25
; %bb.24:
	ds_load_2addr_b32 v[2:3], v1 offset1:2
	s_waitcnt lgkmcnt(0)
	v_add_nc_u32_e32 v2, v2, v3
	ds_store_b32 v1, v2
.LBB218_25:
	s_or_b32 exec_lo, exec_lo, s0
	s_mov_b32 s1, 0
	s_mov_b32 s0, 0
	s_mov_b32 s2, exec_lo
	s_waitcnt lgkmcnt(0)
	s_barrier
	buffer_gl0_inv
                                        ; implicit-def: $vgpr2
                                        ; implicit-def: $vgpr3
	v_cmpx_gt_u32_e32 27, v0
	s_xor_b32 s2, exec_lo, s2
; %bb.26:
	v_mul_u32_u24_e32 v3, 27, v0
	v_mad_u32_u24 v2, v0, 27, 1
	s_mov_b32 s0, exec_lo
	s_delay_alu instid0(VALU_DEP_2)
	v_lshlrev_b32_e32 v3, 2, v3
; %bb.27:
	s_or_b32 exec_lo, exec_lo, s2
	s_delay_alu instid0(SALU_CYCLE_1)
	s_and_b32 vcc_lo, exec_lo, s1
	s_cbranch_vccnz .LBB218_29
	s_branch .LBB218_40
.LBB218_28:
	s_mov_b32 s0, 0
                                        ; implicit-def: $vgpr2
                                        ; implicit-def: $vgpr3
	s_cbranch_execz .LBB218_40
.LBB218_29:
	s_mov_b32 s1, exec_lo
	v_cmpx_gt_u32_e32 0x129, v0
	s_cbranch_execz .LBB218_31
; %bb.30:
	ds_load_b32 v2, v1 offset:1728
	ds_load_b32 v3, v1
	s_waitcnt lgkmcnt(0)
	v_add_nc_u32_e32 v2, v3, v2
	ds_store_b32 v1, v2
.LBB218_31:
	s_or_b32 exec_lo, exec_lo, s1
	s_delay_alu instid0(SALU_CYCLE_1)
	s_mov_b32 s1, exec_lo
	s_waitcnt lgkmcnt(0)
	s_barrier
	buffer_gl0_inv
	v_cmpx_gt_u32_e32 0xd8, v0
	s_cbranch_execz .LBB218_33
; %bb.32:
	ds_load_2addr_b32 v[2:3], v1 offset1:216
	s_waitcnt lgkmcnt(0)
	v_add_nc_u32_e32 v2, v2, v3
	ds_store_b32 v1, v2
.LBB218_33:
	s_or_b32 exec_lo, exec_lo, s1
	s_delay_alu instid0(SALU_CYCLE_1)
	s_mov_b32 s1, exec_lo
	s_waitcnt lgkmcnt(0)
	s_barrier
	buffer_gl0_inv
	v_cmpx_gt_u32_e32 0x6c, v0
	s_cbranch_execz .LBB218_35
; %bb.34:
	ds_load_2addr_b32 v[2:3], v1 offset1:108
	s_waitcnt lgkmcnt(0)
	v_add_nc_u32_e32 v2, v2, v3
	ds_store_b32 v1, v2
.LBB218_35:
	;; [unrolled: 14-line block ×3, first 2 shown]
	s_or_b32 exec_lo, exec_lo, s1
	s_delay_alu instid0(SALU_CYCLE_1)
	s_mov_b32 s1, exec_lo
	s_waitcnt lgkmcnt(0)
	buffer_gl0_inv
                                        ; implicit-def: $vgpr2
	v_cmpx_gt_u32_e32 27, v0
; %bb.38:
	v_add_nc_u32_e32 v2, 27, v0
	s_or_b32 s0, s0, exec_lo
                                        ; implicit-def: $vgpr6
; %bb.39:
	s_or_b32 exec_lo, exec_lo, s1
	v_mov_b32_e32 v3, v1
.LBB218_40:
	s_and_saveexec_b32 s1, s0
	s_cbranch_execz .LBB218_42
; %bb.41:
	v_lshlrev_b32_e32 v1, 2, v2
	ds_load_b32 v2, v3
	ds_load_b32 v1, v1
	s_waitcnt lgkmcnt(0)
	v_add_nc_u32_e32 v6, v1, v2
.LBB218_42:
	s_or_b32 exec_lo, exec_lo, s1
	s_delay_alu instid0(SALU_CYCLE_1)
	s_mov_b32 s0, exec_lo
	v_cmpx_gt_u32_e32 27, v0
	s_cbranch_execz .LBB218_46
; %bb.43:
	v_mul_lo_u32 v1, v6, s11
	s_cmp_eq_u32 s3, 0
	s_mov_b32 s0, 0
	s_cbranch_scc1 .LBB218_47
; %bb.44:
	s_delay_alu instid0(VALU_DEP_1) | instskip(SKIP_1) | instid1(VALU_DEP_1)
	v_mad_u64_u32 v[2:3], null, s8, 27, v[0:1]
	v_mov_b32_e32 v3, 0
	v_lshlrev_b64 v[2:3], 2, v[2:3]
	s_delay_alu instid0(VALU_DEP_1) | instskip(NEXT) | instid1(VALU_DEP_2)
	v_add_co_u32 v2, vcc_lo, s4, v2
	v_add_co_ci_u32_e32 v3, vcc_lo, s5, v3, vcc_lo
	global_load_b32 v6, v[2:3], off
	s_waitcnt vmcnt(0)
	v_mad_u64_u32 v[4:5], null, v6, s3, v[1:2]
	global_store_b32 v[2:3], v4, off
	s_and_not1_b32 vcc_lo, exec_lo, s0
	s_cbranch_vccnz .LBB218_46
.LBB218_45:
	s_delay_alu instid0(VALU_DEP_1) | instskip(SKIP_1) | instid1(VALU_DEP_1)
	v_mad_u64_u32 v[2:3], null, s8, 27, v[0:1]
	v_mov_b32_e32 v3, 0
	v_lshlrev_b64 v[2:3], 2, v[2:3]
	s_delay_alu instid0(VALU_DEP_1) | instskip(NEXT) | instid1(VALU_DEP_2)
	v_add_co_u32 v2, vcc_lo, s4, v2
	v_add_co_ci_u32_e32 v3, vcc_lo, s5, v3, vcc_lo
	global_store_b32 v[2:3], v1, off
.LBB218_46:
	s_nop 0
	s_sendmsg sendmsg(MSG_DEALLOC_VGPRS)
	s_endpgm
.LBB218_47:
	s_branch .LBB218_45
	.section	.rodata,"a",@progbits
	.p2align	6, 0x0
	.amdhsa_kernel _ZN9rocsparseL20bsrxmvn_17_32_kernelILj27EiliaaiEEvT2_20rocsparse_direction_NS_24const_host_device_scalarIT0_EES1_PKS1_PKT1_SA_S7_PKT3_PKT4_S5_PT5_21rocsparse_index_base_b
		.amdhsa_group_segment_fixed_size 2916
		.amdhsa_private_segment_fixed_size 0
		.amdhsa_kernarg_size 96
		.amdhsa_user_sgpr_count 15
		.amdhsa_user_sgpr_dispatch_ptr 0
		.amdhsa_user_sgpr_queue_ptr 0
		.amdhsa_user_sgpr_kernarg_segment_ptr 1
		.amdhsa_user_sgpr_dispatch_id 0
		.amdhsa_user_sgpr_private_segment_size 0
		.amdhsa_wavefront_size32 1
		.amdhsa_uses_dynamic_stack 0
		.amdhsa_enable_private_segment 0
		.amdhsa_system_sgpr_workgroup_id_x 1
		.amdhsa_system_sgpr_workgroup_id_y 0
		.amdhsa_system_sgpr_workgroup_id_z 0
		.amdhsa_system_sgpr_workgroup_info 0
		.amdhsa_system_vgpr_workitem_id 0
		.amdhsa_next_free_vgpr 12
		.amdhsa_next_free_sgpr 24
		.amdhsa_reserve_vcc 1
		.amdhsa_float_round_mode_32 0
		.amdhsa_float_round_mode_16_64 0
		.amdhsa_float_denorm_mode_32 3
		.amdhsa_float_denorm_mode_16_64 3
		.amdhsa_dx10_clamp 1
		.amdhsa_ieee_mode 1
		.amdhsa_fp16_overflow 0
		.amdhsa_workgroup_processor_mode 1
		.amdhsa_memory_ordered 1
		.amdhsa_forward_progress 0
		.amdhsa_shared_vgpr_count 0
		.amdhsa_exception_fp_ieee_invalid_op 0
		.amdhsa_exception_fp_denorm_src 0
		.amdhsa_exception_fp_ieee_div_zero 0
		.amdhsa_exception_fp_ieee_overflow 0
		.amdhsa_exception_fp_ieee_underflow 0
		.amdhsa_exception_fp_ieee_inexact 0
		.amdhsa_exception_int_div_zero 0
	.end_amdhsa_kernel
	.section	.text._ZN9rocsparseL20bsrxmvn_17_32_kernelILj27EiliaaiEEvT2_20rocsparse_direction_NS_24const_host_device_scalarIT0_EES1_PKS1_PKT1_SA_S7_PKT3_PKT4_S5_PT5_21rocsparse_index_base_b,"axG",@progbits,_ZN9rocsparseL20bsrxmvn_17_32_kernelILj27EiliaaiEEvT2_20rocsparse_direction_NS_24const_host_device_scalarIT0_EES1_PKS1_PKT1_SA_S7_PKT3_PKT4_S5_PT5_21rocsparse_index_base_b,comdat
.Lfunc_end218:
	.size	_ZN9rocsparseL20bsrxmvn_17_32_kernelILj27EiliaaiEEvT2_20rocsparse_direction_NS_24const_host_device_scalarIT0_EES1_PKS1_PKT1_SA_S7_PKT3_PKT4_S5_PT5_21rocsparse_index_base_b, .Lfunc_end218-_ZN9rocsparseL20bsrxmvn_17_32_kernelILj27EiliaaiEEvT2_20rocsparse_direction_NS_24const_host_device_scalarIT0_EES1_PKS1_PKT1_SA_S7_PKT3_PKT4_S5_PT5_21rocsparse_index_base_b
                                        ; -- End function
	.section	.AMDGPU.csdata,"",@progbits
; Kernel info:
; codeLenInByte = 1656
; NumSgprs: 26
; NumVgprs: 12
; ScratchSize: 0
; MemoryBound: 0
; FloatMode: 240
; IeeeMode: 1
; LDSByteSize: 2916 bytes/workgroup (compile time only)
; SGPRBlocks: 3
; VGPRBlocks: 1
; NumSGPRsForWavesPerEU: 26
; NumVGPRsForWavesPerEU: 12
; Occupancy: 12
; WaveLimiterHint : 1
; COMPUTE_PGM_RSRC2:SCRATCH_EN: 0
; COMPUTE_PGM_RSRC2:USER_SGPR: 15
; COMPUTE_PGM_RSRC2:TRAP_HANDLER: 0
; COMPUTE_PGM_RSRC2:TGID_X_EN: 1
; COMPUTE_PGM_RSRC2:TGID_Y_EN: 0
; COMPUTE_PGM_RSRC2:TGID_Z_EN: 0
; COMPUTE_PGM_RSRC2:TIDIG_COMP_CNT: 0
	.section	.text._ZN9rocsparseL20bsrxmvn_17_32_kernelILj28EiliaaiEEvT2_20rocsparse_direction_NS_24const_host_device_scalarIT0_EES1_PKS1_PKT1_SA_S7_PKT3_PKT4_S5_PT5_21rocsparse_index_base_b,"axG",@progbits,_ZN9rocsparseL20bsrxmvn_17_32_kernelILj28EiliaaiEEvT2_20rocsparse_direction_NS_24const_host_device_scalarIT0_EES1_PKS1_PKT1_SA_S7_PKT3_PKT4_S5_PT5_21rocsparse_index_base_b,comdat
	.globl	_ZN9rocsparseL20bsrxmvn_17_32_kernelILj28EiliaaiEEvT2_20rocsparse_direction_NS_24const_host_device_scalarIT0_EES1_PKS1_PKT1_SA_S7_PKT3_PKT4_S5_PT5_21rocsparse_index_base_b ; -- Begin function _ZN9rocsparseL20bsrxmvn_17_32_kernelILj28EiliaaiEEvT2_20rocsparse_direction_NS_24const_host_device_scalarIT0_EES1_PKS1_PKT1_SA_S7_PKT3_PKT4_S5_PT5_21rocsparse_index_base_b
	.p2align	8
	.type	_ZN9rocsparseL20bsrxmvn_17_32_kernelILj28EiliaaiEEvT2_20rocsparse_direction_NS_24const_host_device_scalarIT0_EES1_PKS1_PKT1_SA_S7_PKT3_PKT4_S5_PT5_21rocsparse_index_base_b,@function
_ZN9rocsparseL20bsrxmvn_17_32_kernelILj28EiliaaiEEvT2_20rocsparse_direction_NS_24const_host_device_scalarIT0_EES1_PKS1_PKT1_SA_S7_PKT3_PKT4_S5_PT5_21rocsparse_index_base_b: ; @_ZN9rocsparseL20bsrxmvn_17_32_kernelILj28EiliaaiEEvT2_20rocsparse_direction_NS_24const_host_device_scalarIT0_EES1_PKS1_PKT1_SA_S7_PKT3_PKT4_S5_PT5_21rocsparse_index_base_b
; %bb.0:
	s_clause 0x1
	s_load_b64 s[10:11], s[0:1], 0x58
	s_load_b64 s[4:5], s[0:1], 0x8
	s_mov_b32 s8, s15
	s_mov_b32 s7, -1
	s_waitcnt lgkmcnt(0)
	s_bitcmp1_b32 s11, 0
                                        ; implicit-def: $sgpr11
	s_cselect_b32 s2, -1, 0
	s_delay_alu instid0(SALU_CYCLE_1) | instskip(NEXT) | instid1(SALU_CYCLE_1)
	s_xor_b32 s6, s2, -1
	s_and_b32 vcc_lo, exec_lo, s6
	s_cbranch_vccnz .LBB219_4
; %bb.1:
	s_load_b64 s[2:3], s[0:1], 0x48
	s_and_not1_b32 vcc_lo, exec_lo, s7
	s_cbranch_vccz .LBB219_5
.LBB219_2:
	s_and_b32 vcc_lo, exec_lo, s6
	s_cbranch_vccz .LBB219_6
.LBB219_3:
	s_waitcnt lgkmcnt(0)
	s_load_b32 s3, s[2:3], 0x0
	s_cbranch_execz .LBB219_7
	s_branch .LBB219_8
.LBB219_4:
	s_load_b32 s11, s[4:5], 0x0
	s_load_b64 s[2:3], s[0:1], 0x48
	s_cbranch_execnz .LBB219_2
.LBB219_5:
	s_waitcnt lgkmcnt(0)
	s_mov_b32 s11, s4
	s_and_b32 vcc_lo, exec_lo, s6
	s_cbranch_vccnz .LBB219_3
.LBB219_6:
                                        ; implicit-def: $sgpr3
.LBB219_7:
	s_waitcnt lgkmcnt(0)
	s_mov_b32 s3, s2
.LBB219_8:
	s_waitcnt lgkmcnt(0)
	s_cmp_lg_u32 s11, 0
	s_cselect_b32 s2, -1, 0
	s_cmp_lg_u32 s3, 1
	s_cselect_b32 s4, -1, 0
	s_delay_alu instid0(SALU_CYCLE_1) | instskip(NEXT) | instid1(SALU_CYCLE_1)
	s_or_b32 s2, s2, s4
	s_and_not1_b32 vcc_lo, exec_lo, s2
	s_cbranch_vccnz .LBB219_46
; %bb.9:
	s_clause 0x1
	s_load_b128 s[4:7], s[0:1], 0x18
	s_load_b64 s[12:13], s[0:1], 0x28
	s_waitcnt lgkmcnt(0)
	s_cmp_eq_u64 s[4:5], 0
	s_cbranch_scc1 .LBB219_11
; %bb.10:
	s_ashr_i32 s9, s8, 31
	s_delay_alu instid0(SALU_CYCLE_1) | instskip(NEXT) | instid1(SALU_CYCLE_1)
	s_lshl_b64 s[8:9], s[8:9], 2
	s_add_u32 s4, s4, s8
	s_addc_u32 s5, s5, s9
	s_load_b32 s2, s[4:5], 0x0
	s_waitcnt lgkmcnt(0)
	s_sub_i32 s8, s2, s10
.LBB219_11:
	s_load_b32 s4, s[0:1], 0x4
	v_mul_u32_u24_e32 v1, 0x925, v0
	v_mov_b32_e32 v6, 0
	s_delay_alu instid0(VALU_DEP_2) | instskip(NEXT) | instid1(VALU_DEP_1)
	v_lshrrev_b32_e32 v1, 16, v1
	v_mul_lo_u16 v2, v1, 28
	s_delay_alu instid0(VALU_DEP_1)
	v_sub_nc_u16 v7, v0, v2
	s_waitcnt lgkmcnt(0)
	s_cmp_eq_u32 s4, 1
	s_cselect_b32 s2, -1, 0
	s_cmp_lg_u32 s4, 1
	s_cselect_b32 s16, -1, 0
	s_ashr_i32 s9, s8, 31
	s_delay_alu instid0(SALU_CYCLE_1) | instskip(NEXT) | instid1(SALU_CYCLE_1)
	s_lshl_b64 s[4:5], s[8:9], 3
	s_add_u32 s6, s6, s4
	s_addc_u32 s7, s7, s5
	s_add_u32 s9, s6, 8
	s_addc_u32 s14, s7, 0
	;; [unrolled: 2-line block ×3, first 2 shown]
	s_cmp_eq_u64 s[12:13], 0
	s_cselect_b32 s5, s14, s5
	s_cselect_b32 s4, s9, s4
	s_load_b64 s[14:15], s[6:7], 0x0
	s_load_b64 s[6:7], s[4:5], 0x0
	;; [unrolled: 1-line block ×3, first 2 shown]
	s_waitcnt lgkmcnt(0)
	v_cmp_ge_i64_e64 s9, s[14:15], s[6:7]
	s_delay_alu instid0(VALU_DEP_1)
	s_and_b32 vcc_lo, exec_lo, s9
	s_cbranch_vccnz .LBB219_16
; %bb.12:
	v_dual_mov_b32 v6, 0 :: v_dual_and_b32 v1, 0xffff, v1
	v_cmp_lt_u32_e32 vcc_lo, 0x30f, v0
	s_clause 0x1
	s_load_b128 s[20:23], s[0:1], 0x30
	s_load_b64 s[0:1], s[0:1], 0x40
	v_subrev_nc_u32_e32 v3, 28, v1
	s_sub_u32 s6, s6, s10
	v_cndmask_b32_e64 v8, 0, 1, vcc_lo
	v_cmp_gt_u32_e32 vcc_lo, 0x310, v0
	v_and_b32_e32 v2, 0xffff, v7
	s_subb_u32 s7, s7, 0
	s_sub_u32 s12, s14, s10
	s_subb_u32 s13, s15, 0
	v_cndmask_b32_e32 v1, v3, v1, vcc_lo
	s_mul_i32 s9, s13, 0x310
	s_delay_alu instid0(VALU_DEP_1) | instskip(SKIP_1) | instid1(VALU_DEP_1)
	v_cndmask_b32_e64 v1, v2, v1, s2
	v_add_co_u32 v2, s2, s14, v8
	v_add_co_ci_u32_e64 v3, null, s15, 0, s2
	s_mul_hi_u32 s2, s12, 0x310
	s_delay_alu instid0(VALU_DEP_2) | instskip(NEXT) | instid1(VALU_DEP_2)
	v_sub_co_u32 v2, vcc_lo, v2, s10
	v_subrev_co_ci_u32_e32 v3, vcc_lo, 0, v3, vcc_lo
	s_mul_i32 s14, s12, 0x310
	s_add_i32 s2, s2, s9
	s_waitcnt lgkmcnt(0)
	s_add_u32 s9, s22, s14
	v_lshlrev_b64 v[4:5], 2, v[2:3]
	s_addc_u32 s2, s23, s2
	v_add_co_u32 v2, s9, s9, v0
	s_delay_alu instid0(VALU_DEP_1) | instskip(NEXT) | instid1(VALU_DEP_3)
	v_add_co_ci_u32_e64 v3, null, s2, 0, s9
	v_add_co_u32 v4, vcc_lo, s20, v4
	s_delay_alu instid0(VALU_DEP_4)
	v_add_co_ci_u32_e32 v5, vcc_lo, s21, v5, vcc_lo
	s_set_inst_prefetch_distance 0x1
	s_branch .LBB219_14
	.p2align	6
.LBB219_13:                             ;   in Loop: Header=BB219_14 Depth=1
	s_or_b32 exec_lo, exec_lo, s2
	s_add_u32 s12, s12, 1
	s_addc_u32 s13, s13, 0
	v_add_co_u32 v4, vcc_lo, v4, 4
	v_cmp_lt_i64_e64 s2, s[12:13], s[6:7]
	v_add_co_ci_u32_e32 v5, vcc_lo, 0, v5, vcc_lo
	s_delay_alu instid0(VALU_DEP_2)
	s_and_b32 vcc_lo, exec_lo, s2
	s_cbranch_vccz .LBB219_16
.LBB219_14:                             ; =>This Inner Loop Header: Depth=1
	v_add_co_u32 v9, s2, v8, s12
	s_delay_alu instid0(VALU_DEP_1) | instskip(SKIP_1) | instid1(VALU_DEP_1)
	v_add_co_ci_u32_e64 v10, null, 0, s13, s2
	s_mov_b32 s2, exec_lo
	v_cmpx_gt_i64_e64 s[6:7], v[9:10]
	s_cbranch_execz .LBB219_13
; %bb.15:                               ;   in Loop: Header=BB219_14 Depth=1
	global_load_b32 v9, v[4:5], off
	s_waitcnt vmcnt(0)
	v_subrev_nc_u32_e32 v11, s10, v9
	s_delay_alu instid0(VALU_DEP_1) | instskip(NEXT) | instid1(VALU_DEP_1)
	v_mad_u64_u32 v[9:10], null, v11, 28, v[1:2]
	v_ashrrev_i32_e32 v10, 31, v9
	v_add_co_u32 v9, vcc_lo, s0, v9
	s_delay_alu instid0(VALU_DEP_2)
	v_add_co_ci_u32_e32 v10, vcc_lo, s1, v10, vcc_lo
	global_load_i8 v11, v[2:3], off
	global_load_i8 v9, v[9:10], off
	v_add_co_u32 v2, vcc_lo, 0x310, v2
	v_add_co_ci_u32_e32 v3, vcc_lo, 0, v3, vcc_lo
	s_waitcnt vmcnt(0)
	v_mad_i32_i24 v6, v9, v11, v6
	s_branch .LBB219_13
.LBB219_16:
	s_set_inst_prefetch_distance 0x2
	v_lshlrev_b32_e32 v1, 2, v0
	s_and_b32 vcc_lo, exec_lo, s16
	ds_store_b32 v1, v6
	s_waitcnt lgkmcnt(0)
	s_barrier
	buffer_gl0_inv
	s_cbranch_vccz .LBB219_28
; %bb.17:
	s_mov_b32 s0, exec_lo
	v_cmpx_gt_u16_e32 12, v7
	s_cbranch_execz .LBB219_19
; %bb.18:
	ds_load_2addr_b32 v[2:3], v1 offset1:16
	s_waitcnt lgkmcnt(0)
	v_add_nc_u32_e32 v2, v2, v3
	ds_store_b32 v1, v2
.LBB219_19:
	s_or_b32 exec_lo, exec_lo, s0
	s_delay_alu instid0(SALU_CYCLE_1)
	s_mov_b32 s0, exec_lo
	s_waitcnt lgkmcnt(0)
	s_barrier
	buffer_gl0_inv
	v_cmpx_gt_u16_e32 8, v7
	s_cbranch_execz .LBB219_21
; %bb.20:
	ds_load_2addr_b32 v[2:3], v1 offset1:8
	s_waitcnt lgkmcnt(0)
	v_add_nc_u32_e32 v2, v2, v3
	ds_store_b32 v1, v2
.LBB219_21:
	s_or_b32 exec_lo, exec_lo, s0
	s_delay_alu instid0(SALU_CYCLE_1)
	s_mov_b32 s0, exec_lo
	s_waitcnt lgkmcnt(0)
	s_barrier
	buffer_gl0_inv
	;; [unrolled: 14-line block ×3, first 2 shown]
	v_cmpx_gt_u16_e32 2, v7
	s_cbranch_execz .LBB219_25
; %bb.24:
	ds_load_2addr_b32 v[2:3], v1 offset1:2
	s_waitcnt lgkmcnt(0)
	v_add_nc_u32_e32 v2, v2, v3
	ds_store_b32 v1, v2
.LBB219_25:
	s_or_b32 exec_lo, exec_lo, s0
	s_mov_b32 s1, 0
	s_mov_b32 s0, 0
	s_mov_b32 s2, exec_lo
	s_waitcnt lgkmcnt(0)
	s_barrier
	buffer_gl0_inv
                                        ; implicit-def: $vgpr2
                                        ; implicit-def: $vgpr3
	v_cmpx_gt_u32_e32 28, v0
	s_xor_b32 s2, exec_lo, s2
; %bb.26:
	v_mul_u32_u24_e32 v3, 28, v0
	s_mov_b32 s0, exec_lo
	s_delay_alu instid0(VALU_DEP_1)
	v_or_b32_e32 v2, 1, v3
	v_lshlrev_b32_e32 v3, 2, v3
; %bb.27:
	s_or_b32 exec_lo, exec_lo, s2
	s_delay_alu instid0(SALU_CYCLE_1)
	s_and_b32 vcc_lo, exec_lo, s1
	s_cbranch_vccnz .LBB219_29
	s_branch .LBB219_40
.LBB219_28:
	s_mov_b32 s0, 0
                                        ; implicit-def: $vgpr2
                                        ; implicit-def: $vgpr3
	s_cbranch_execz .LBB219_40
.LBB219_29:
	s_mov_b32 s1, exec_lo
	v_cmpx_gt_u32_e32 0x150, v0
	s_cbranch_execz .LBB219_31
; %bb.30:
	ds_load_2addr_stride64_b32 v[2:3], v1 offset1:7
	s_waitcnt lgkmcnt(0)
	v_add_nc_u32_e32 v2, v2, v3
	ds_store_b32 v1, v2
.LBB219_31:
	s_or_b32 exec_lo, exec_lo, s1
	s_delay_alu instid0(SALU_CYCLE_1)
	s_mov_b32 s1, exec_lo
	s_waitcnt lgkmcnt(0)
	s_barrier
	buffer_gl0_inv
	v_cmpx_gt_u32_e32 0xe0, v0
	s_cbranch_execz .LBB219_33
; %bb.32:
	ds_load_2addr_b32 v[2:3], v1 offset1:224
	s_waitcnt lgkmcnt(0)
	v_add_nc_u32_e32 v2, v2, v3
	ds_store_b32 v1, v2
.LBB219_33:
	s_or_b32 exec_lo, exec_lo, s1
	s_delay_alu instid0(SALU_CYCLE_1)
	s_mov_b32 s1, exec_lo
	s_waitcnt lgkmcnt(0)
	s_barrier
	buffer_gl0_inv
	v_cmpx_gt_u32_e32 0x70, v0
	s_cbranch_execz .LBB219_35
; %bb.34:
	ds_load_2addr_b32 v[2:3], v1 offset1:112
	s_waitcnt lgkmcnt(0)
	v_add_nc_u32_e32 v2, v2, v3
	ds_store_b32 v1, v2
.LBB219_35:
	;; [unrolled: 14-line block ×3, first 2 shown]
	s_or_b32 exec_lo, exec_lo, s1
	s_delay_alu instid0(SALU_CYCLE_1)
	s_mov_b32 s1, exec_lo
	s_waitcnt lgkmcnt(0)
	buffer_gl0_inv
                                        ; implicit-def: $vgpr2
	v_cmpx_gt_u32_e32 28, v0
; %bb.38:
	v_add_nc_u32_e32 v2, 28, v0
	s_or_b32 s0, s0, exec_lo
                                        ; implicit-def: $vgpr6
; %bb.39:
	s_or_b32 exec_lo, exec_lo, s1
	v_mov_b32_e32 v3, v1
.LBB219_40:
	s_and_saveexec_b32 s1, s0
	s_cbranch_execz .LBB219_42
; %bb.41:
	v_lshlrev_b32_e32 v1, 2, v2
	ds_load_b32 v2, v3
	ds_load_b32 v1, v1
	s_waitcnt lgkmcnt(0)
	v_add_nc_u32_e32 v6, v1, v2
.LBB219_42:
	s_or_b32 exec_lo, exec_lo, s1
	s_delay_alu instid0(SALU_CYCLE_1)
	s_mov_b32 s0, exec_lo
	v_cmpx_gt_u32_e32 28, v0
	s_cbranch_execz .LBB219_46
; %bb.43:
	v_mul_lo_u32 v1, v6, s11
	s_cmp_eq_u32 s3, 0
	s_mov_b32 s0, 0
	s_cbranch_scc1 .LBB219_47
; %bb.44:
	s_delay_alu instid0(VALU_DEP_1) | instskip(SKIP_1) | instid1(VALU_DEP_1)
	v_mad_u64_u32 v[2:3], null, s8, 28, v[0:1]
	v_mov_b32_e32 v3, 0
	v_lshlrev_b64 v[2:3], 2, v[2:3]
	s_delay_alu instid0(VALU_DEP_1) | instskip(NEXT) | instid1(VALU_DEP_2)
	v_add_co_u32 v2, vcc_lo, s4, v2
	v_add_co_ci_u32_e32 v3, vcc_lo, s5, v3, vcc_lo
	global_load_b32 v6, v[2:3], off
	s_waitcnt vmcnt(0)
	v_mad_u64_u32 v[4:5], null, v6, s3, v[1:2]
	global_store_b32 v[2:3], v4, off
	s_and_not1_b32 vcc_lo, exec_lo, s0
	s_cbranch_vccnz .LBB219_46
.LBB219_45:
	s_delay_alu instid0(VALU_DEP_1) | instskip(SKIP_1) | instid1(VALU_DEP_1)
	v_mad_u64_u32 v[2:3], null, s8, 28, v[0:1]
	v_mov_b32_e32 v3, 0
	v_lshlrev_b64 v[2:3], 2, v[2:3]
	s_delay_alu instid0(VALU_DEP_1) | instskip(NEXT) | instid1(VALU_DEP_2)
	v_add_co_u32 v2, vcc_lo, s4, v2
	v_add_co_ci_u32_e32 v3, vcc_lo, s5, v3, vcc_lo
	global_store_b32 v[2:3], v1, off
.LBB219_46:
	s_nop 0
	s_sendmsg sendmsg(MSG_DEALLOC_VGPRS)
	s_endpgm
.LBB219_47:
	s_branch .LBB219_45
	.section	.rodata,"a",@progbits
	.p2align	6, 0x0
	.amdhsa_kernel _ZN9rocsparseL20bsrxmvn_17_32_kernelILj28EiliaaiEEvT2_20rocsparse_direction_NS_24const_host_device_scalarIT0_EES1_PKS1_PKT1_SA_S7_PKT3_PKT4_S5_PT5_21rocsparse_index_base_b
		.amdhsa_group_segment_fixed_size 3136
		.amdhsa_private_segment_fixed_size 0
		.amdhsa_kernarg_size 96
		.amdhsa_user_sgpr_count 15
		.amdhsa_user_sgpr_dispatch_ptr 0
		.amdhsa_user_sgpr_queue_ptr 0
		.amdhsa_user_sgpr_kernarg_segment_ptr 1
		.amdhsa_user_sgpr_dispatch_id 0
		.amdhsa_user_sgpr_private_segment_size 0
		.amdhsa_wavefront_size32 1
		.amdhsa_uses_dynamic_stack 0
		.amdhsa_enable_private_segment 0
		.amdhsa_system_sgpr_workgroup_id_x 1
		.amdhsa_system_sgpr_workgroup_id_y 0
		.amdhsa_system_sgpr_workgroup_id_z 0
		.amdhsa_system_sgpr_workgroup_info 0
		.amdhsa_system_vgpr_workitem_id 0
		.amdhsa_next_free_vgpr 12
		.amdhsa_next_free_sgpr 24
		.amdhsa_reserve_vcc 1
		.amdhsa_float_round_mode_32 0
		.amdhsa_float_round_mode_16_64 0
		.amdhsa_float_denorm_mode_32 3
		.amdhsa_float_denorm_mode_16_64 3
		.amdhsa_dx10_clamp 1
		.amdhsa_ieee_mode 1
		.amdhsa_fp16_overflow 0
		.amdhsa_workgroup_processor_mode 1
		.amdhsa_memory_ordered 1
		.amdhsa_forward_progress 0
		.amdhsa_shared_vgpr_count 0
		.amdhsa_exception_fp_ieee_invalid_op 0
		.amdhsa_exception_fp_denorm_src 0
		.amdhsa_exception_fp_ieee_div_zero 0
		.amdhsa_exception_fp_ieee_overflow 0
		.amdhsa_exception_fp_ieee_underflow 0
		.amdhsa_exception_fp_ieee_inexact 0
		.amdhsa_exception_int_div_zero 0
	.end_amdhsa_kernel
	.section	.text._ZN9rocsparseL20bsrxmvn_17_32_kernelILj28EiliaaiEEvT2_20rocsparse_direction_NS_24const_host_device_scalarIT0_EES1_PKS1_PKT1_SA_S7_PKT3_PKT4_S5_PT5_21rocsparse_index_base_b,"axG",@progbits,_ZN9rocsparseL20bsrxmvn_17_32_kernelILj28EiliaaiEEvT2_20rocsparse_direction_NS_24const_host_device_scalarIT0_EES1_PKS1_PKT1_SA_S7_PKT3_PKT4_S5_PT5_21rocsparse_index_base_b,comdat
.Lfunc_end219:
	.size	_ZN9rocsparseL20bsrxmvn_17_32_kernelILj28EiliaaiEEvT2_20rocsparse_direction_NS_24const_host_device_scalarIT0_EES1_PKS1_PKT1_SA_S7_PKT3_PKT4_S5_PT5_21rocsparse_index_base_b, .Lfunc_end219-_ZN9rocsparseL20bsrxmvn_17_32_kernelILj28EiliaaiEEvT2_20rocsparse_direction_NS_24const_host_device_scalarIT0_EES1_PKS1_PKT1_SA_S7_PKT3_PKT4_S5_PT5_21rocsparse_index_base_b
                                        ; -- End function
	.section	.AMDGPU.csdata,"",@progbits
; Kernel info:
; codeLenInByte = 1644
; NumSgprs: 26
; NumVgprs: 12
; ScratchSize: 0
; MemoryBound: 0
; FloatMode: 240
; IeeeMode: 1
; LDSByteSize: 3136 bytes/workgroup (compile time only)
; SGPRBlocks: 3
; VGPRBlocks: 1
; NumSGPRsForWavesPerEU: 26
; NumVGPRsForWavesPerEU: 12
; Occupancy: 13
; WaveLimiterHint : 1
; COMPUTE_PGM_RSRC2:SCRATCH_EN: 0
; COMPUTE_PGM_RSRC2:USER_SGPR: 15
; COMPUTE_PGM_RSRC2:TRAP_HANDLER: 0
; COMPUTE_PGM_RSRC2:TGID_X_EN: 1
; COMPUTE_PGM_RSRC2:TGID_Y_EN: 0
; COMPUTE_PGM_RSRC2:TGID_Z_EN: 0
; COMPUTE_PGM_RSRC2:TIDIG_COMP_CNT: 0
	.section	.text._ZN9rocsparseL20bsrxmvn_17_32_kernelILj29EiliaaiEEvT2_20rocsparse_direction_NS_24const_host_device_scalarIT0_EES1_PKS1_PKT1_SA_S7_PKT3_PKT4_S5_PT5_21rocsparse_index_base_b,"axG",@progbits,_ZN9rocsparseL20bsrxmvn_17_32_kernelILj29EiliaaiEEvT2_20rocsparse_direction_NS_24const_host_device_scalarIT0_EES1_PKS1_PKT1_SA_S7_PKT3_PKT4_S5_PT5_21rocsparse_index_base_b,comdat
	.globl	_ZN9rocsparseL20bsrxmvn_17_32_kernelILj29EiliaaiEEvT2_20rocsparse_direction_NS_24const_host_device_scalarIT0_EES1_PKS1_PKT1_SA_S7_PKT3_PKT4_S5_PT5_21rocsparse_index_base_b ; -- Begin function _ZN9rocsparseL20bsrxmvn_17_32_kernelILj29EiliaaiEEvT2_20rocsparse_direction_NS_24const_host_device_scalarIT0_EES1_PKS1_PKT1_SA_S7_PKT3_PKT4_S5_PT5_21rocsparse_index_base_b
	.p2align	8
	.type	_ZN9rocsparseL20bsrxmvn_17_32_kernelILj29EiliaaiEEvT2_20rocsparse_direction_NS_24const_host_device_scalarIT0_EES1_PKS1_PKT1_SA_S7_PKT3_PKT4_S5_PT5_21rocsparse_index_base_b,@function
_ZN9rocsparseL20bsrxmvn_17_32_kernelILj29EiliaaiEEvT2_20rocsparse_direction_NS_24const_host_device_scalarIT0_EES1_PKS1_PKT1_SA_S7_PKT3_PKT4_S5_PT5_21rocsparse_index_base_b: ; @_ZN9rocsparseL20bsrxmvn_17_32_kernelILj29EiliaaiEEvT2_20rocsparse_direction_NS_24const_host_device_scalarIT0_EES1_PKS1_PKT1_SA_S7_PKT3_PKT4_S5_PT5_21rocsparse_index_base_b
; %bb.0:
	s_clause 0x1
	s_load_b64 s[10:11], s[0:1], 0x58
	s_load_b64 s[4:5], s[0:1], 0x8
	s_mov_b32 s8, s15
	s_mov_b32 s7, -1
	s_waitcnt lgkmcnt(0)
	s_bitcmp1_b32 s11, 0
                                        ; implicit-def: $sgpr11
	s_cselect_b32 s2, -1, 0
	s_delay_alu instid0(SALU_CYCLE_1) | instskip(NEXT) | instid1(SALU_CYCLE_1)
	s_xor_b32 s6, s2, -1
	s_and_b32 vcc_lo, exec_lo, s6
	s_cbranch_vccnz .LBB220_4
; %bb.1:
	s_load_b64 s[2:3], s[0:1], 0x48
	s_and_not1_b32 vcc_lo, exec_lo, s7
	s_cbranch_vccz .LBB220_5
.LBB220_2:
	s_and_b32 vcc_lo, exec_lo, s6
	s_cbranch_vccz .LBB220_6
.LBB220_3:
	s_waitcnt lgkmcnt(0)
	s_load_b32 s3, s[2:3], 0x0
	s_cbranch_execz .LBB220_7
	s_branch .LBB220_8
.LBB220_4:
	s_load_b32 s11, s[4:5], 0x0
	s_load_b64 s[2:3], s[0:1], 0x48
	s_cbranch_execnz .LBB220_2
.LBB220_5:
	s_waitcnt lgkmcnt(0)
	s_mov_b32 s11, s4
	s_and_b32 vcc_lo, exec_lo, s6
	s_cbranch_vccnz .LBB220_3
.LBB220_6:
                                        ; implicit-def: $sgpr3
.LBB220_7:
	s_waitcnt lgkmcnt(0)
	s_mov_b32 s3, s2
.LBB220_8:
	s_waitcnt lgkmcnt(0)
	s_cmp_lg_u32 s11, 0
	s_cselect_b32 s2, -1, 0
	s_cmp_lg_u32 s3, 1
	s_cselect_b32 s4, -1, 0
	s_delay_alu instid0(SALU_CYCLE_1) | instskip(NEXT) | instid1(SALU_CYCLE_1)
	s_or_b32 s2, s2, s4
	s_and_not1_b32 vcc_lo, exec_lo, s2
	s_cbranch_vccnz .LBB220_46
; %bb.9:
	s_clause 0x1
	s_load_b128 s[4:7], s[0:1], 0x18
	s_load_b64 s[12:13], s[0:1], 0x28
	s_waitcnt lgkmcnt(0)
	s_cmp_eq_u64 s[4:5], 0
	s_cbranch_scc1 .LBB220_11
; %bb.10:
	s_ashr_i32 s9, s8, 31
	s_delay_alu instid0(SALU_CYCLE_1) | instskip(NEXT) | instid1(SALU_CYCLE_1)
	s_lshl_b64 s[8:9], s[8:9], 2
	s_add_u32 s4, s4, s8
	s_addc_u32 s5, s5, s9
	s_load_b32 s2, s[4:5], 0x0
	s_waitcnt lgkmcnt(0)
	s_sub_i32 s8, s2, s10
.LBB220_11:
	s_load_b32 s4, s[0:1], 0x4
	v_mul_u32_u24_e32 v1, 0x8d4, v0
	v_mov_b32_e32 v6, 0
	s_delay_alu instid0(VALU_DEP_2) | instskip(NEXT) | instid1(VALU_DEP_1)
	v_lshrrev_b32_e32 v1, 16, v1
	v_mul_lo_u16 v2, v1, 29
	s_delay_alu instid0(VALU_DEP_1)
	v_sub_nc_u16 v7, v0, v2
	s_waitcnt lgkmcnt(0)
	s_cmp_eq_u32 s4, 1
	s_cselect_b32 s2, -1, 0
	s_cmp_lg_u32 s4, 1
	s_cselect_b32 s16, -1, 0
	s_ashr_i32 s9, s8, 31
	s_delay_alu instid0(SALU_CYCLE_1) | instskip(NEXT) | instid1(SALU_CYCLE_1)
	s_lshl_b64 s[4:5], s[8:9], 3
	s_add_u32 s6, s6, s4
	s_addc_u32 s7, s7, s5
	s_add_u32 s9, s6, 8
	s_addc_u32 s14, s7, 0
	;; [unrolled: 2-line block ×3, first 2 shown]
	s_cmp_eq_u64 s[12:13], 0
	s_cselect_b32 s5, s14, s5
	s_cselect_b32 s4, s9, s4
	s_load_b64 s[14:15], s[6:7], 0x0
	s_load_b64 s[6:7], s[4:5], 0x0
	;; [unrolled: 1-line block ×3, first 2 shown]
	s_waitcnt lgkmcnt(0)
	v_cmp_ge_i64_e64 s9, s[14:15], s[6:7]
	s_delay_alu instid0(VALU_DEP_1)
	s_and_b32 vcc_lo, exec_lo, s9
	s_cbranch_vccnz .LBB220_16
; %bb.12:
	v_dual_mov_b32 v6, 0 :: v_dual_and_b32 v1, 0xffff, v1
	v_cmp_lt_u32_e32 vcc_lo, 0x348, v0
	s_clause 0x1
	s_load_b128 s[20:23], s[0:1], 0x30
	s_load_b64 s[0:1], s[0:1], 0x40
	v_subrev_nc_u32_e32 v3, 29, v1
	s_sub_u32 s6, s6, s10
	v_cndmask_b32_e64 v8, 0, 1, vcc_lo
	v_cmp_gt_u32_e32 vcc_lo, 0x349, v0
	v_and_b32_e32 v2, 0xffff, v7
	s_subb_u32 s7, s7, 0
	s_sub_u32 s12, s14, s10
	s_subb_u32 s13, s15, 0
	v_cndmask_b32_e32 v1, v3, v1, vcc_lo
	s_mul_i32 s9, s13, 0x349
	s_delay_alu instid0(VALU_DEP_1) | instskip(SKIP_1) | instid1(VALU_DEP_1)
	v_cndmask_b32_e64 v1, v2, v1, s2
	v_add_co_u32 v2, s2, s14, v8
	v_add_co_ci_u32_e64 v3, null, s15, 0, s2
	s_mul_hi_u32 s2, s12, 0x349
	s_delay_alu instid0(VALU_DEP_2) | instskip(NEXT) | instid1(VALU_DEP_2)
	v_sub_co_u32 v2, vcc_lo, v2, s10
	v_subrev_co_ci_u32_e32 v3, vcc_lo, 0, v3, vcc_lo
	s_mul_i32 s14, s12, 0x349
	s_add_i32 s2, s2, s9
	s_waitcnt lgkmcnt(0)
	s_add_u32 s9, s22, s14
	v_lshlrev_b64 v[4:5], 2, v[2:3]
	s_addc_u32 s2, s23, s2
	v_add_co_u32 v2, s9, s9, v0
	s_delay_alu instid0(VALU_DEP_1) | instskip(NEXT) | instid1(VALU_DEP_3)
	v_add_co_ci_u32_e64 v3, null, s2, 0, s9
	v_add_co_u32 v4, vcc_lo, s20, v4
	s_delay_alu instid0(VALU_DEP_4)
	v_add_co_ci_u32_e32 v5, vcc_lo, s21, v5, vcc_lo
	s_set_inst_prefetch_distance 0x1
	s_branch .LBB220_14
	.p2align	6
.LBB220_13:                             ;   in Loop: Header=BB220_14 Depth=1
	s_or_b32 exec_lo, exec_lo, s2
	s_add_u32 s12, s12, 1
	s_addc_u32 s13, s13, 0
	v_add_co_u32 v4, vcc_lo, v4, 4
	v_cmp_lt_i64_e64 s2, s[12:13], s[6:7]
	v_add_co_ci_u32_e32 v5, vcc_lo, 0, v5, vcc_lo
	s_delay_alu instid0(VALU_DEP_2)
	s_and_b32 vcc_lo, exec_lo, s2
	s_cbranch_vccz .LBB220_16
.LBB220_14:                             ; =>This Inner Loop Header: Depth=1
	v_add_co_u32 v9, s2, v8, s12
	s_delay_alu instid0(VALU_DEP_1) | instskip(SKIP_1) | instid1(VALU_DEP_1)
	v_add_co_ci_u32_e64 v10, null, 0, s13, s2
	s_mov_b32 s2, exec_lo
	v_cmpx_gt_i64_e64 s[6:7], v[9:10]
	s_cbranch_execz .LBB220_13
; %bb.15:                               ;   in Loop: Header=BB220_14 Depth=1
	global_load_b32 v9, v[4:5], off
	s_waitcnt vmcnt(0)
	v_subrev_nc_u32_e32 v11, s10, v9
	s_delay_alu instid0(VALU_DEP_1) | instskip(NEXT) | instid1(VALU_DEP_1)
	v_mad_u64_u32 v[9:10], null, v11, 29, v[1:2]
	v_ashrrev_i32_e32 v10, 31, v9
	v_add_co_u32 v9, vcc_lo, s0, v9
	s_delay_alu instid0(VALU_DEP_2)
	v_add_co_ci_u32_e32 v10, vcc_lo, s1, v10, vcc_lo
	global_load_i8 v11, v[2:3], off
	global_load_i8 v9, v[9:10], off
	v_add_co_u32 v2, vcc_lo, 0x349, v2
	v_add_co_ci_u32_e32 v3, vcc_lo, 0, v3, vcc_lo
	s_waitcnt vmcnt(0)
	v_mad_i32_i24 v6, v9, v11, v6
	s_branch .LBB220_13
.LBB220_16:
	s_set_inst_prefetch_distance 0x2
	v_lshlrev_b32_e32 v1, 2, v0
	s_and_b32 vcc_lo, exec_lo, s16
	ds_store_b32 v1, v6
	s_waitcnt lgkmcnt(0)
	s_barrier
	buffer_gl0_inv
	s_cbranch_vccz .LBB220_28
; %bb.17:
	s_mov_b32 s0, exec_lo
	v_cmpx_gt_u16_e32 13, v7
	s_cbranch_execz .LBB220_19
; %bb.18:
	ds_load_2addr_b32 v[2:3], v1 offset1:16
	s_waitcnt lgkmcnt(0)
	v_add_nc_u32_e32 v2, v2, v3
	ds_store_b32 v1, v2
.LBB220_19:
	s_or_b32 exec_lo, exec_lo, s0
	s_delay_alu instid0(SALU_CYCLE_1)
	s_mov_b32 s0, exec_lo
	s_waitcnt lgkmcnt(0)
	s_barrier
	buffer_gl0_inv
	v_cmpx_gt_u16_e32 8, v7
	s_cbranch_execz .LBB220_21
; %bb.20:
	ds_load_2addr_b32 v[2:3], v1 offset1:8
	s_waitcnt lgkmcnt(0)
	v_add_nc_u32_e32 v2, v2, v3
	ds_store_b32 v1, v2
.LBB220_21:
	s_or_b32 exec_lo, exec_lo, s0
	s_delay_alu instid0(SALU_CYCLE_1)
	s_mov_b32 s0, exec_lo
	s_waitcnt lgkmcnt(0)
	s_barrier
	buffer_gl0_inv
	;; [unrolled: 14-line block ×3, first 2 shown]
	v_cmpx_gt_u16_e32 2, v7
	s_cbranch_execz .LBB220_25
; %bb.24:
	ds_load_2addr_b32 v[2:3], v1 offset1:2
	s_waitcnt lgkmcnt(0)
	v_add_nc_u32_e32 v2, v2, v3
	ds_store_b32 v1, v2
.LBB220_25:
	s_or_b32 exec_lo, exec_lo, s0
	s_mov_b32 s1, 0
	s_mov_b32 s0, 0
	s_mov_b32 s2, exec_lo
	s_waitcnt lgkmcnt(0)
	s_barrier
	buffer_gl0_inv
                                        ; implicit-def: $vgpr2
                                        ; implicit-def: $vgpr3
	v_cmpx_gt_u32_e32 29, v0
	s_xor_b32 s2, exec_lo, s2
; %bb.26:
	v_mul_u32_u24_e32 v3, 29, v0
	v_mad_u32_u24 v2, v0, 29, 1
	s_mov_b32 s0, exec_lo
	s_delay_alu instid0(VALU_DEP_2)
	v_lshlrev_b32_e32 v3, 2, v3
; %bb.27:
	s_or_b32 exec_lo, exec_lo, s2
	s_delay_alu instid0(SALU_CYCLE_1)
	s_and_b32 vcc_lo, exec_lo, s1
	s_cbranch_vccnz .LBB220_29
	s_branch .LBB220_40
.LBB220_28:
	s_mov_b32 s0, 0
                                        ; implicit-def: $vgpr2
                                        ; implicit-def: $vgpr3
	s_cbranch_execz .LBB220_40
.LBB220_29:
	s_mov_b32 s1, exec_lo
	v_cmpx_gt_u32_e32 0x179, v0
	s_cbranch_execz .LBB220_31
; %bb.30:
	ds_load_b32 v2, v1 offset:1856
	ds_load_b32 v3, v1
	s_waitcnt lgkmcnt(0)
	v_add_nc_u32_e32 v2, v3, v2
	ds_store_b32 v1, v2
.LBB220_31:
	s_or_b32 exec_lo, exec_lo, s1
	s_delay_alu instid0(SALU_CYCLE_1)
	s_mov_b32 s1, exec_lo
	s_waitcnt lgkmcnt(0)
	s_barrier
	buffer_gl0_inv
	v_cmpx_gt_u32_e32 0xe8, v0
	s_cbranch_execz .LBB220_33
; %bb.32:
	ds_load_2addr_b32 v[2:3], v1 offset1:232
	s_waitcnt lgkmcnt(0)
	v_add_nc_u32_e32 v2, v2, v3
	ds_store_b32 v1, v2
.LBB220_33:
	s_or_b32 exec_lo, exec_lo, s1
	s_delay_alu instid0(SALU_CYCLE_1)
	s_mov_b32 s1, exec_lo
	s_waitcnt lgkmcnt(0)
	s_barrier
	buffer_gl0_inv
	v_cmpx_gt_u32_e32 0x74, v0
	s_cbranch_execz .LBB220_35
; %bb.34:
	ds_load_2addr_b32 v[2:3], v1 offset1:116
	s_waitcnt lgkmcnt(0)
	v_add_nc_u32_e32 v2, v2, v3
	ds_store_b32 v1, v2
.LBB220_35:
	;; [unrolled: 14-line block ×3, first 2 shown]
	s_or_b32 exec_lo, exec_lo, s1
	s_delay_alu instid0(SALU_CYCLE_1)
	s_mov_b32 s1, exec_lo
	s_waitcnt lgkmcnt(0)
	buffer_gl0_inv
                                        ; implicit-def: $vgpr2
	v_cmpx_gt_u32_e32 29, v0
; %bb.38:
	v_add_nc_u32_e32 v2, 29, v0
	s_or_b32 s0, s0, exec_lo
                                        ; implicit-def: $vgpr6
; %bb.39:
	s_or_b32 exec_lo, exec_lo, s1
	v_mov_b32_e32 v3, v1
.LBB220_40:
	s_and_saveexec_b32 s1, s0
	s_cbranch_execz .LBB220_42
; %bb.41:
	v_lshlrev_b32_e32 v1, 2, v2
	ds_load_b32 v2, v3
	ds_load_b32 v1, v1
	s_waitcnt lgkmcnt(0)
	v_add_nc_u32_e32 v6, v1, v2
.LBB220_42:
	s_or_b32 exec_lo, exec_lo, s1
	s_delay_alu instid0(SALU_CYCLE_1)
	s_mov_b32 s0, exec_lo
	v_cmpx_gt_u32_e32 29, v0
	s_cbranch_execz .LBB220_46
; %bb.43:
	v_mul_lo_u32 v1, v6, s11
	s_cmp_eq_u32 s3, 0
	s_mov_b32 s0, 0
	s_cbranch_scc1 .LBB220_47
; %bb.44:
	s_delay_alu instid0(VALU_DEP_1) | instskip(SKIP_1) | instid1(VALU_DEP_1)
	v_mad_u64_u32 v[2:3], null, s8, 29, v[0:1]
	v_mov_b32_e32 v3, 0
	v_lshlrev_b64 v[2:3], 2, v[2:3]
	s_delay_alu instid0(VALU_DEP_1) | instskip(NEXT) | instid1(VALU_DEP_2)
	v_add_co_u32 v2, vcc_lo, s4, v2
	v_add_co_ci_u32_e32 v3, vcc_lo, s5, v3, vcc_lo
	global_load_b32 v6, v[2:3], off
	s_waitcnt vmcnt(0)
	v_mad_u64_u32 v[4:5], null, v6, s3, v[1:2]
	global_store_b32 v[2:3], v4, off
	s_and_not1_b32 vcc_lo, exec_lo, s0
	s_cbranch_vccnz .LBB220_46
.LBB220_45:
	s_delay_alu instid0(VALU_DEP_1) | instskip(SKIP_1) | instid1(VALU_DEP_1)
	v_mad_u64_u32 v[2:3], null, s8, 29, v[0:1]
	v_mov_b32_e32 v3, 0
	v_lshlrev_b64 v[2:3], 2, v[2:3]
	s_delay_alu instid0(VALU_DEP_1) | instskip(NEXT) | instid1(VALU_DEP_2)
	v_add_co_u32 v2, vcc_lo, s4, v2
	v_add_co_ci_u32_e32 v3, vcc_lo, s5, v3, vcc_lo
	global_store_b32 v[2:3], v1, off
.LBB220_46:
	s_nop 0
	s_sendmsg sendmsg(MSG_DEALLOC_VGPRS)
	s_endpgm
.LBB220_47:
	s_branch .LBB220_45
	.section	.rodata,"a",@progbits
	.p2align	6, 0x0
	.amdhsa_kernel _ZN9rocsparseL20bsrxmvn_17_32_kernelILj29EiliaaiEEvT2_20rocsparse_direction_NS_24const_host_device_scalarIT0_EES1_PKS1_PKT1_SA_S7_PKT3_PKT4_S5_PT5_21rocsparse_index_base_b
		.amdhsa_group_segment_fixed_size 3364
		.amdhsa_private_segment_fixed_size 0
		.amdhsa_kernarg_size 96
		.amdhsa_user_sgpr_count 15
		.amdhsa_user_sgpr_dispatch_ptr 0
		.amdhsa_user_sgpr_queue_ptr 0
		.amdhsa_user_sgpr_kernarg_segment_ptr 1
		.amdhsa_user_sgpr_dispatch_id 0
		.amdhsa_user_sgpr_private_segment_size 0
		.amdhsa_wavefront_size32 1
		.amdhsa_uses_dynamic_stack 0
		.amdhsa_enable_private_segment 0
		.amdhsa_system_sgpr_workgroup_id_x 1
		.amdhsa_system_sgpr_workgroup_id_y 0
		.amdhsa_system_sgpr_workgroup_id_z 0
		.amdhsa_system_sgpr_workgroup_info 0
		.amdhsa_system_vgpr_workitem_id 0
		.amdhsa_next_free_vgpr 12
		.amdhsa_next_free_sgpr 24
		.amdhsa_reserve_vcc 1
		.amdhsa_float_round_mode_32 0
		.amdhsa_float_round_mode_16_64 0
		.amdhsa_float_denorm_mode_32 3
		.amdhsa_float_denorm_mode_16_64 3
		.amdhsa_dx10_clamp 1
		.amdhsa_ieee_mode 1
		.amdhsa_fp16_overflow 0
		.amdhsa_workgroup_processor_mode 1
		.amdhsa_memory_ordered 1
		.amdhsa_forward_progress 0
		.amdhsa_shared_vgpr_count 0
		.amdhsa_exception_fp_ieee_invalid_op 0
		.amdhsa_exception_fp_denorm_src 0
		.amdhsa_exception_fp_ieee_div_zero 0
		.amdhsa_exception_fp_ieee_overflow 0
		.amdhsa_exception_fp_ieee_underflow 0
		.amdhsa_exception_fp_ieee_inexact 0
		.amdhsa_exception_int_div_zero 0
	.end_amdhsa_kernel
	.section	.text._ZN9rocsparseL20bsrxmvn_17_32_kernelILj29EiliaaiEEvT2_20rocsparse_direction_NS_24const_host_device_scalarIT0_EES1_PKS1_PKT1_SA_S7_PKT3_PKT4_S5_PT5_21rocsparse_index_base_b,"axG",@progbits,_ZN9rocsparseL20bsrxmvn_17_32_kernelILj29EiliaaiEEvT2_20rocsparse_direction_NS_24const_host_device_scalarIT0_EES1_PKS1_PKT1_SA_S7_PKT3_PKT4_S5_PT5_21rocsparse_index_base_b,comdat
.Lfunc_end220:
	.size	_ZN9rocsparseL20bsrxmvn_17_32_kernelILj29EiliaaiEEvT2_20rocsparse_direction_NS_24const_host_device_scalarIT0_EES1_PKS1_PKT1_SA_S7_PKT3_PKT4_S5_PT5_21rocsparse_index_base_b, .Lfunc_end220-_ZN9rocsparseL20bsrxmvn_17_32_kernelILj29EiliaaiEEvT2_20rocsparse_direction_NS_24const_host_device_scalarIT0_EES1_PKS1_PKT1_SA_S7_PKT3_PKT4_S5_PT5_21rocsparse_index_base_b
                                        ; -- End function
	.section	.AMDGPU.csdata,"",@progbits
; Kernel info:
; codeLenInByte = 1656
; NumSgprs: 26
; NumVgprs: 12
; ScratchSize: 0
; MemoryBound: 0
; FloatMode: 240
; IeeeMode: 1
; LDSByteSize: 3364 bytes/workgroup (compile time only)
; SGPRBlocks: 3
; VGPRBlocks: 1
; NumSGPRsForWavesPerEU: 26
; NumVGPRsForWavesPerEU: 12
; Occupancy: 14
; WaveLimiterHint : 1
; COMPUTE_PGM_RSRC2:SCRATCH_EN: 0
; COMPUTE_PGM_RSRC2:USER_SGPR: 15
; COMPUTE_PGM_RSRC2:TRAP_HANDLER: 0
; COMPUTE_PGM_RSRC2:TGID_X_EN: 1
; COMPUTE_PGM_RSRC2:TGID_Y_EN: 0
; COMPUTE_PGM_RSRC2:TGID_Z_EN: 0
; COMPUTE_PGM_RSRC2:TIDIG_COMP_CNT: 0
	.section	.text._ZN9rocsparseL20bsrxmvn_17_32_kernelILj30EiliaaiEEvT2_20rocsparse_direction_NS_24const_host_device_scalarIT0_EES1_PKS1_PKT1_SA_S7_PKT3_PKT4_S5_PT5_21rocsparse_index_base_b,"axG",@progbits,_ZN9rocsparseL20bsrxmvn_17_32_kernelILj30EiliaaiEEvT2_20rocsparse_direction_NS_24const_host_device_scalarIT0_EES1_PKS1_PKT1_SA_S7_PKT3_PKT4_S5_PT5_21rocsparse_index_base_b,comdat
	.globl	_ZN9rocsparseL20bsrxmvn_17_32_kernelILj30EiliaaiEEvT2_20rocsparse_direction_NS_24const_host_device_scalarIT0_EES1_PKS1_PKT1_SA_S7_PKT3_PKT4_S5_PT5_21rocsparse_index_base_b ; -- Begin function _ZN9rocsparseL20bsrxmvn_17_32_kernelILj30EiliaaiEEvT2_20rocsparse_direction_NS_24const_host_device_scalarIT0_EES1_PKS1_PKT1_SA_S7_PKT3_PKT4_S5_PT5_21rocsparse_index_base_b
	.p2align	8
	.type	_ZN9rocsparseL20bsrxmvn_17_32_kernelILj30EiliaaiEEvT2_20rocsparse_direction_NS_24const_host_device_scalarIT0_EES1_PKS1_PKT1_SA_S7_PKT3_PKT4_S5_PT5_21rocsparse_index_base_b,@function
_ZN9rocsparseL20bsrxmvn_17_32_kernelILj30EiliaaiEEvT2_20rocsparse_direction_NS_24const_host_device_scalarIT0_EES1_PKS1_PKT1_SA_S7_PKT3_PKT4_S5_PT5_21rocsparse_index_base_b: ; @_ZN9rocsparseL20bsrxmvn_17_32_kernelILj30EiliaaiEEvT2_20rocsparse_direction_NS_24const_host_device_scalarIT0_EES1_PKS1_PKT1_SA_S7_PKT3_PKT4_S5_PT5_21rocsparse_index_base_b
; %bb.0:
	s_clause 0x1
	s_load_b64 s[10:11], s[0:1], 0x58
	s_load_b64 s[4:5], s[0:1], 0x8
	s_mov_b32 s8, s15
	s_mov_b32 s7, -1
	s_waitcnt lgkmcnt(0)
	s_bitcmp1_b32 s11, 0
                                        ; implicit-def: $sgpr11
	s_cselect_b32 s2, -1, 0
	s_delay_alu instid0(SALU_CYCLE_1) | instskip(NEXT) | instid1(SALU_CYCLE_1)
	s_xor_b32 s6, s2, -1
	s_and_b32 vcc_lo, exec_lo, s6
	s_cbranch_vccnz .LBB221_4
; %bb.1:
	s_load_b64 s[2:3], s[0:1], 0x48
	s_and_not1_b32 vcc_lo, exec_lo, s7
	s_cbranch_vccz .LBB221_5
.LBB221_2:
	s_and_b32 vcc_lo, exec_lo, s6
	s_cbranch_vccz .LBB221_6
.LBB221_3:
	s_waitcnt lgkmcnt(0)
	s_load_b32 s3, s[2:3], 0x0
	s_cbranch_execz .LBB221_7
	s_branch .LBB221_8
.LBB221_4:
	s_load_b32 s11, s[4:5], 0x0
	s_load_b64 s[2:3], s[0:1], 0x48
	s_cbranch_execnz .LBB221_2
.LBB221_5:
	s_waitcnt lgkmcnt(0)
	s_mov_b32 s11, s4
	s_and_b32 vcc_lo, exec_lo, s6
	s_cbranch_vccnz .LBB221_3
.LBB221_6:
                                        ; implicit-def: $sgpr3
.LBB221_7:
	s_waitcnt lgkmcnt(0)
	s_mov_b32 s3, s2
.LBB221_8:
	s_waitcnt lgkmcnt(0)
	s_cmp_lg_u32 s11, 0
	s_cselect_b32 s2, -1, 0
	s_cmp_lg_u32 s3, 1
	s_cselect_b32 s4, -1, 0
	s_delay_alu instid0(SALU_CYCLE_1) | instskip(NEXT) | instid1(SALU_CYCLE_1)
	s_or_b32 s2, s2, s4
	s_and_not1_b32 vcc_lo, exec_lo, s2
	s_cbranch_vccnz .LBB221_46
; %bb.9:
	s_clause 0x1
	s_load_b128 s[4:7], s[0:1], 0x18
	s_load_b64 s[12:13], s[0:1], 0x28
	s_waitcnt lgkmcnt(0)
	s_cmp_eq_u64 s[4:5], 0
	s_cbranch_scc1 .LBB221_11
; %bb.10:
	s_ashr_i32 s9, s8, 31
	s_delay_alu instid0(SALU_CYCLE_1) | instskip(NEXT) | instid1(SALU_CYCLE_1)
	s_lshl_b64 s[8:9], s[8:9], 2
	s_add_u32 s4, s4, s8
	s_addc_u32 s5, s5, s9
	s_load_b32 s2, s[4:5], 0x0
	s_waitcnt lgkmcnt(0)
	s_sub_i32 s8, s2, s10
.LBB221_11:
	s_load_b32 s4, s[0:1], 0x4
	v_mul_u32_u24_e32 v1, 0x889, v0
	v_mov_b32_e32 v6, 0
	s_delay_alu instid0(VALU_DEP_2) | instskip(NEXT) | instid1(VALU_DEP_1)
	v_lshrrev_b32_e32 v1, 16, v1
	v_mul_lo_u16 v2, v1, 30
	s_delay_alu instid0(VALU_DEP_1)
	v_sub_nc_u16 v7, v0, v2
	s_waitcnt lgkmcnt(0)
	s_cmp_eq_u32 s4, 1
	s_cselect_b32 s2, -1, 0
	s_cmp_lg_u32 s4, 1
	s_cselect_b32 s16, -1, 0
	s_ashr_i32 s9, s8, 31
	s_delay_alu instid0(SALU_CYCLE_1) | instskip(NEXT) | instid1(SALU_CYCLE_1)
	s_lshl_b64 s[4:5], s[8:9], 3
	s_add_u32 s6, s6, s4
	s_addc_u32 s7, s7, s5
	s_add_u32 s9, s6, 8
	s_addc_u32 s14, s7, 0
	;; [unrolled: 2-line block ×3, first 2 shown]
	s_cmp_eq_u64 s[12:13], 0
	s_cselect_b32 s5, s14, s5
	s_cselect_b32 s4, s9, s4
	s_load_b64 s[14:15], s[6:7], 0x0
	s_load_b64 s[6:7], s[4:5], 0x0
	;; [unrolled: 1-line block ×3, first 2 shown]
	s_waitcnt lgkmcnt(0)
	v_cmp_ge_i64_e64 s9, s[14:15], s[6:7]
	s_delay_alu instid0(VALU_DEP_1)
	s_and_b32 vcc_lo, exec_lo, s9
	s_cbranch_vccnz .LBB221_16
; %bb.12:
	v_dual_mov_b32 v6, 0 :: v_dual_and_b32 v1, 0xffff, v1
	v_cmp_lt_u32_e32 vcc_lo, 0x383, v0
	s_clause 0x1
	s_load_b128 s[20:23], s[0:1], 0x30
	s_load_b64 s[0:1], s[0:1], 0x40
	v_subrev_nc_u32_e32 v3, 30, v1
	s_sub_u32 s6, s6, s10
	v_cndmask_b32_e64 v8, 0, 1, vcc_lo
	v_cmp_gt_u32_e32 vcc_lo, 0x384, v0
	v_and_b32_e32 v2, 0xffff, v7
	s_subb_u32 s7, s7, 0
	s_sub_u32 s12, s14, s10
	s_subb_u32 s13, s15, 0
	v_cndmask_b32_e32 v1, v3, v1, vcc_lo
	s_mul_i32 s9, s13, 0x384
	s_delay_alu instid0(VALU_DEP_1) | instskip(SKIP_1) | instid1(VALU_DEP_1)
	v_cndmask_b32_e64 v1, v2, v1, s2
	v_add_co_u32 v2, s2, s14, v8
	v_add_co_ci_u32_e64 v3, null, s15, 0, s2
	s_mul_hi_u32 s2, s12, 0x384
	s_delay_alu instid0(VALU_DEP_2) | instskip(NEXT) | instid1(VALU_DEP_2)
	v_sub_co_u32 v2, vcc_lo, v2, s10
	v_subrev_co_ci_u32_e32 v3, vcc_lo, 0, v3, vcc_lo
	s_mul_i32 s14, s12, 0x384
	s_add_i32 s2, s2, s9
	s_waitcnt lgkmcnt(0)
	s_add_u32 s9, s22, s14
	v_lshlrev_b64 v[4:5], 2, v[2:3]
	s_addc_u32 s2, s23, s2
	v_add_co_u32 v2, s9, s9, v0
	s_delay_alu instid0(VALU_DEP_1) | instskip(NEXT) | instid1(VALU_DEP_3)
	v_add_co_ci_u32_e64 v3, null, s2, 0, s9
	v_add_co_u32 v4, vcc_lo, s20, v4
	s_delay_alu instid0(VALU_DEP_4)
	v_add_co_ci_u32_e32 v5, vcc_lo, s21, v5, vcc_lo
	s_set_inst_prefetch_distance 0x1
	s_branch .LBB221_14
	.p2align	6
.LBB221_13:                             ;   in Loop: Header=BB221_14 Depth=1
	s_or_b32 exec_lo, exec_lo, s2
	s_add_u32 s12, s12, 1
	s_addc_u32 s13, s13, 0
	v_add_co_u32 v4, vcc_lo, v4, 4
	v_cmp_lt_i64_e64 s2, s[12:13], s[6:7]
	v_add_co_ci_u32_e32 v5, vcc_lo, 0, v5, vcc_lo
	s_delay_alu instid0(VALU_DEP_2)
	s_and_b32 vcc_lo, exec_lo, s2
	s_cbranch_vccz .LBB221_16
.LBB221_14:                             ; =>This Inner Loop Header: Depth=1
	v_add_co_u32 v9, s2, v8, s12
	s_delay_alu instid0(VALU_DEP_1) | instskip(SKIP_1) | instid1(VALU_DEP_1)
	v_add_co_ci_u32_e64 v10, null, 0, s13, s2
	s_mov_b32 s2, exec_lo
	v_cmpx_gt_i64_e64 s[6:7], v[9:10]
	s_cbranch_execz .LBB221_13
; %bb.15:                               ;   in Loop: Header=BB221_14 Depth=1
	global_load_b32 v9, v[4:5], off
	s_waitcnt vmcnt(0)
	v_subrev_nc_u32_e32 v11, s10, v9
	s_delay_alu instid0(VALU_DEP_1) | instskip(NEXT) | instid1(VALU_DEP_1)
	v_mad_u64_u32 v[9:10], null, v11, 30, v[1:2]
	v_ashrrev_i32_e32 v10, 31, v9
	v_add_co_u32 v9, vcc_lo, s0, v9
	s_delay_alu instid0(VALU_DEP_2)
	v_add_co_ci_u32_e32 v10, vcc_lo, s1, v10, vcc_lo
	global_load_i8 v11, v[2:3], off
	global_load_i8 v9, v[9:10], off
	v_add_co_u32 v2, vcc_lo, 0x384, v2
	v_add_co_ci_u32_e32 v3, vcc_lo, 0, v3, vcc_lo
	s_waitcnt vmcnt(0)
	v_mad_i32_i24 v6, v9, v11, v6
	s_branch .LBB221_13
.LBB221_16:
	s_set_inst_prefetch_distance 0x2
	v_lshlrev_b32_e32 v1, 2, v0
	s_and_b32 vcc_lo, exec_lo, s16
	ds_store_b32 v1, v6
	s_waitcnt lgkmcnt(0)
	s_barrier
	buffer_gl0_inv
	s_cbranch_vccz .LBB221_28
; %bb.17:
	s_mov_b32 s0, exec_lo
	v_cmpx_gt_u16_e32 14, v7
	s_cbranch_execz .LBB221_19
; %bb.18:
	ds_load_2addr_b32 v[2:3], v1 offset1:16
	s_waitcnt lgkmcnt(0)
	v_add_nc_u32_e32 v2, v2, v3
	ds_store_b32 v1, v2
.LBB221_19:
	s_or_b32 exec_lo, exec_lo, s0
	s_delay_alu instid0(SALU_CYCLE_1)
	s_mov_b32 s0, exec_lo
	s_waitcnt lgkmcnt(0)
	s_barrier
	buffer_gl0_inv
	v_cmpx_gt_u16_e32 8, v7
	s_cbranch_execz .LBB221_21
; %bb.20:
	ds_load_2addr_b32 v[2:3], v1 offset1:8
	s_waitcnt lgkmcnt(0)
	v_add_nc_u32_e32 v2, v2, v3
	ds_store_b32 v1, v2
.LBB221_21:
	s_or_b32 exec_lo, exec_lo, s0
	s_delay_alu instid0(SALU_CYCLE_1)
	s_mov_b32 s0, exec_lo
	s_waitcnt lgkmcnt(0)
	s_barrier
	buffer_gl0_inv
	;; [unrolled: 14-line block ×3, first 2 shown]
	v_cmpx_gt_u16_e32 2, v7
	s_cbranch_execz .LBB221_25
; %bb.24:
	ds_load_2addr_b32 v[2:3], v1 offset1:2
	s_waitcnt lgkmcnt(0)
	v_add_nc_u32_e32 v2, v2, v3
	ds_store_b32 v1, v2
.LBB221_25:
	s_or_b32 exec_lo, exec_lo, s0
	s_mov_b32 s1, 0
	s_mov_b32 s0, 0
	s_mov_b32 s2, exec_lo
	s_waitcnt lgkmcnt(0)
	s_barrier
	buffer_gl0_inv
                                        ; implicit-def: $vgpr2
                                        ; implicit-def: $vgpr3
	v_cmpx_gt_u32_e32 30, v0
	s_xor_b32 s2, exec_lo, s2
; %bb.26:
	v_mul_u32_u24_e32 v3, 30, v0
	s_mov_b32 s0, exec_lo
	s_delay_alu instid0(VALU_DEP_1)
	v_or_b32_e32 v2, 1, v3
	v_lshlrev_b32_e32 v3, 2, v3
; %bb.27:
	s_or_b32 exec_lo, exec_lo, s2
	s_delay_alu instid0(SALU_CYCLE_1)
	s_and_b32 vcc_lo, exec_lo, s1
	s_cbranch_vccnz .LBB221_29
	s_branch .LBB221_40
.LBB221_28:
	s_mov_b32 s0, 0
                                        ; implicit-def: $vgpr2
                                        ; implicit-def: $vgpr3
	s_cbranch_execz .LBB221_40
.LBB221_29:
	s_mov_b32 s1, exec_lo
	v_cmpx_gt_u32_e32 0x1a4, v0
	s_cbranch_execz .LBB221_31
; %bb.30:
	ds_load_b32 v2, v1 offset:1920
	ds_load_b32 v3, v1
	s_waitcnt lgkmcnt(0)
	v_add_nc_u32_e32 v2, v3, v2
	ds_store_b32 v1, v2
.LBB221_31:
	s_or_b32 exec_lo, exec_lo, s1
	s_delay_alu instid0(SALU_CYCLE_1)
	s_mov_b32 s1, exec_lo
	s_waitcnt lgkmcnt(0)
	s_barrier
	buffer_gl0_inv
	v_cmpx_gt_u32_e32 0xf0, v0
	s_cbranch_execz .LBB221_33
; %bb.32:
	ds_load_2addr_b32 v[2:3], v1 offset1:240
	s_waitcnt lgkmcnt(0)
	v_add_nc_u32_e32 v2, v2, v3
	ds_store_b32 v1, v2
.LBB221_33:
	s_or_b32 exec_lo, exec_lo, s1
	s_delay_alu instid0(SALU_CYCLE_1)
	s_mov_b32 s1, exec_lo
	s_waitcnt lgkmcnt(0)
	s_barrier
	buffer_gl0_inv
	v_cmpx_gt_u32_e32 0x78, v0
	s_cbranch_execz .LBB221_35
; %bb.34:
	ds_load_2addr_b32 v[2:3], v1 offset1:120
	s_waitcnt lgkmcnt(0)
	v_add_nc_u32_e32 v2, v2, v3
	ds_store_b32 v1, v2
.LBB221_35:
	;; [unrolled: 14-line block ×3, first 2 shown]
	s_or_b32 exec_lo, exec_lo, s1
	s_delay_alu instid0(SALU_CYCLE_1)
	s_mov_b32 s1, exec_lo
	s_waitcnt lgkmcnt(0)
	buffer_gl0_inv
                                        ; implicit-def: $vgpr2
	v_cmpx_gt_u32_e32 30, v0
; %bb.38:
	v_add_nc_u32_e32 v2, 30, v0
	s_or_b32 s0, s0, exec_lo
                                        ; implicit-def: $vgpr6
; %bb.39:
	s_or_b32 exec_lo, exec_lo, s1
	v_mov_b32_e32 v3, v1
.LBB221_40:
	s_and_saveexec_b32 s1, s0
	s_cbranch_execz .LBB221_42
; %bb.41:
	v_lshlrev_b32_e32 v1, 2, v2
	ds_load_b32 v2, v3
	ds_load_b32 v1, v1
	s_waitcnt lgkmcnt(0)
	v_add_nc_u32_e32 v6, v1, v2
.LBB221_42:
	s_or_b32 exec_lo, exec_lo, s1
	s_delay_alu instid0(SALU_CYCLE_1)
	s_mov_b32 s0, exec_lo
	v_cmpx_gt_u32_e32 30, v0
	s_cbranch_execz .LBB221_46
; %bb.43:
	v_mul_lo_u32 v1, v6, s11
	s_cmp_eq_u32 s3, 0
	s_mov_b32 s0, 0
	s_cbranch_scc1 .LBB221_47
; %bb.44:
	s_delay_alu instid0(VALU_DEP_1) | instskip(SKIP_1) | instid1(VALU_DEP_1)
	v_mad_u64_u32 v[2:3], null, s8, 30, v[0:1]
	v_mov_b32_e32 v3, 0
	v_lshlrev_b64 v[2:3], 2, v[2:3]
	s_delay_alu instid0(VALU_DEP_1) | instskip(NEXT) | instid1(VALU_DEP_2)
	v_add_co_u32 v2, vcc_lo, s4, v2
	v_add_co_ci_u32_e32 v3, vcc_lo, s5, v3, vcc_lo
	global_load_b32 v6, v[2:3], off
	s_waitcnt vmcnt(0)
	v_mad_u64_u32 v[4:5], null, v6, s3, v[1:2]
	global_store_b32 v[2:3], v4, off
	s_and_not1_b32 vcc_lo, exec_lo, s0
	s_cbranch_vccnz .LBB221_46
.LBB221_45:
	s_delay_alu instid0(VALU_DEP_1) | instskip(SKIP_1) | instid1(VALU_DEP_1)
	v_mad_u64_u32 v[2:3], null, s8, 30, v[0:1]
	v_mov_b32_e32 v3, 0
	v_lshlrev_b64 v[2:3], 2, v[2:3]
	s_delay_alu instid0(VALU_DEP_1) | instskip(NEXT) | instid1(VALU_DEP_2)
	v_add_co_u32 v2, vcc_lo, s4, v2
	v_add_co_ci_u32_e32 v3, vcc_lo, s5, v3, vcc_lo
	global_store_b32 v[2:3], v1, off
.LBB221_46:
	s_nop 0
	s_sendmsg sendmsg(MSG_DEALLOC_VGPRS)
	s_endpgm
.LBB221_47:
	s_branch .LBB221_45
	.section	.rodata,"a",@progbits
	.p2align	6, 0x0
	.amdhsa_kernel _ZN9rocsparseL20bsrxmvn_17_32_kernelILj30EiliaaiEEvT2_20rocsparse_direction_NS_24const_host_device_scalarIT0_EES1_PKS1_PKT1_SA_S7_PKT3_PKT4_S5_PT5_21rocsparse_index_base_b
		.amdhsa_group_segment_fixed_size 3600
		.amdhsa_private_segment_fixed_size 0
		.amdhsa_kernarg_size 96
		.amdhsa_user_sgpr_count 15
		.amdhsa_user_sgpr_dispatch_ptr 0
		.amdhsa_user_sgpr_queue_ptr 0
		.amdhsa_user_sgpr_kernarg_segment_ptr 1
		.amdhsa_user_sgpr_dispatch_id 0
		.amdhsa_user_sgpr_private_segment_size 0
		.amdhsa_wavefront_size32 1
		.amdhsa_uses_dynamic_stack 0
		.amdhsa_enable_private_segment 0
		.amdhsa_system_sgpr_workgroup_id_x 1
		.amdhsa_system_sgpr_workgroup_id_y 0
		.amdhsa_system_sgpr_workgroup_id_z 0
		.amdhsa_system_sgpr_workgroup_info 0
		.amdhsa_system_vgpr_workitem_id 0
		.amdhsa_next_free_vgpr 12
		.amdhsa_next_free_sgpr 24
		.amdhsa_reserve_vcc 1
		.amdhsa_float_round_mode_32 0
		.amdhsa_float_round_mode_16_64 0
		.amdhsa_float_denorm_mode_32 3
		.amdhsa_float_denorm_mode_16_64 3
		.amdhsa_dx10_clamp 1
		.amdhsa_ieee_mode 1
		.amdhsa_fp16_overflow 0
		.amdhsa_workgroup_processor_mode 1
		.amdhsa_memory_ordered 1
		.amdhsa_forward_progress 0
		.amdhsa_shared_vgpr_count 0
		.amdhsa_exception_fp_ieee_invalid_op 0
		.amdhsa_exception_fp_denorm_src 0
		.amdhsa_exception_fp_ieee_div_zero 0
		.amdhsa_exception_fp_ieee_overflow 0
		.amdhsa_exception_fp_ieee_underflow 0
		.amdhsa_exception_fp_ieee_inexact 0
		.amdhsa_exception_int_div_zero 0
	.end_amdhsa_kernel
	.section	.text._ZN9rocsparseL20bsrxmvn_17_32_kernelILj30EiliaaiEEvT2_20rocsparse_direction_NS_24const_host_device_scalarIT0_EES1_PKS1_PKT1_SA_S7_PKT3_PKT4_S5_PT5_21rocsparse_index_base_b,"axG",@progbits,_ZN9rocsparseL20bsrxmvn_17_32_kernelILj30EiliaaiEEvT2_20rocsparse_direction_NS_24const_host_device_scalarIT0_EES1_PKS1_PKT1_SA_S7_PKT3_PKT4_S5_PT5_21rocsparse_index_base_b,comdat
.Lfunc_end221:
	.size	_ZN9rocsparseL20bsrxmvn_17_32_kernelILj30EiliaaiEEvT2_20rocsparse_direction_NS_24const_host_device_scalarIT0_EES1_PKS1_PKT1_SA_S7_PKT3_PKT4_S5_PT5_21rocsparse_index_base_b, .Lfunc_end221-_ZN9rocsparseL20bsrxmvn_17_32_kernelILj30EiliaaiEEvT2_20rocsparse_direction_NS_24const_host_device_scalarIT0_EES1_PKS1_PKT1_SA_S7_PKT3_PKT4_S5_PT5_21rocsparse_index_base_b
                                        ; -- End function
	.section	.AMDGPU.csdata,"",@progbits
; Kernel info:
; codeLenInByte = 1652
; NumSgprs: 26
; NumVgprs: 12
; ScratchSize: 0
; MemoryBound: 0
; FloatMode: 240
; IeeeMode: 1
; LDSByteSize: 3600 bytes/workgroup (compile time only)
; SGPRBlocks: 3
; VGPRBlocks: 1
; NumSGPRsForWavesPerEU: 26
; NumVGPRsForWavesPerEU: 12
; Occupancy: 15
; WaveLimiterHint : 1
; COMPUTE_PGM_RSRC2:SCRATCH_EN: 0
; COMPUTE_PGM_RSRC2:USER_SGPR: 15
; COMPUTE_PGM_RSRC2:TRAP_HANDLER: 0
; COMPUTE_PGM_RSRC2:TGID_X_EN: 1
; COMPUTE_PGM_RSRC2:TGID_Y_EN: 0
; COMPUTE_PGM_RSRC2:TGID_Z_EN: 0
; COMPUTE_PGM_RSRC2:TIDIG_COMP_CNT: 0
	.section	.text._ZN9rocsparseL20bsrxmvn_17_32_kernelILj31EiliaaiEEvT2_20rocsparse_direction_NS_24const_host_device_scalarIT0_EES1_PKS1_PKT1_SA_S7_PKT3_PKT4_S5_PT5_21rocsparse_index_base_b,"axG",@progbits,_ZN9rocsparseL20bsrxmvn_17_32_kernelILj31EiliaaiEEvT2_20rocsparse_direction_NS_24const_host_device_scalarIT0_EES1_PKS1_PKT1_SA_S7_PKT3_PKT4_S5_PT5_21rocsparse_index_base_b,comdat
	.globl	_ZN9rocsparseL20bsrxmvn_17_32_kernelILj31EiliaaiEEvT2_20rocsparse_direction_NS_24const_host_device_scalarIT0_EES1_PKS1_PKT1_SA_S7_PKT3_PKT4_S5_PT5_21rocsparse_index_base_b ; -- Begin function _ZN9rocsparseL20bsrxmvn_17_32_kernelILj31EiliaaiEEvT2_20rocsparse_direction_NS_24const_host_device_scalarIT0_EES1_PKS1_PKT1_SA_S7_PKT3_PKT4_S5_PT5_21rocsparse_index_base_b
	.p2align	8
	.type	_ZN9rocsparseL20bsrxmvn_17_32_kernelILj31EiliaaiEEvT2_20rocsparse_direction_NS_24const_host_device_scalarIT0_EES1_PKS1_PKT1_SA_S7_PKT3_PKT4_S5_PT5_21rocsparse_index_base_b,@function
_ZN9rocsparseL20bsrxmvn_17_32_kernelILj31EiliaaiEEvT2_20rocsparse_direction_NS_24const_host_device_scalarIT0_EES1_PKS1_PKT1_SA_S7_PKT3_PKT4_S5_PT5_21rocsparse_index_base_b: ; @_ZN9rocsparseL20bsrxmvn_17_32_kernelILj31EiliaaiEEvT2_20rocsparse_direction_NS_24const_host_device_scalarIT0_EES1_PKS1_PKT1_SA_S7_PKT3_PKT4_S5_PT5_21rocsparse_index_base_b
; %bb.0:
	s_clause 0x1
	s_load_b64 s[10:11], s[0:1], 0x58
	s_load_b64 s[4:5], s[0:1], 0x8
	s_mov_b32 s8, s15
	s_mov_b32 s7, -1
	s_waitcnt lgkmcnt(0)
	s_bitcmp1_b32 s11, 0
                                        ; implicit-def: $sgpr11
	s_cselect_b32 s2, -1, 0
	s_delay_alu instid0(SALU_CYCLE_1) | instskip(NEXT) | instid1(SALU_CYCLE_1)
	s_xor_b32 s6, s2, -1
	s_and_b32 vcc_lo, exec_lo, s6
	s_cbranch_vccnz .LBB222_4
; %bb.1:
	s_load_b64 s[2:3], s[0:1], 0x48
	s_and_not1_b32 vcc_lo, exec_lo, s7
	s_cbranch_vccz .LBB222_5
.LBB222_2:
	s_and_b32 vcc_lo, exec_lo, s6
	s_cbranch_vccz .LBB222_6
.LBB222_3:
	s_waitcnt lgkmcnt(0)
	s_load_b32 s3, s[2:3], 0x0
	s_cbranch_execz .LBB222_7
	s_branch .LBB222_8
.LBB222_4:
	s_load_b32 s11, s[4:5], 0x0
	s_load_b64 s[2:3], s[0:1], 0x48
	s_cbranch_execnz .LBB222_2
.LBB222_5:
	s_waitcnt lgkmcnt(0)
	s_mov_b32 s11, s4
	s_and_b32 vcc_lo, exec_lo, s6
	s_cbranch_vccnz .LBB222_3
.LBB222_6:
                                        ; implicit-def: $sgpr3
.LBB222_7:
	s_waitcnt lgkmcnt(0)
	s_mov_b32 s3, s2
.LBB222_8:
	s_waitcnt lgkmcnt(0)
	s_cmp_lg_u32 s11, 0
	s_cselect_b32 s2, -1, 0
	s_cmp_lg_u32 s3, 1
	s_cselect_b32 s4, -1, 0
	s_delay_alu instid0(SALU_CYCLE_1) | instskip(NEXT) | instid1(SALU_CYCLE_1)
	s_or_b32 s2, s2, s4
	s_and_not1_b32 vcc_lo, exec_lo, s2
	s_cbranch_vccnz .LBB222_46
; %bb.9:
	s_clause 0x1
	s_load_b128 s[4:7], s[0:1], 0x18
	s_load_b64 s[12:13], s[0:1], 0x28
	s_waitcnt lgkmcnt(0)
	s_cmp_eq_u64 s[4:5], 0
	s_cbranch_scc1 .LBB222_11
; %bb.10:
	s_ashr_i32 s9, s8, 31
	s_delay_alu instid0(SALU_CYCLE_1) | instskip(NEXT) | instid1(SALU_CYCLE_1)
	s_lshl_b64 s[8:9], s[8:9], 2
	s_add_u32 s4, s4, s8
	s_addc_u32 s5, s5, s9
	s_load_b32 s2, s[4:5], 0x0
	s_waitcnt lgkmcnt(0)
	s_sub_i32 s8, s2, s10
.LBB222_11:
	s_load_b32 s4, s[0:1], 0x4
	v_mul_u32_u24_e32 v1, 0x843, v0
	v_mov_b32_e32 v6, 0
	s_delay_alu instid0(VALU_DEP_2) | instskip(NEXT) | instid1(VALU_DEP_1)
	v_lshrrev_b32_e32 v1, 16, v1
	v_mul_lo_u16 v2, v1, 31
	s_delay_alu instid0(VALU_DEP_1)
	v_sub_nc_u16 v7, v0, v2
	s_waitcnt lgkmcnt(0)
	s_cmp_eq_u32 s4, 1
	s_cselect_b32 s2, -1, 0
	s_cmp_lg_u32 s4, 1
	s_cselect_b32 s16, -1, 0
	s_ashr_i32 s9, s8, 31
	s_delay_alu instid0(SALU_CYCLE_1) | instskip(NEXT) | instid1(SALU_CYCLE_1)
	s_lshl_b64 s[4:5], s[8:9], 3
	s_add_u32 s6, s6, s4
	s_addc_u32 s7, s7, s5
	s_add_u32 s9, s6, 8
	s_addc_u32 s14, s7, 0
	;; [unrolled: 2-line block ×3, first 2 shown]
	s_cmp_eq_u64 s[12:13], 0
	s_cselect_b32 s5, s14, s5
	s_cselect_b32 s4, s9, s4
	s_load_b64 s[14:15], s[6:7], 0x0
	s_load_b64 s[6:7], s[4:5], 0x0
	;; [unrolled: 1-line block ×3, first 2 shown]
	s_waitcnt lgkmcnt(0)
	v_cmp_ge_i64_e64 s9, s[14:15], s[6:7]
	s_delay_alu instid0(VALU_DEP_1)
	s_and_b32 vcc_lo, exec_lo, s9
	s_cbranch_vccnz .LBB222_16
; %bb.12:
	v_dual_mov_b32 v6, 0 :: v_dual_and_b32 v1, 0xffff, v1
	v_cmp_lt_u32_e32 vcc_lo, 0x3c0, v0
	s_clause 0x1
	s_load_b128 s[20:23], s[0:1], 0x30
	s_load_b64 s[0:1], s[0:1], 0x40
	v_subrev_nc_u32_e32 v3, 31, v1
	s_sub_u32 s6, s6, s10
	v_cndmask_b32_e64 v8, 0, 1, vcc_lo
	v_cmp_gt_u32_e32 vcc_lo, 0x3c1, v0
	v_and_b32_e32 v2, 0xffff, v7
	s_subb_u32 s7, s7, 0
	s_sub_u32 s12, s14, s10
	s_subb_u32 s13, s15, 0
	v_cndmask_b32_e32 v1, v3, v1, vcc_lo
	s_mul_i32 s9, s13, 0x3c1
	s_delay_alu instid0(VALU_DEP_1) | instskip(SKIP_1) | instid1(VALU_DEP_1)
	v_cndmask_b32_e64 v1, v2, v1, s2
	v_add_co_u32 v2, s2, s14, v8
	v_add_co_ci_u32_e64 v3, null, s15, 0, s2
	s_mul_hi_u32 s2, s12, 0x3c1
	s_delay_alu instid0(VALU_DEP_2) | instskip(NEXT) | instid1(VALU_DEP_2)
	v_sub_co_u32 v2, vcc_lo, v2, s10
	v_subrev_co_ci_u32_e32 v3, vcc_lo, 0, v3, vcc_lo
	s_mul_i32 s14, s12, 0x3c1
	s_add_i32 s2, s2, s9
	s_waitcnt lgkmcnt(0)
	s_add_u32 s9, s22, s14
	v_lshlrev_b64 v[4:5], 2, v[2:3]
	s_addc_u32 s2, s23, s2
	v_add_co_u32 v2, s9, s9, v0
	s_delay_alu instid0(VALU_DEP_1) | instskip(NEXT) | instid1(VALU_DEP_3)
	v_add_co_ci_u32_e64 v3, null, s2, 0, s9
	v_add_co_u32 v4, vcc_lo, s20, v4
	s_delay_alu instid0(VALU_DEP_4)
	v_add_co_ci_u32_e32 v5, vcc_lo, s21, v5, vcc_lo
	s_set_inst_prefetch_distance 0x1
	s_branch .LBB222_14
	.p2align	6
.LBB222_13:                             ;   in Loop: Header=BB222_14 Depth=1
	s_or_b32 exec_lo, exec_lo, s2
	s_add_u32 s12, s12, 1
	s_addc_u32 s13, s13, 0
	v_add_co_u32 v4, vcc_lo, v4, 4
	v_cmp_lt_i64_e64 s2, s[12:13], s[6:7]
	v_add_co_ci_u32_e32 v5, vcc_lo, 0, v5, vcc_lo
	s_delay_alu instid0(VALU_DEP_2)
	s_and_b32 vcc_lo, exec_lo, s2
	s_cbranch_vccz .LBB222_16
.LBB222_14:                             ; =>This Inner Loop Header: Depth=1
	v_add_co_u32 v9, s2, v8, s12
	s_delay_alu instid0(VALU_DEP_1) | instskip(SKIP_1) | instid1(VALU_DEP_1)
	v_add_co_ci_u32_e64 v10, null, 0, s13, s2
	s_mov_b32 s2, exec_lo
	v_cmpx_gt_i64_e64 s[6:7], v[9:10]
	s_cbranch_execz .LBB222_13
; %bb.15:                               ;   in Loop: Header=BB222_14 Depth=1
	global_load_b32 v9, v[4:5], off
	s_waitcnt vmcnt(0)
	v_subrev_nc_u32_e32 v11, s10, v9
	s_delay_alu instid0(VALU_DEP_1) | instskip(NEXT) | instid1(VALU_DEP_1)
	v_mad_u64_u32 v[9:10], null, v11, 31, v[1:2]
	v_ashrrev_i32_e32 v10, 31, v9
	v_add_co_u32 v9, vcc_lo, s0, v9
	s_delay_alu instid0(VALU_DEP_2)
	v_add_co_ci_u32_e32 v10, vcc_lo, s1, v10, vcc_lo
	global_load_i8 v11, v[2:3], off
	global_load_i8 v9, v[9:10], off
	v_add_co_u32 v2, vcc_lo, 0x3c1, v2
	v_add_co_ci_u32_e32 v3, vcc_lo, 0, v3, vcc_lo
	s_waitcnt vmcnt(0)
	v_mad_i32_i24 v6, v9, v11, v6
	s_branch .LBB222_13
.LBB222_16:
	s_set_inst_prefetch_distance 0x2
	v_lshlrev_b32_e32 v1, 2, v0
	s_and_b32 vcc_lo, exec_lo, s16
	ds_store_b32 v1, v6
	s_waitcnt lgkmcnt(0)
	s_barrier
	buffer_gl0_inv
	s_cbranch_vccz .LBB222_28
; %bb.17:
	s_mov_b32 s0, exec_lo
	v_cmpx_gt_u16_e32 15, v7
	s_cbranch_execz .LBB222_19
; %bb.18:
	ds_load_2addr_b32 v[2:3], v1 offset1:16
	s_waitcnt lgkmcnt(0)
	v_add_nc_u32_e32 v2, v2, v3
	ds_store_b32 v1, v2
.LBB222_19:
	s_or_b32 exec_lo, exec_lo, s0
	s_delay_alu instid0(SALU_CYCLE_1)
	s_mov_b32 s0, exec_lo
	s_waitcnt lgkmcnt(0)
	s_barrier
	buffer_gl0_inv
	v_cmpx_gt_u16_e32 8, v7
	s_cbranch_execz .LBB222_21
; %bb.20:
	ds_load_2addr_b32 v[2:3], v1 offset1:8
	s_waitcnt lgkmcnt(0)
	v_add_nc_u32_e32 v2, v2, v3
	ds_store_b32 v1, v2
.LBB222_21:
	s_or_b32 exec_lo, exec_lo, s0
	s_delay_alu instid0(SALU_CYCLE_1)
	s_mov_b32 s0, exec_lo
	s_waitcnt lgkmcnt(0)
	s_barrier
	buffer_gl0_inv
	;; [unrolled: 14-line block ×3, first 2 shown]
	v_cmpx_gt_u16_e32 2, v7
	s_cbranch_execz .LBB222_25
; %bb.24:
	ds_load_2addr_b32 v[2:3], v1 offset1:2
	s_waitcnt lgkmcnt(0)
	v_add_nc_u32_e32 v2, v2, v3
	ds_store_b32 v1, v2
.LBB222_25:
	s_or_b32 exec_lo, exec_lo, s0
	s_mov_b32 s1, 0
	s_mov_b32 s0, 0
	s_mov_b32 s2, exec_lo
	s_waitcnt lgkmcnt(0)
	s_barrier
	buffer_gl0_inv
                                        ; implicit-def: $vgpr2
                                        ; implicit-def: $vgpr3
	v_cmpx_gt_u32_e32 31, v0
	s_xor_b32 s2, exec_lo, s2
; %bb.26:
	v_mul_u32_u24_e32 v3, 31, v0
	v_mad_u32_u24 v2, v0, 31, 1
	s_mov_b32 s0, exec_lo
	s_delay_alu instid0(VALU_DEP_2)
	v_lshlrev_b32_e32 v3, 2, v3
; %bb.27:
	s_or_b32 exec_lo, exec_lo, s2
	s_delay_alu instid0(SALU_CYCLE_1)
	s_and_b32 vcc_lo, exec_lo, s1
	s_cbranch_vccnz .LBB222_29
	s_branch .LBB222_40
.LBB222_28:
	s_mov_b32 s0, 0
                                        ; implicit-def: $vgpr2
                                        ; implicit-def: $vgpr3
	s_cbranch_execz .LBB222_40
.LBB222_29:
	s_mov_b32 s1, exec_lo
	v_cmpx_gt_u32_e32 0x1d1, v0
	s_cbranch_execz .LBB222_31
; %bb.30:
	ds_load_b32 v2, v1 offset:1984
	ds_load_b32 v3, v1
	s_waitcnt lgkmcnt(0)
	v_add_nc_u32_e32 v2, v3, v2
	ds_store_b32 v1, v2
.LBB222_31:
	s_or_b32 exec_lo, exec_lo, s1
	s_delay_alu instid0(SALU_CYCLE_1)
	s_mov_b32 s1, exec_lo
	s_waitcnt lgkmcnt(0)
	s_barrier
	buffer_gl0_inv
	v_cmpx_gt_u32_e32 0xf8, v0
	s_cbranch_execz .LBB222_33
; %bb.32:
	ds_load_2addr_b32 v[2:3], v1 offset1:248
	s_waitcnt lgkmcnt(0)
	v_add_nc_u32_e32 v2, v2, v3
	ds_store_b32 v1, v2
.LBB222_33:
	s_or_b32 exec_lo, exec_lo, s1
	s_delay_alu instid0(SALU_CYCLE_1)
	s_mov_b32 s1, exec_lo
	s_waitcnt lgkmcnt(0)
	s_barrier
	buffer_gl0_inv
	v_cmpx_gt_u32_e32 0x7c, v0
	s_cbranch_execz .LBB222_35
; %bb.34:
	ds_load_2addr_b32 v[2:3], v1 offset1:124
	s_waitcnt lgkmcnt(0)
	v_add_nc_u32_e32 v2, v2, v3
	ds_store_b32 v1, v2
.LBB222_35:
	;; [unrolled: 14-line block ×3, first 2 shown]
	s_or_b32 exec_lo, exec_lo, s1
	s_delay_alu instid0(SALU_CYCLE_1)
	s_mov_b32 s1, exec_lo
	s_waitcnt lgkmcnt(0)
	buffer_gl0_inv
                                        ; implicit-def: $vgpr2
	v_cmpx_gt_u32_e32 31, v0
; %bb.38:
	v_add_nc_u32_e32 v2, 31, v0
	s_or_b32 s0, s0, exec_lo
                                        ; implicit-def: $vgpr6
; %bb.39:
	s_or_b32 exec_lo, exec_lo, s1
	v_mov_b32_e32 v3, v1
.LBB222_40:
	s_and_saveexec_b32 s1, s0
	s_cbranch_execz .LBB222_42
; %bb.41:
	v_lshlrev_b32_e32 v1, 2, v2
	ds_load_b32 v2, v3
	ds_load_b32 v1, v1
	s_waitcnt lgkmcnt(0)
	v_add_nc_u32_e32 v6, v1, v2
.LBB222_42:
	s_or_b32 exec_lo, exec_lo, s1
	s_delay_alu instid0(SALU_CYCLE_1)
	s_mov_b32 s0, exec_lo
	v_cmpx_gt_u32_e32 31, v0
	s_cbranch_execz .LBB222_46
; %bb.43:
	v_mul_lo_u32 v1, v6, s11
	s_cmp_eq_u32 s3, 0
	s_mov_b32 s0, 0
	s_cbranch_scc1 .LBB222_47
; %bb.44:
	s_delay_alu instid0(VALU_DEP_1) | instskip(SKIP_1) | instid1(VALU_DEP_1)
	v_mad_u64_u32 v[2:3], null, s8, 31, v[0:1]
	v_mov_b32_e32 v3, 0
	v_lshlrev_b64 v[2:3], 2, v[2:3]
	s_delay_alu instid0(VALU_DEP_1) | instskip(NEXT) | instid1(VALU_DEP_2)
	v_add_co_u32 v2, vcc_lo, s4, v2
	v_add_co_ci_u32_e32 v3, vcc_lo, s5, v3, vcc_lo
	global_load_b32 v6, v[2:3], off
	s_waitcnt vmcnt(0)
	v_mad_u64_u32 v[4:5], null, v6, s3, v[1:2]
	global_store_b32 v[2:3], v4, off
	s_and_not1_b32 vcc_lo, exec_lo, s0
	s_cbranch_vccnz .LBB222_46
.LBB222_45:
	s_delay_alu instid0(VALU_DEP_1) | instskip(SKIP_1) | instid1(VALU_DEP_1)
	v_mad_u64_u32 v[2:3], null, s8, 31, v[0:1]
	v_mov_b32_e32 v3, 0
	v_lshlrev_b64 v[2:3], 2, v[2:3]
	s_delay_alu instid0(VALU_DEP_1) | instskip(NEXT) | instid1(VALU_DEP_2)
	v_add_co_u32 v2, vcc_lo, s4, v2
	v_add_co_ci_u32_e32 v3, vcc_lo, s5, v3, vcc_lo
	global_store_b32 v[2:3], v1, off
.LBB222_46:
	s_nop 0
	s_sendmsg sendmsg(MSG_DEALLOC_VGPRS)
	s_endpgm
.LBB222_47:
	s_branch .LBB222_45
	.section	.rodata,"a",@progbits
	.p2align	6, 0x0
	.amdhsa_kernel _ZN9rocsparseL20bsrxmvn_17_32_kernelILj31EiliaaiEEvT2_20rocsparse_direction_NS_24const_host_device_scalarIT0_EES1_PKS1_PKT1_SA_S7_PKT3_PKT4_S5_PT5_21rocsparse_index_base_b
		.amdhsa_group_segment_fixed_size 3844
		.amdhsa_private_segment_fixed_size 0
		.amdhsa_kernarg_size 96
		.amdhsa_user_sgpr_count 15
		.amdhsa_user_sgpr_dispatch_ptr 0
		.amdhsa_user_sgpr_queue_ptr 0
		.amdhsa_user_sgpr_kernarg_segment_ptr 1
		.amdhsa_user_sgpr_dispatch_id 0
		.amdhsa_user_sgpr_private_segment_size 0
		.amdhsa_wavefront_size32 1
		.amdhsa_uses_dynamic_stack 0
		.amdhsa_enable_private_segment 0
		.amdhsa_system_sgpr_workgroup_id_x 1
		.amdhsa_system_sgpr_workgroup_id_y 0
		.amdhsa_system_sgpr_workgroup_id_z 0
		.amdhsa_system_sgpr_workgroup_info 0
		.amdhsa_system_vgpr_workitem_id 0
		.amdhsa_next_free_vgpr 12
		.amdhsa_next_free_sgpr 24
		.amdhsa_reserve_vcc 1
		.amdhsa_float_round_mode_32 0
		.amdhsa_float_round_mode_16_64 0
		.amdhsa_float_denorm_mode_32 3
		.amdhsa_float_denorm_mode_16_64 3
		.amdhsa_dx10_clamp 1
		.amdhsa_ieee_mode 1
		.amdhsa_fp16_overflow 0
		.amdhsa_workgroup_processor_mode 1
		.amdhsa_memory_ordered 1
		.amdhsa_forward_progress 0
		.amdhsa_shared_vgpr_count 0
		.amdhsa_exception_fp_ieee_invalid_op 0
		.amdhsa_exception_fp_denorm_src 0
		.amdhsa_exception_fp_ieee_div_zero 0
		.amdhsa_exception_fp_ieee_overflow 0
		.amdhsa_exception_fp_ieee_underflow 0
		.amdhsa_exception_fp_ieee_inexact 0
		.amdhsa_exception_int_div_zero 0
	.end_amdhsa_kernel
	.section	.text._ZN9rocsparseL20bsrxmvn_17_32_kernelILj31EiliaaiEEvT2_20rocsparse_direction_NS_24const_host_device_scalarIT0_EES1_PKS1_PKT1_SA_S7_PKT3_PKT4_S5_PT5_21rocsparse_index_base_b,"axG",@progbits,_ZN9rocsparseL20bsrxmvn_17_32_kernelILj31EiliaaiEEvT2_20rocsparse_direction_NS_24const_host_device_scalarIT0_EES1_PKS1_PKT1_SA_S7_PKT3_PKT4_S5_PT5_21rocsparse_index_base_b,comdat
.Lfunc_end222:
	.size	_ZN9rocsparseL20bsrxmvn_17_32_kernelILj31EiliaaiEEvT2_20rocsparse_direction_NS_24const_host_device_scalarIT0_EES1_PKS1_PKT1_SA_S7_PKT3_PKT4_S5_PT5_21rocsparse_index_base_b, .Lfunc_end222-_ZN9rocsparseL20bsrxmvn_17_32_kernelILj31EiliaaiEEvT2_20rocsparse_direction_NS_24const_host_device_scalarIT0_EES1_PKS1_PKT1_SA_S7_PKT3_PKT4_S5_PT5_21rocsparse_index_base_b
                                        ; -- End function
	.section	.AMDGPU.csdata,"",@progbits
; Kernel info:
; codeLenInByte = 1656
; NumSgprs: 26
; NumVgprs: 12
; ScratchSize: 0
; MemoryBound: 0
; FloatMode: 240
; IeeeMode: 1
; LDSByteSize: 3844 bytes/workgroup (compile time only)
; SGPRBlocks: 3
; VGPRBlocks: 1
; NumSGPRsForWavesPerEU: 26
; NumVGPRsForWavesPerEU: 12
; Occupancy: 16
; WaveLimiterHint : 1
; COMPUTE_PGM_RSRC2:SCRATCH_EN: 0
; COMPUTE_PGM_RSRC2:USER_SGPR: 15
; COMPUTE_PGM_RSRC2:TRAP_HANDLER: 0
; COMPUTE_PGM_RSRC2:TGID_X_EN: 1
; COMPUTE_PGM_RSRC2:TGID_Y_EN: 0
; COMPUTE_PGM_RSRC2:TGID_Z_EN: 0
; COMPUTE_PGM_RSRC2:TIDIG_COMP_CNT: 0
	.section	.text._ZN9rocsparseL20bsrxmvn_17_32_kernelILj32EiliaaiEEvT2_20rocsparse_direction_NS_24const_host_device_scalarIT0_EES1_PKS1_PKT1_SA_S7_PKT3_PKT4_S5_PT5_21rocsparse_index_base_b,"axG",@progbits,_ZN9rocsparseL20bsrxmvn_17_32_kernelILj32EiliaaiEEvT2_20rocsparse_direction_NS_24const_host_device_scalarIT0_EES1_PKS1_PKT1_SA_S7_PKT3_PKT4_S5_PT5_21rocsparse_index_base_b,comdat
	.globl	_ZN9rocsparseL20bsrxmvn_17_32_kernelILj32EiliaaiEEvT2_20rocsparse_direction_NS_24const_host_device_scalarIT0_EES1_PKS1_PKT1_SA_S7_PKT3_PKT4_S5_PT5_21rocsparse_index_base_b ; -- Begin function _ZN9rocsparseL20bsrxmvn_17_32_kernelILj32EiliaaiEEvT2_20rocsparse_direction_NS_24const_host_device_scalarIT0_EES1_PKS1_PKT1_SA_S7_PKT3_PKT4_S5_PT5_21rocsparse_index_base_b
	.p2align	8
	.type	_ZN9rocsparseL20bsrxmvn_17_32_kernelILj32EiliaaiEEvT2_20rocsparse_direction_NS_24const_host_device_scalarIT0_EES1_PKS1_PKT1_SA_S7_PKT3_PKT4_S5_PT5_21rocsparse_index_base_b,@function
_ZN9rocsparseL20bsrxmvn_17_32_kernelILj32EiliaaiEEvT2_20rocsparse_direction_NS_24const_host_device_scalarIT0_EES1_PKS1_PKT1_SA_S7_PKT3_PKT4_S5_PT5_21rocsparse_index_base_b: ; @_ZN9rocsparseL20bsrxmvn_17_32_kernelILj32EiliaaiEEvT2_20rocsparse_direction_NS_24const_host_device_scalarIT0_EES1_PKS1_PKT1_SA_S7_PKT3_PKT4_S5_PT5_21rocsparse_index_base_b
; %bb.0:
	s_clause 0x1
	s_load_b64 s[10:11], s[0:1], 0x58
	s_load_b64 s[4:5], s[0:1], 0x8
	s_mov_b32 s8, s15
	s_mov_b32 s7, -1
                                        ; implicit-def: $sgpr16
	s_waitcnt lgkmcnt(0)
	s_bitcmp1_b32 s11, 0
	s_cselect_b32 s2, -1, 0
	s_delay_alu instid0(SALU_CYCLE_1) | instskip(NEXT) | instid1(SALU_CYCLE_1)
	s_xor_b32 s6, s2, -1
	s_and_b32 vcc_lo, exec_lo, s6
	s_cbranch_vccnz .LBB223_4
; %bb.1:
	s_load_b64 s[2:3], s[0:1], 0x48
	s_and_not1_b32 vcc_lo, exec_lo, s7
	s_cbranch_vccz .LBB223_5
.LBB223_2:
	s_and_b32 vcc_lo, exec_lo, s6
	s_cbranch_vccz .LBB223_6
.LBB223_3:
	s_waitcnt lgkmcnt(0)
	s_load_b32 s17, s[2:3], 0x0
	s_cbranch_execz .LBB223_7
	s_branch .LBB223_8
.LBB223_4:
	s_load_b32 s16, s[4:5], 0x0
	s_load_b64 s[2:3], s[0:1], 0x48
	s_cbranch_execnz .LBB223_2
.LBB223_5:
	s_waitcnt lgkmcnt(0)
	s_mov_b32 s16, s4
	s_and_b32 vcc_lo, exec_lo, s6
	s_cbranch_vccnz .LBB223_3
.LBB223_6:
	s_waitcnt lgkmcnt(0)
                                        ; implicit-def: $sgpr17
.LBB223_7:
	s_waitcnt lgkmcnt(0)
	s_mov_b32 s17, s2
.LBB223_8:
	s_cmp_lg_u32 s16, 0
	s_cselect_b32 s2, -1, 0
	s_waitcnt lgkmcnt(0)
	s_cmp_lg_u32 s17, 1
	s_cselect_b32 s3, -1, 0
	s_delay_alu instid0(SALU_CYCLE_1) | instskip(NEXT) | instid1(SALU_CYCLE_1)
	s_or_b32 s2, s2, s3
	s_and_not1_b32 vcc_lo, exec_lo, s2
	s_cbranch_vccnz .LBB223_44
; %bb.9:
	s_clause 0x1
	s_load_b128 s[4:7], s[0:1], 0x18
	s_load_b64 s[12:13], s[0:1], 0x28
	s_waitcnt lgkmcnt(0)
	s_cmp_eq_u64 s[4:5], 0
	s_cbranch_scc1 .LBB223_11
; %bb.10:
	s_ashr_i32 s9, s8, 31
	s_delay_alu instid0(SALU_CYCLE_1) | instskip(NEXT) | instid1(SALU_CYCLE_1)
	s_lshl_b64 s[2:3], s[8:9], 2
	s_add_u32 s2, s4, s2
	s_addc_u32 s3, s5, s3
	s_load_b32 s2, s[2:3], 0x0
	s_waitcnt lgkmcnt(0)
	s_sub_i32 s8, s2, s10
.LBB223_11:
	s_load_b32 s3, s[0:1], 0x4
	v_dual_mov_b32 v3, 0 :: v_dual_and_b32 v4, 31, v0
	s_waitcnt lgkmcnt(0)
	s_cmp_eq_u32 s3, 1
	s_cselect_b32 s2, -1, 0
	s_cmp_lg_u32 s3, 1
	s_cselect_b32 s18, -1, 0
	s_ashr_i32 s9, s8, 31
	s_delay_alu instid0(SALU_CYCLE_1) | instskip(NEXT) | instid1(SALU_CYCLE_1)
	s_lshl_b64 s[4:5], s[8:9], 3
	s_add_u32 s6, s6, s4
	s_addc_u32 s7, s7, s5
	s_add_u32 s3, s6, 8
	s_addc_u32 s9, s7, 0
	;; [unrolled: 2-line block ×3, first 2 shown]
	s_cmp_eq_u64 s[12:13], 0
	s_cselect_b32 s5, s9, s5
	s_cselect_b32 s4, s3, s4
	s_load_b64 s[14:15], s[6:7], 0x0
	s_load_b64 s[6:7], s[4:5], 0x0
	;; [unrolled: 1-line block ×3, first 2 shown]
	s_waitcnt lgkmcnt(0)
	v_cmp_ge_i64_e64 s3, s[14:15], s[6:7]
	s_delay_alu instid0(VALU_DEP_1)
	s_and_b32 vcc_lo, exec_lo, s3
	s_cbranch_vccnz .LBB223_14
; %bb.12:
	s_clause 0x1
	s_load_b128 s[20:23], s[0:1], 0x30
	s_load_b64 s[0:1], s[0:1], 0x40
	s_sub_u32 s6, s6, s10
	s_subb_u32 s7, s7, 0
	s_sub_u32 s12, s14, s10
	s_subb_u32 s13, s15, 0
	v_lshrrev_b32_e32 v1, 5, v0
	s_lshl_b64 s[24:25], s[12:13], 10
	s_mov_b32 s11, 0
	v_or_b32_e32 v2, s24, v0
	v_mov_b32_e32 v3, s25
	s_lshl_b64 s[14:15], s[14:15], 2
	s_lshl_b64 s[26:27], s[10:11], 2
	v_cndmask_b32_e64 v5, v4, v1, s2
	s_sub_u32 s2, s14, s26
	s_subb_u32 s3, s15, s27
	s_waitcnt lgkmcnt(0)
	v_add_co_u32 v1, vcc_lo, s22, v2
	v_add_co_ci_u32_e32 v2, vcc_lo, s23, v3, vcc_lo
	v_mov_b32_e32 v3, 0
	s_add_u32 s2, s20, s2
	s_addc_u32 s3, s21, s3
	.p2align	6
.LBB223_13:                             ; =>This Inner Loop Header: Depth=1
	s_load_b32 s9, s[2:3], 0x0
	s_waitcnt lgkmcnt(0)
	s_sub_i32 s9, s9, s10
	s_add_u32 s12, s12, 1
	v_lshl_or_b32 v6, s9, 5, v5
	s_addc_u32 s13, s13, 0
	s_add_u32 s2, s2, 4
	v_cmp_lt_i64_e64 s9, s[12:13], s[6:7]
	s_addc_u32 s3, s3, 0
	v_ashrrev_i32_e32 v7, 31, v6
	v_add_co_u32 v6, vcc_lo, s0, v6
	s_delay_alu instid0(VALU_DEP_2)
	v_add_co_ci_u32_e32 v7, vcc_lo, s1, v7, vcc_lo
	global_load_i8 v8, v[1:2], off
	global_load_i8 v6, v[6:7], off
	v_add_co_u32 v1, vcc_lo, 0x400, v1
	v_add_co_ci_u32_e32 v2, vcc_lo, 0, v2, vcc_lo
	s_and_b32 vcc_lo, exec_lo, s9
	s_waitcnt vmcnt(0)
	v_mad_i32_i24 v3, v6, v8, v3
	s_cbranch_vccnz .LBB223_13
.LBB223_14:
	v_lshlrev_b32_e32 v1, 2, v0
	s_and_b32 vcc_lo, exec_lo, s18
	ds_store_b32 v1, v3
	s_waitcnt lgkmcnt(0)
	s_barrier
	buffer_gl0_inv
	s_cbranch_vccz .LBB223_26
; %bb.15:
	s_mov_b32 s0, exec_lo
	v_cmpx_gt_u32_e32 16, v4
	s_cbranch_execz .LBB223_17
; %bb.16:
	ds_load_2addr_b32 v[5:6], v1 offset1:16
	s_waitcnt lgkmcnt(0)
	v_add_nc_u32_e32 v2, v5, v6
	ds_store_b32 v1, v2
.LBB223_17:
	s_or_b32 exec_lo, exec_lo, s0
	s_delay_alu instid0(SALU_CYCLE_1)
	s_mov_b32 s0, exec_lo
	s_waitcnt lgkmcnt(0)
	s_barrier
	buffer_gl0_inv
	v_cmpx_gt_u32_e32 8, v4
	s_cbranch_execz .LBB223_19
; %bb.18:
	ds_load_2addr_b32 v[5:6], v1 offset1:8
	s_waitcnt lgkmcnt(0)
	v_add_nc_u32_e32 v2, v5, v6
	ds_store_b32 v1, v2
.LBB223_19:
	s_or_b32 exec_lo, exec_lo, s0
	s_delay_alu instid0(SALU_CYCLE_1)
	s_mov_b32 s0, exec_lo
	s_waitcnt lgkmcnt(0)
	s_barrier
	buffer_gl0_inv
	;; [unrolled: 14-line block ×3, first 2 shown]
	v_cmpx_gt_u32_e32 2, v4
	s_cbranch_execz .LBB223_23
; %bb.22:
	ds_load_2addr_b32 v[4:5], v1 offset1:2
	s_waitcnt lgkmcnt(0)
	v_add_nc_u32_e32 v2, v4, v5
	ds_store_b32 v1, v2
.LBB223_23:
	s_or_b32 exec_lo, exec_lo, s0
	s_mov_b32 s1, 0
	s_mov_b32 s0, 0
	s_mov_b32 s2, exec_lo
	s_waitcnt lgkmcnt(0)
	s_barrier
	buffer_gl0_inv
                                        ; implicit-def: $vgpr2
                                        ; implicit-def: $vgpr4
	v_cmpx_gt_u32_e32 32, v0
	s_xor_b32 s2, exec_lo, s2
; %bb.24:
	v_lshl_or_b32 v2, v0, 5, 1
	v_lshlrev_b32_e32 v4, 7, v0
	s_mov_b32 s0, exec_lo
; %bb.25:
	s_or_b32 exec_lo, exec_lo, s2
	s_delay_alu instid0(SALU_CYCLE_1)
	s_and_b32 vcc_lo, exec_lo, s1
	s_cbranch_vccnz .LBB223_27
	s_branch .LBB223_38
.LBB223_26:
	s_mov_b32 s0, 0
                                        ; implicit-def: $vgpr2
                                        ; implicit-def: $vgpr4
	s_cbranch_execz .LBB223_38
.LBB223_27:
	s_mov_b32 s1, exec_lo
	v_cmpx_gt_u32_e32 0x200, v0
	s_cbranch_execz .LBB223_29
; %bb.28:
	ds_load_2addr_stride64_b32 v[4:5], v1 offset1:8
	s_waitcnt lgkmcnt(0)
	v_add_nc_u32_e32 v2, v4, v5
	ds_store_b32 v1, v2
.LBB223_29:
	s_or_b32 exec_lo, exec_lo, s1
	s_delay_alu instid0(SALU_CYCLE_1)
	s_mov_b32 s1, exec_lo
	s_waitcnt lgkmcnt(0)
	s_barrier
	buffer_gl0_inv
	v_cmpx_gt_u32_e32 0x100, v0
	s_cbranch_execz .LBB223_31
; %bb.30:
	ds_load_2addr_stride64_b32 v[4:5], v1 offset1:4
	s_waitcnt lgkmcnt(0)
	v_add_nc_u32_e32 v2, v4, v5
	ds_store_b32 v1, v2
.LBB223_31:
	s_or_b32 exec_lo, exec_lo, s1
	s_delay_alu instid0(SALU_CYCLE_1)
	s_mov_b32 s1, exec_lo
	s_waitcnt lgkmcnt(0)
	s_barrier
	buffer_gl0_inv
	v_cmpx_gt_u32_e32 0x80, v0
	s_cbranch_execz .LBB223_33
; %bb.32:
	ds_load_2addr_stride64_b32 v[4:5], v1 offset1:2
	s_waitcnt lgkmcnt(0)
	v_add_nc_u32_e32 v2, v4, v5
	ds_store_b32 v1, v2
.LBB223_33:
	s_or_b32 exec_lo, exec_lo, s1
	s_delay_alu instid0(SALU_CYCLE_1)
	s_mov_b32 s1, exec_lo
	s_waitcnt lgkmcnt(0)
	s_barrier
	buffer_gl0_inv
	v_cmpx_gt_u32_e32 64, v0
	s_cbranch_execz .LBB223_35
; %bb.34:
	ds_load_2addr_stride64_b32 v[4:5], v1 offset1:1
	s_waitcnt lgkmcnt(0)
	v_add_nc_u32_e32 v2, v4, v5
	ds_store_b32 v1, v2
.LBB223_35:
	s_or_b32 exec_lo, exec_lo, s1
	s_delay_alu instid0(SALU_CYCLE_1)
	s_mov_b32 s1, exec_lo
	s_waitcnt lgkmcnt(0)
	buffer_gl0_inv
                                        ; implicit-def: $vgpr2
	v_cmpx_gt_u32_e32 32, v0
; %bb.36:
	v_or_b32_e32 v2, 32, v0
	s_or_b32 s0, s0, exec_lo
                                        ; implicit-def: $vgpr3
; %bb.37:
	s_or_b32 exec_lo, exec_lo, s1
	v_mov_b32_e32 v4, v1
.LBB223_38:
	s_and_saveexec_b32 s1, s0
	s_cbranch_execz .LBB223_40
; %bb.39:
	v_lshlrev_b32_e32 v1, 2, v2
	ds_load_b32 v2, v4
	ds_load_b32 v1, v1
	s_waitcnt lgkmcnt(0)
	v_add_nc_u32_e32 v3, v1, v2
.LBB223_40:
	s_or_b32 exec_lo, exec_lo, s1
	s_delay_alu instid0(SALU_CYCLE_1)
	s_mov_b32 s0, exec_lo
	v_cmpx_gt_u32_e32 32, v0
	s_cbranch_execz .LBB223_44
; %bb.41:
	v_mul_lo_u32 v1, v3, s16
	v_lshl_or_b32 v2, s8, 5, v0
	s_cmp_eq_u32 s17, 0
	s_mov_b32 s0, 0
	s_cbranch_scc1 .LBB223_45
; %bb.42:
	v_mov_b32_e32 v3, 0
	s_delay_alu instid0(VALU_DEP_1) | instskip(NEXT) | instid1(VALU_DEP_1)
	v_lshlrev_b64 v[3:4], 2, v[2:3]
	v_add_co_u32 v3, vcc_lo, s4, v3
	s_delay_alu instid0(VALU_DEP_2)
	v_add_co_ci_u32_e32 v4, vcc_lo, s5, v4, vcc_lo
	global_load_b32 v0, v[3:4], off
	s_waitcnt vmcnt(0)
	v_mad_u64_u32 v[5:6], null, v0, s17, v[1:2]
	global_store_b32 v[3:4], v5, off
	s_and_not1_b32 vcc_lo, exec_lo, s0
	s_cbranch_vccnz .LBB223_44
.LBB223_43:
	v_mov_b32_e32 v3, 0
	s_delay_alu instid0(VALU_DEP_1) | instskip(NEXT) | instid1(VALU_DEP_1)
	v_lshlrev_b64 v[2:3], 2, v[2:3]
	v_add_co_u32 v2, vcc_lo, s4, v2
	s_delay_alu instid0(VALU_DEP_2)
	v_add_co_ci_u32_e32 v3, vcc_lo, s5, v3, vcc_lo
	global_store_b32 v[2:3], v1, off
.LBB223_44:
	s_nop 0
	s_sendmsg sendmsg(MSG_DEALLOC_VGPRS)
	s_endpgm
.LBB223_45:
	s_branch .LBB223_43
	.section	.rodata,"a",@progbits
	.p2align	6, 0x0
	.amdhsa_kernel _ZN9rocsparseL20bsrxmvn_17_32_kernelILj32EiliaaiEEvT2_20rocsparse_direction_NS_24const_host_device_scalarIT0_EES1_PKS1_PKT1_SA_S7_PKT3_PKT4_S5_PT5_21rocsparse_index_base_b
		.amdhsa_group_segment_fixed_size 4096
		.amdhsa_private_segment_fixed_size 0
		.amdhsa_kernarg_size 96
		.amdhsa_user_sgpr_count 15
		.amdhsa_user_sgpr_dispatch_ptr 0
		.amdhsa_user_sgpr_queue_ptr 0
		.amdhsa_user_sgpr_kernarg_segment_ptr 1
		.amdhsa_user_sgpr_dispatch_id 0
		.amdhsa_user_sgpr_private_segment_size 0
		.amdhsa_wavefront_size32 1
		.amdhsa_uses_dynamic_stack 0
		.amdhsa_enable_private_segment 0
		.amdhsa_system_sgpr_workgroup_id_x 1
		.amdhsa_system_sgpr_workgroup_id_y 0
		.amdhsa_system_sgpr_workgroup_id_z 0
		.amdhsa_system_sgpr_workgroup_info 0
		.amdhsa_system_vgpr_workitem_id 0
		.amdhsa_next_free_vgpr 9
		.amdhsa_next_free_sgpr 28
		.amdhsa_reserve_vcc 1
		.amdhsa_float_round_mode_32 0
		.amdhsa_float_round_mode_16_64 0
		.amdhsa_float_denorm_mode_32 3
		.amdhsa_float_denorm_mode_16_64 3
		.amdhsa_dx10_clamp 1
		.amdhsa_ieee_mode 1
		.amdhsa_fp16_overflow 0
		.amdhsa_workgroup_processor_mode 1
		.amdhsa_memory_ordered 1
		.amdhsa_forward_progress 0
		.amdhsa_shared_vgpr_count 0
		.amdhsa_exception_fp_ieee_invalid_op 0
		.amdhsa_exception_fp_denorm_src 0
		.amdhsa_exception_fp_ieee_div_zero 0
		.amdhsa_exception_fp_ieee_overflow 0
		.amdhsa_exception_fp_ieee_underflow 0
		.amdhsa_exception_fp_ieee_inexact 0
		.amdhsa_exception_int_div_zero 0
	.end_amdhsa_kernel
	.section	.text._ZN9rocsparseL20bsrxmvn_17_32_kernelILj32EiliaaiEEvT2_20rocsparse_direction_NS_24const_host_device_scalarIT0_EES1_PKS1_PKT1_SA_S7_PKT3_PKT4_S5_PT5_21rocsparse_index_base_b,"axG",@progbits,_ZN9rocsparseL20bsrxmvn_17_32_kernelILj32EiliaaiEEvT2_20rocsparse_direction_NS_24const_host_device_scalarIT0_EES1_PKS1_PKT1_SA_S7_PKT3_PKT4_S5_PT5_21rocsparse_index_base_b,comdat
.Lfunc_end223:
	.size	_ZN9rocsparseL20bsrxmvn_17_32_kernelILj32EiliaaiEEvT2_20rocsparse_direction_NS_24const_host_device_scalarIT0_EES1_PKS1_PKT1_SA_S7_PKT3_PKT4_S5_PT5_21rocsparse_index_base_b, .Lfunc_end223-_ZN9rocsparseL20bsrxmvn_17_32_kernelILj32EiliaaiEEvT2_20rocsparse_direction_NS_24const_host_device_scalarIT0_EES1_PKS1_PKT1_SA_S7_PKT3_PKT4_S5_PT5_21rocsparse_index_base_b
                                        ; -- End function
	.section	.AMDGPU.csdata,"",@progbits
; Kernel info:
; codeLenInByte = 1428
; NumSgprs: 30
; NumVgprs: 9
; ScratchSize: 0
; MemoryBound: 0
; FloatMode: 240
; IeeeMode: 1
; LDSByteSize: 4096 bytes/workgroup (compile time only)
; SGPRBlocks: 3
; VGPRBlocks: 1
; NumSGPRsForWavesPerEU: 30
; NumVGPRsForWavesPerEU: 9
; Occupancy: 16
; WaveLimiterHint : 1
; COMPUTE_PGM_RSRC2:SCRATCH_EN: 0
; COMPUTE_PGM_RSRC2:USER_SGPR: 15
; COMPUTE_PGM_RSRC2:TRAP_HANDLER: 0
; COMPUTE_PGM_RSRC2:TGID_X_EN: 1
; COMPUTE_PGM_RSRC2:TGID_Y_EN: 0
; COMPUTE_PGM_RSRC2:TGID_Z_EN: 0
; COMPUTE_PGM_RSRC2:TIDIG_COMP_CNT: 0
	.section	.text._ZN9rocsparseL20bsrxmvn_17_32_kernelILj17EillaaiEEvT2_20rocsparse_direction_NS_24const_host_device_scalarIT0_EES1_PKS1_PKT1_SA_S7_PKT3_PKT4_S5_PT5_21rocsparse_index_base_b,"axG",@progbits,_ZN9rocsparseL20bsrxmvn_17_32_kernelILj17EillaaiEEvT2_20rocsparse_direction_NS_24const_host_device_scalarIT0_EES1_PKS1_PKT1_SA_S7_PKT3_PKT4_S5_PT5_21rocsparse_index_base_b,comdat
	.globl	_ZN9rocsparseL20bsrxmvn_17_32_kernelILj17EillaaiEEvT2_20rocsparse_direction_NS_24const_host_device_scalarIT0_EES1_PKS1_PKT1_SA_S7_PKT3_PKT4_S5_PT5_21rocsparse_index_base_b ; -- Begin function _ZN9rocsparseL20bsrxmvn_17_32_kernelILj17EillaaiEEvT2_20rocsparse_direction_NS_24const_host_device_scalarIT0_EES1_PKS1_PKT1_SA_S7_PKT3_PKT4_S5_PT5_21rocsparse_index_base_b
	.p2align	8
	.type	_ZN9rocsparseL20bsrxmvn_17_32_kernelILj17EillaaiEEvT2_20rocsparse_direction_NS_24const_host_device_scalarIT0_EES1_PKS1_PKT1_SA_S7_PKT3_PKT4_S5_PT5_21rocsparse_index_base_b,@function
_ZN9rocsparseL20bsrxmvn_17_32_kernelILj17EillaaiEEvT2_20rocsparse_direction_NS_24const_host_device_scalarIT0_EES1_PKS1_PKT1_SA_S7_PKT3_PKT4_S5_PT5_21rocsparse_index_base_b: ; @_ZN9rocsparseL20bsrxmvn_17_32_kernelILj17EillaaiEEvT2_20rocsparse_direction_NS_24const_host_device_scalarIT0_EES1_PKS1_PKT1_SA_S7_PKT3_PKT4_S5_PT5_21rocsparse_index_base_b
; %bb.0:
	s_clause 0x1
	s_load_b64 s[12:13], s[0:1], 0x60
	s_load_b64 s[4:5], s[0:1], 0x10
	s_mov_b32 s8, s15
	s_mov_b32 s7, -1
	s_waitcnt lgkmcnt(0)
	s_bitcmp1_b32 s13, 0
                                        ; implicit-def: $sgpr13
	s_cselect_b32 s2, -1, 0
	s_delay_alu instid0(SALU_CYCLE_1) | instskip(NEXT) | instid1(SALU_CYCLE_1)
	s_xor_b32 s6, s2, -1
	s_and_b32 vcc_lo, exec_lo, s6
	s_cbranch_vccnz .LBB224_4
; %bb.1:
	s_load_b64 s[2:3], s[0:1], 0x50
	s_and_not1_b32 vcc_lo, exec_lo, s7
	s_cbranch_vccz .LBB224_5
.LBB224_2:
	s_and_b32 vcc_lo, exec_lo, s6
	s_cbranch_vccz .LBB224_6
.LBB224_3:
	s_waitcnt lgkmcnt(0)
	s_load_b32 s3, s[2:3], 0x0
	s_cbranch_execz .LBB224_7
	s_branch .LBB224_8
.LBB224_4:
	s_load_b32 s13, s[4:5], 0x0
	s_load_b64 s[2:3], s[0:1], 0x50
	s_cbranch_execnz .LBB224_2
.LBB224_5:
	s_waitcnt lgkmcnt(0)
	s_mov_b32 s13, s4
	s_and_b32 vcc_lo, exec_lo, s6
	s_cbranch_vccnz .LBB224_3
.LBB224_6:
                                        ; implicit-def: $sgpr3
.LBB224_7:
	s_waitcnt lgkmcnt(0)
	s_mov_b32 s3, s2
.LBB224_8:
	s_waitcnt lgkmcnt(0)
	s_cmp_lg_u32 s13, 0
	s_mov_b32 s9, 0
	s_cselect_b32 s2, -1, 0
	s_cmp_lg_u32 s3, 1
	s_cselect_b32 s4, -1, 0
	s_delay_alu instid0(SALU_CYCLE_1) | instskip(NEXT) | instid1(SALU_CYCLE_1)
	s_or_b32 s2, s2, s4
	s_and_not1_b32 vcc_lo, exec_lo, s2
	s_cbranch_vccnz .LBB224_46
; %bb.9:
	s_clause 0x1
	s_load_b128 s[4:7], s[0:1], 0x20
	s_load_b64 s[10:11], s[0:1], 0x30
	s_waitcnt lgkmcnt(0)
	s_cmp_eq_u64 s[4:5], 0
	s_cbranch_scc1 .LBB224_11
; %bb.10:
	s_lshl_b64 s[8:9], s[8:9], 3
	s_delay_alu instid0(SALU_CYCLE_1)
	s_add_u32 s4, s4, s8
	s_addc_u32 s5, s5, s9
	s_load_b64 s[4:5], s[4:5], 0x0
	s_waitcnt lgkmcnt(0)
	s_sub_u32 s8, s4, s12
	s_subb_u32 s9, s5, 0
.LBB224_11:
	s_load_b32 s4, s[0:1], 0x8
	v_mul_u32_u24_e32 v1, 0xf10, v0
	v_mov_b32_e32 v7, 0
	s_delay_alu instid0(VALU_DEP_2) | instskip(NEXT) | instid1(VALU_DEP_1)
	v_lshrrev_b32_e32 v1, 16, v1
	v_mul_lo_u16 v2, v1, 17
	s_delay_alu instid0(VALU_DEP_1)
	v_sub_nc_u16 v8, v0, v2
	s_waitcnt lgkmcnt(0)
	s_cmp_eq_u32 s4, 1
	s_cselect_b32 s2, -1, 0
	s_cmp_lg_u32 s4, 1
	s_cselect_b32 s18, -1, 0
	s_lshl_b64 s[4:5], s[8:9], 3
	s_delay_alu instid0(SALU_CYCLE_1)
	s_add_u32 s6, s6, s4
	s_addc_u32 s7, s7, s5
	s_add_u32 s14, s6, 8
	s_addc_u32 s15, s7, 0
	;; [unrolled: 2-line block ×3, first 2 shown]
	s_cmp_eq_u64 s[10:11], 0
	s_load_b64 s[10:11], s[0:1], 0x58
	s_cselect_b32 s5, s15, s5
	s_cselect_b32 s4, s14, s4
	s_load_b64 s[16:17], s[6:7], 0x0
	s_load_b64 s[14:15], s[4:5], 0x0
	s_waitcnt lgkmcnt(0)
	v_cmp_ge_i64_e64 s4, s[16:17], s[14:15]
	s_delay_alu instid0(VALU_DEP_1)
	s_and_b32 vcc_lo, exec_lo, s4
	s_cbranch_vccnz .LBB224_16
; %bb.12:
	v_mul_lo_u16 v2, v1, 31
	v_and_b32_e32 v3, 0xffff, v0
	s_clause 0x1
	s_load_b128 s[4:7], s[0:1], 0x38
	s_load_b64 s[20:21], s[0:1], 0x48
	s_sub_u32 s0, s14, s12
	s_subb_u32 s1, s15, 0
	v_lshrrev_b16 v2, 9, v2
	v_mul_u32_u24_e32 v3, 0xe3, v3
	s_sub_u32 s14, s16, s12
	v_dual_mov_b32 v7, 0 :: v_dual_and_b32 v4, 0xffff, v8
	s_delay_alu instid0(VALU_DEP_3) | instskip(NEXT) | instid1(VALU_DEP_3)
	v_mul_lo_u16 v2, v2, 17
	v_lshrrev_b32_e32 v9, 16, v3
	s_subb_u32 s15, s17, 0
	s_mul_hi_u32 s19, s14, 0x121
	s_mul_i32 s23, s15, 0x121
	v_sub_nc_u16 v1, v1, v2
	v_add_co_u32 v2, s16, s16, v9
	s_delay_alu instid0(VALU_DEP_1) | instskip(NEXT) | instid1(VALU_DEP_3)
	v_add_co_ci_u32_e64 v5, null, s17, 0, s16
	v_and_b32_e32 v1, 0xff, v1
	s_delay_alu instid0(VALU_DEP_3) | instskip(SKIP_2) | instid1(VALU_DEP_2)
	v_sub_co_u32 v3, vcc_lo, v2, s12
	s_mul_i32 s22, s14, 0x121
	s_add_i32 s19, s19, s23
	v_cndmask_b32_e64 v1, v4, v1, s2
	v_subrev_co_ci_u32_e32 v4, vcc_lo, 0, v5, vcc_lo
	s_waitcnt lgkmcnt(0)
	s_delay_alu instid0(VALU_DEP_2) | instskip(NEXT) | instid1(VALU_DEP_2)
	v_add_co_u32 v1, s2, s20, v1
	v_lshlrev_b64 v[5:6], 3, v[3:4]
	v_add_co_ci_u32_e64 v2, null, s21, 0, s2
	s_add_u32 s2, s6, s22
	s_addc_u32 s6, s7, s19
	v_add_co_u32 v3, s2, s2, v0
	s_delay_alu instid0(VALU_DEP_3)
	v_add_co_u32 v5, vcc_lo, s4, v5
	v_add_co_ci_u32_e64 v4, null, s6, 0, s2
	v_add_co_ci_u32_e32 v6, vcc_lo, s5, v6, vcc_lo
	s_set_inst_prefetch_distance 0x1
	s_branch .LBB224_14
	.p2align	6
.LBB224_13:                             ;   in Loop: Header=BB224_14 Depth=1
	s_or_b32 exec_lo, exec_lo, s2
	s_add_u32 s14, s14, 1
	s_addc_u32 s15, s15, 0
	v_add_co_u32 v5, vcc_lo, v5, 8
	v_cmp_lt_i64_e64 s2, s[14:15], s[0:1]
	v_add_co_ci_u32_e32 v6, vcc_lo, 0, v6, vcc_lo
	s_delay_alu instid0(VALU_DEP_2)
	s_and_b32 vcc_lo, exec_lo, s2
	s_cbranch_vccz .LBB224_16
.LBB224_14:                             ; =>This Inner Loop Header: Depth=1
	v_add_co_u32 v10, s2, v9, s14
	s_delay_alu instid0(VALU_DEP_1) | instskip(SKIP_1) | instid1(VALU_DEP_1)
	v_add_co_ci_u32_e64 v11, null, 0, s15, s2
	s_mov_b32 s2, exec_lo
	v_cmpx_gt_i64_e64 s[0:1], v[10:11]
	s_cbranch_execz .LBB224_13
; %bb.15:                               ;   in Loop: Header=BB224_14 Depth=1
	global_load_b64 v[10:11], v[5:6], off
	s_waitcnt vmcnt(0)
	v_sub_co_u32 v12, vcc_lo, v10, s12
	v_subrev_co_ci_u32_e32 v14, vcc_lo, 0, v11, vcc_lo
	s_delay_alu instid0(VALU_DEP_2) | instskip(NEXT) | instid1(VALU_DEP_1)
	v_mad_u64_u32 v[10:11], null, v12, 17, v[1:2]
	v_mad_u64_u32 v[12:13], null, v14, 17, v[11:12]
	s_delay_alu instid0(VALU_DEP_1)
	v_mov_b32_e32 v11, v12
	global_load_i8 v12, v[3:4], off
	global_load_i8 v10, v[10:11], off
	v_add_co_u32 v3, vcc_lo, 0x121, v3
	v_add_co_ci_u32_e32 v4, vcc_lo, 0, v4, vcc_lo
	s_waitcnt vmcnt(0)
	v_mad_i32_i24 v7, v10, v12, v7
	s_branch .LBB224_13
.LBB224_16:
	s_set_inst_prefetch_distance 0x2
	v_lshlrev_b32_e32 v1, 2, v0
	s_and_b32 vcc_lo, exec_lo, s18
	ds_store_b32 v1, v7
	s_waitcnt lgkmcnt(0)
	s_barrier
	buffer_gl0_inv
	s_cbranch_vccz .LBB224_28
; %bb.17:
	s_mov_b32 s0, exec_lo
	v_cmpx_eq_u16_e32 0, v8
	s_cbranch_execz .LBB224_19
; %bb.18:
	ds_load_2addr_b32 v[2:3], v1 offset1:16
	s_waitcnt lgkmcnt(0)
	v_add_nc_u32_e32 v2, v2, v3
	ds_store_b32 v1, v2
.LBB224_19:
	s_or_b32 exec_lo, exec_lo, s0
	s_delay_alu instid0(SALU_CYCLE_1)
	s_mov_b32 s0, exec_lo
	s_waitcnt lgkmcnt(0)
	s_barrier
	buffer_gl0_inv
	v_cmpx_gt_u16_e32 8, v8
	s_cbranch_execz .LBB224_21
; %bb.20:
	ds_load_2addr_b32 v[2:3], v1 offset1:8
	s_waitcnt lgkmcnt(0)
	v_add_nc_u32_e32 v2, v2, v3
	ds_store_b32 v1, v2
.LBB224_21:
	s_or_b32 exec_lo, exec_lo, s0
	s_delay_alu instid0(SALU_CYCLE_1)
	s_mov_b32 s0, exec_lo
	s_waitcnt lgkmcnt(0)
	s_barrier
	buffer_gl0_inv
	v_cmpx_gt_u16_e32 4, v8
	;; [unrolled: 14-line block ×3, first 2 shown]
	s_cbranch_execz .LBB224_25
; %bb.24:
	ds_load_2addr_b32 v[2:3], v1 offset1:2
	s_waitcnt lgkmcnt(0)
	v_add_nc_u32_e32 v2, v2, v3
	ds_store_b32 v1, v2
.LBB224_25:
	s_or_b32 exec_lo, exec_lo, s0
	s_mov_b32 s0, 0
	s_mov_b32 s1, 0
	s_mov_b32 s2, exec_lo
	s_waitcnt lgkmcnt(0)
	s_barrier
	buffer_gl0_inv
                                        ; implicit-def: $vgpr2
                                        ; implicit-def: $vgpr3
	v_cmpx_gt_u32_e32 17, v0
	s_xor_b32 s2, exec_lo, s2
; %bb.26:
	v_mul_u32_u24_e32 v3, 17, v0
	v_mad_u32_u24 v2, v0, 17, 1
	s_mov_b32 s1, exec_lo
	s_delay_alu instid0(VALU_DEP_2)
	v_lshlrev_b32_e32 v3, 2, v3
; %bb.27:
	s_or_b32 exec_lo, exec_lo, s2
	s_delay_alu instid0(SALU_CYCLE_1)
	s_and_b32 vcc_lo, exec_lo, s0
	v_cmp_gt_u32_e64 s0, 17, v0
	s_cbranch_vccnz .LBB224_29
	s_branch .LBB224_40
.LBB224_28:
	s_mov_b32 s1, 0
                                        ; implicit-def: $vgpr2
                                        ; implicit-def: $vgpr3
	v_cmp_gt_u32_e64 s0, 17, v0
	s_cbranch_execz .LBB224_40
.LBB224_29:
	s_delay_alu instid0(VALU_DEP_1)
	s_and_saveexec_b32 s2, s0
	s_cbranch_execz .LBB224_31
; %bb.30:
	ds_load_b32 v2, v1 offset:1088
	ds_load_b32 v3, v1
	s_waitcnt lgkmcnt(0)
	v_add_nc_u32_e32 v2, v3, v2
	ds_store_b32 v1, v2
.LBB224_31:
	s_or_b32 exec_lo, exec_lo, s2
	s_delay_alu instid0(SALU_CYCLE_1)
	s_mov_b32 s2, exec_lo
	s_waitcnt lgkmcnt(0)
	s_barrier
	buffer_gl0_inv
	v_cmpx_gt_u32_e32 0x88, v0
	s_cbranch_execz .LBB224_33
; %bb.32:
	ds_load_2addr_b32 v[2:3], v1 offset1:136
	s_waitcnt lgkmcnt(0)
	v_add_nc_u32_e32 v2, v2, v3
	ds_store_b32 v1, v2
.LBB224_33:
	s_or_b32 exec_lo, exec_lo, s2
	s_delay_alu instid0(SALU_CYCLE_1)
	s_mov_b32 s2, exec_lo
	s_waitcnt lgkmcnt(0)
	s_barrier
	buffer_gl0_inv
	v_cmpx_gt_u32_e32 0x44, v0
	s_cbranch_execz .LBB224_35
; %bb.34:
	ds_load_2addr_b32 v[2:3], v1 offset1:68
	s_waitcnt lgkmcnt(0)
	v_add_nc_u32_e32 v2, v2, v3
	ds_store_b32 v1, v2
.LBB224_35:
	;; [unrolled: 14-line block ×3, first 2 shown]
	s_or_b32 exec_lo, exec_lo, s2
	s_waitcnt lgkmcnt(0)
	buffer_gl0_inv
                                        ; implicit-def: $vgpr2
	s_and_saveexec_b32 s2, s0
; %bb.38:
	v_add_nc_u32_e32 v2, 17, v0
	s_or_b32 s1, s1, exec_lo
                                        ; implicit-def: $vgpr7
; %bb.39:
	s_or_b32 exec_lo, exec_lo, s2
	v_mov_b32_e32 v3, v1
.LBB224_40:
	s_and_saveexec_b32 s0, s1
	s_cbranch_execz .LBB224_42
; %bb.41:
	v_lshlrev_b32_e32 v1, 2, v2
	ds_load_b32 v2, v3
	ds_load_b32 v1, v1
	s_waitcnt lgkmcnt(0)
	v_add_nc_u32_e32 v7, v1, v2
.LBB224_42:
	s_or_b32 exec_lo, exec_lo, s0
	s_delay_alu instid0(SALU_CYCLE_1)
	s_mov_b32 s0, exec_lo
	v_cmpx_gt_u32_e32 17, v0
	s_cbranch_execz .LBB224_46
; %bb.43:
	v_mul_lo_u32 v1, v7, s13
	s_mov_b32 s4, 0
	s_cmp_eq_u32 s3, 0
	s_mul_i32 s0, s9, 0x44
	s_mul_hi_u32 s1, s8, 0x44
	s_mul_i32 s2, s8, 0x44
	s_cbranch_scc1 .LBB224_47
; %bb.44:
	v_lshlrev_b32_e32 v4, 2, v0
	s_add_i32 s5, s1, s0
	s_add_u32 s6, s10, s2
	s_addc_u32 s7, s11, s5
	global_load_b32 v5, v4, s[6:7]
	s_waitcnt vmcnt(0)
	v_mad_u64_u32 v[2:3], null, v5, s3, v[1:2]
	global_store_b32 v4, v2, s[6:7]
	s_and_not1_b32 vcc_lo, exec_lo, s4
	s_cbranch_vccnz .LBB224_46
.LBB224_45:
	v_lshlrev_b32_e32 v0, 2, v0
	s_add_i32 s1, s1, s0
	s_add_u32 s0, s10, s2
	s_addc_u32 s1, s11, s1
	global_store_b32 v0, v1, s[0:1]
.LBB224_46:
	s_nop 0
	s_sendmsg sendmsg(MSG_DEALLOC_VGPRS)
	s_endpgm
.LBB224_47:
	s_branch .LBB224_45
	.section	.rodata,"a",@progbits
	.p2align	6, 0x0
	.amdhsa_kernel _ZN9rocsparseL20bsrxmvn_17_32_kernelILj17EillaaiEEvT2_20rocsparse_direction_NS_24const_host_device_scalarIT0_EES1_PKS1_PKT1_SA_S7_PKT3_PKT4_S5_PT5_21rocsparse_index_base_b
		.amdhsa_group_segment_fixed_size 1156
		.amdhsa_private_segment_fixed_size 0
		.amdhsa_kernarg_size 104
		.amdhsa_user_sgpr_count 15
		.amdhsa_user_sgpr_dispatch_ptr 0
		.amdhsa_user_sgpr_queue_ptr 0
		.amdhsa_user_sgpr_kernarg_segment_ptr 1
		.amdhsa_user_sgpr_dispatch_id 0
		.amdhsa_user_sgpr_private_segment_size 0
		.amdhsa_wavefront_size32 1
		.amdhsa_uses_dynamic_stack 0
		.amdhsa_enable_private_segment 0
		.amdhsa_system_sgpr_workgroup_id_x 1
		.amdhsa_system_sgpr_workgroup_id_y 0
		.amdhsa_system_sgpr_workgroup_id_z 0
		.amdhsa_system_sgpr_workgroup_info 0
		.amdhsa_system_vgpr_workitem_id 0
		.amdhsa_next_free_vgpr 15
		.amdhsa_next_free_sgpr 24
		.amdhsa_reserve_vcc 1
		.amdhsa_float_round_mode_32 0
		.amdhsa_float_round_mode_16_64 0
		.amdhsa_float_denorm_mode_32 3
		.amdhsa_float_denorm_mode_16_64 3
		.amdhsa_dx10_clamp 1
		.amdhsa_ieee_mode 1
		.amdhsa_fp16_overflow 0
		.amdhsa_workgroup_processor_mode 1
		.amdhsa_memory_ordered 1
		.amdhsa_forward_progress 0
		.amdhsa_shared_vgpr_count 0
		.amdhsa_exception_fp_ieee_invalid_op 0
		.amdhsa_exception_fp_denorm_src 0
		.amdhsa_exception_fp_ieee_div_zero 0
		.amdhsa_exception_fp_ieee_overflow 0
		.amdhsa_exception_fp_ieee_underflow 0
		.amdhsa_exception_fp_ieee_inexact 0
		.amdhsa_exception_int_div_zero 0
	.end_amdhsa_kernel
	.section	.text._ZN9rocsparseL20bsrxmvn_17_32_kernelILj17EillaaiEEvT2_20rocsparse_direction_NS_24const_host_device_scalarIT0_EES1_PKS1_PKT1_SA_S7_PKT3_PKT4_S5_PT5_21rocsparse_index_base_b,"axG",@progbits,_ZN9rocsparseL20bsrxmvn_17_32_kernelILj17EillaaiEEvT2_20rocsparse_direction_NS_24const_host_device_scalarIT0_EES1_PKS1_PKT1_SA_S7_PKT3_PKT4_S5_PT5_21rocsparse_index_base_b,comdat
.Lfunc_end224:
	.size	_ZN9rocsparseL20bsrxmvn_17_32_kernelILj17EillaaiEEvT2_20rocsparse_direction_NS_24const_host_device_scalarIT0_EES1_PKS1_PKT1_SA_S7_PKT3_PKT4_S5_PT5_21rocsparse_index_base_b, .Lfunc_end224-_ZN9rocsparseL20bsrxmvn_17_32_kernelILj17EillaaiEEvT2_20rocsparse_direction_NS_24const_host_device_scalarIT0_EES1_PKS1_PKT1_SA_S7_PKT3_PKT4_S5_PT5_21rocsparse_index_base_b
                                        ; -- End function
	.section	.AMDGPU.csdata,"",@progbits
; Kernel info:
; codeLenInByte = 1680
; NumSgprs: 26
; NumVgprs: 15
; ScratchSize: 0
; MemoryBound: 0
; FloatMode: 240
; IeeeMode: 1
; LDSByteSize: 1156 bytes/workgroup (compile time only)
; SGPRBlocks: 3
; VGPRBlocks: 1
; NumSGPRsForWavesPerEU: 26
; NumVGPRsForWavesPerEU: 15
; Occupancy: 15
; WaveLimiterHint : 1
; COMPUTE_PGM_RSRC2:SCRATCH_EN: 0
; COMPUTE_PGM_RSRC2:USER_SGPR: 15
; COMPUTE_PGM_RSRC2:TRAP_HANDLER: 0
; COMPUTE_PGM_RSRC2:TGID_X_EN: 1
; COMPUTE_PGM_RSRC2:TGID_Y_EN: 0
; COMPUTE_PGM_RSRC2:TGID_Z_EN: 0
; COMPUTE_PGM_RSRC2:TIDIG_COMP_CNT: 0
	.section	.text._ZN9rocsparseL20bsrxmvn_17_32_kernelILj18EillaaiEEvT2_20rocsparse_direction_NS_24const_host_device_scalarIT0_EES1_PKS1_PKT1_SA_S7_PKT3_PKT4_S5_PT5_21rocsparse_index_base_b,"axG",@progbits,_ZN9rocsparseL20bsrxmvn_17_32_kernelILj18EillaaiEEvT2_20rocsparse_direction_NS_24const_host_device_scalarIT0_EES1_PKS1_PKT1_SA_S7_PKT3_PKT4_S5_PT5_21rocsparse_index_base_b,comdat
	.globl	_ZN9rocsparseL20bsrxmvn_17_32_kernelILj18EillaaiEEvT2_20rocsparse_direction_NS_24const_host_device_scalarIT0_EES1_PKS1_PKT1_SA_S7_PKT3_PKT4_S5_PT5_21rocsparse_index_base_b ; -- Begin function _ZN9rocsparseL20bsrxmvn_17_32_kernelILj18EillaaiEEvT2_20rocsparse_direction_NS_24const_host_device_scalarIT0_EES1_PKS1_PKT1_SA_S7_PKT3_PKT4_S5_PT5_21rocsparse_index_base_b
	.p2align	8
	.type	_ZN9rocsparseL20bsrxmvn_17_32_kernelILj18EillaaiEEvT2_20rocsparse_direction_NS_24const_host_device_scalarIT0_EES1_PKS1_PKT1_SA_S7_PKT3_PKT4_S5_PT5_21rocsparse_index_base_b,@function
_ZN9rocsparseL20bsrxmvn_17_32_kernelILj18EillaaiEEvT2_20rocsparse_direction_NS_24const_host_device_scalarIT0_EES1_PKS1_PKT1_SA_S7_PKT3_PKT4_S5_PT5_21rocsparse_index_base_b: ; @_ZN9rocsparseL20bsrxmvn_17_32_kernelILj18EillaaiEEvT2_20rocsparse_direction_NS_24const_host_device_scalarIT0_EES1_PKS1_PKT1_SA_S7_PKT3_PKT4_S5_PT5_21rocsparse_index_base_b
; %bb.0:
	s_clause 0x1
	s_load_b64 s[12:13], s[0:1], 0x60
	s_load_b64 s[4:5], s[0:1], 0x10
	s_mov_b32 s8, s15
	s_mov_b32 s7, -1
	s_waitcnt lgkmcnt(0)
	s_bitcmp1_b32 s13, 0
                                        ; implicit-def: $sgpr13
	s_cselect_b32 s2, -1, 0
	s_delay_alu instid0(SALU_CYCLE_1) | instskip(NEXT) | instid1(SALU_CYCLE_1)
	s_xor_b32 s6, s2, -1
	s_and_b32 vcc_lo, exec_lo, s6
	s_cbranch_vccnz .LBB225_4
; %bb.1:
	s_load_b64 s[2:3], s[0:1], 0x50
	s_and_not1_b32 vcc_lo, exec_lo, s7
	s_cbranch_vccz .LBB225_5
.LBB225_2:
	s_and_b32 vcc_lo, exec_lo, s6
	s_cbranch_vccz .LBB225_6
.LBB225_3:
	s_waitcnt lgkmcnt(0)
	s_load_b32 s3, s[2:3], 0x0
	s_cbranch_execz .LBB225_7
	s_branch .LBB225_8
.LBB225_4:
	s_load_b32 s13, s[4:5], 0x0
	s_load_b64 s[2:3], s[0:1], 0x50
	s_cbranch_execnz .LBB225_2
.LBB225_5:
	s_waitcnt lgkmcnt(0)
	s_mov_b32 s13, s4
	s_and_b32 vcc_lo, exec_lo, s6
	s_cbranch_vccnz .LBB225_3
.LBB225_6:
                                        ; implicit-def: $sgpr3
.LBB225_7:
	s_waitcnt lgkmcnt(0)
	s_mov_b32 s3, s2
.LBB225_8:
	s_waitcnt lgkmcnt(0)
	s_cmp_lg_u32 s13, 0
	s_mov_b32 s9, 0
	s_cselect_b32 s2, -1, 0
	s_cmp_lg_u32 s3, 1
	s_cselect_b32 s4, -1, 0
	s_delay_alu instid0(SALU_CYCLE_1) | instskip(NEXT) | instid1(SALU_CYCLE_1)
	s_or_b32 s2, s2, s4
	s_and_not1_b32 vcc_lo, exec_lo, s2
	s_cbranch_vccnz .LBB225_46
; %bb.9:
	s_clause 0x1
	s_load_b128 s[4:7], s[0:1], 0x20
	s_load_b64 s[10:11], s[0:1], 0x30
	s_waitcnt lgkmcnt(0)
	s_cmp_eq_u64 s[4:5], 0
	s_cbranch_scc1 .LBB225_11
; %bb.10:
	s_lshl_b64 s[8:9], s[8:9], 3
	s_delay_alu instid0(SALU_CYCLE_1)
	s_add_u32 s4, s4, s8
	s_addc_u32 s5, s5, s9
	s_load_b64 s[4:5], s[4:5], 0x0
	s_waitcnt lgkmcnt(0)
	s_sub_u32 s8, s4, s12
	s_subb_u32 s9, s5, 0
.LBB225_11:
	s_load_b32 s4, s[0:1], 0x8
	v_mul_u32_u24_e32 v1, 0xe39, v0
	v_mov_b32_e32 v7, 0
	s_delay_alu instid0(VALU_DEP_2) | instskip(NEXT) | instid1(VALU_DEP_1)
	v_lshrrev_b32_e32 v1, 16, v1
	v_mul_lo_u16 v2, v1, 18
	s_delay_alu instid0(VALU_DEP_1)
	v_sub_nc_u16 v8, v0, v2
	s_waitcnt lgkmcnt(0)
	s_cmp_eq_u32 s4, 1
	s_cselect_b32 s2, -1, 0
	s_cmp_lg_u32 s4, 1
	s_cselect_b32 s18, -1, 0
	s_lshl_b64 s[4:5], s[8:9], 3
	s_delay_alu instid0(SALU_CYCLE_1)
	s_add_u32 s6, s6, s4
	s_addc_u32 s7, s7, s5
	s_add_u32 s14, s6, 8
	s_addc_u32 s15, s7, 0
	;; [unrolled: 2-line block ×3, first 2 shown]
	s_cmp_eq_u64 s[10:11], 0
	s_load_b64 s[10:11], s[0:1], 0x58
	s_cselect_b32 s5, s15, s5
	s_cselect_b32 s4, s14, s4
	s_load_b64 s[16:17], s[6:7], 0x0
	s_load_b64 s[14:15], s[4:5], 0x0
	s_waitcnt lgkmcnt(0)
	v_cmp_ge_i64_e64 s4, s[16:17], s[14:15]
	s_delay_alu instid0(VALU_DEP_1)
	s_and_b32 vcc_lo, exec_lo, s4
	s_cbranch_vccnz .LBB225_16
; %bb.12:
	v_mul_lo_u16 v2, v1, 15
	v_and_b32_e32 v3, 0xffff, v0
	s_clause 0x1
	s_load_b128 s[4:7], s[0:1], 0x38
	s_load_b64 s[20:21], s[0:1], 0x48
	s_sub_u32 s0, s14, s12
	s_subb_u32 s1, s15, 0
	v_lshrrev_b16 v2, 8, v2
	v_mul_u32_u24_e32 v3, 0x195, v3
	s_sub_u32 s14, s16, s12
	v_dual_mov_b32 v7, 0 :: v_dual_and_b32 v4, 0xffff, v8
	s_delay_alu instid0(VALU_DEP_3) | instskip(NEXT) | instid1(VALU_DEP_3)
	v_mul_lo_u16 v2, v2, 18
	v_lshrrev_b32_e32 v9, 17, v3
	s_subb_u32 s15, s17, 0
	s_mul_hi_u32 s19, s14, 0x144
	s_mul_i32 s23, s15, 0x144
	v_sub_nc_u16 v1, v1, v2
	v_add_co_u32 v2, s16, s16, v9
	s_delay_alu instid0(VALU_DEP_1) | instskip(NEXT) | instid1(VALU_DEP_3)
	v_add_co_ci_u32_e64 v5, null, s17, 0, s16
	v_and_b32_e32 v1, 0xff, v1
	s_delay_alu instid0(VALU_DEP_3) | instskip(SKIP_2) | instid1(VALU_DEP_2)
	v_sub_co_u32 v3, vcc_lo, v2, s12
	s_mul_i32 s22, s14, 0x144
	s_add_i32 s19, s19, s23
	v_cndmask_b32_e64 v1, v4, v1, s2
	v_subrev_co_ci_u32_e32 v4, vcc_lo, 0, v5, vcc_lo
	s_waitcnt lgkmcnt(0)
	s_delay_alu instid0(VALU_DEP_2) | instskip(NEXT) | instid1(VALU_DEP_2)
	v_add_co_u32 v1, s2, s20, v1
	v_lshlrev_b64 v[5:6], 3, v[3:4]
	v_add_co_ci_u32_e64 v2, null, s21, 0, s2
	s_add_u32 s2, s6, s22
	s_addc_u32 s6, s7, s19
	v_add_co_u32 v3, s2, s2, v0
	s_delay_alu instid0(VALU_DEP_3)
	v_add_co_u32 v5, vcc_lo, s4, v5
	v_add_co_ci_u32_e64 v4, null, s6, 0, s2
	v_add_co_ci_u32_e32 v6, vcc_lo, s5, v6, vcc_lo
	s_set_inst_prefetch_distance 0x1
	s_branch .LBB225_14
	.p2align	6
.LBB225_13:                             ;   in Loop: Header=BB225_14 Depth=1
	s_or_b32 exec_lo, exec_lo, s2
	s_add_u32 s14, s14, 1
	s_addc_u32 s15, s15, 0
	v_add_co_u32 v5, vcc_lo, v5, 8
	v_cmp_lt_i64_e64 s2, s[14:15], s[0:1]
	v_add_co_ci_u32_e32 v6, vcc_lo, 0, v6, vcc_lo
	s_delay_alu instid0(VALU_DEP_2)
	s_and_b32 vcc_lo, exec_lo, s2
	s_cbranch_vccz .LBB225_16
.LBB225_14:                             ; =>This Inner Loop Header: Depth=1
	v_add_co_u32 v10, s2, v9, s14
	s_delay_alu instid0(VALU_DEP_1) | instskip(SKIP_1) | instid1(VALU_DEP_1)
	v_add_co_ci_u32_e64 v11, null, 0, s15, s2
	s_mov_b32 s2, exec_lo
	v_cmpx_gt_i64_e64 s[0:1], v[10:11]
	s_cbranch_execz .LBB225_13
; %bb.15:                               ;   in Loop: Header=BB225_14 Depth=1
	global_load_b64 v[10:11], v[5:6], off
	s_waitcnt vmcnt(0)
	v_sub_co_u32 v12, vcc_lo, v10, s12
	v_subrev_co_ci_u32_e32 v14, vcc_lo, 0, v11, vcc_lo
	s_delay_alu instid0(VALU_DEP_2) | instskip(NEXT) | instid1(VALU_DEP_1)
	v_mad_u64_u32 v[10:11], null, v12, 18, v[1:2]
	v_mad_u64_u32 v[12:13], null, v14, 18, v[11:12]
	s_delay_alu instid0(VALU_DEP_1)
	v_mov_b32_e32 v11, v12
	global_load_i8 v12, v[3:4], off
	global_load_i8 v10, v[10:11], off
	v_add_co_u32 v3, vcc_lo, 0x144, v3
	v_add_co_ci_u32_e32 v4, vcc_lo, 0, v4, vcc_lo
	s_waitcnt vmcnt(0)
	v_mad_i32_i24 v7, v10, v12, v7
	s_branch .LBB225_13
.LBB225_16:
	s_set_inst_prefetch_distance 0x2
	v_lshlrev_b32_e32 v1, 2, v0
	s_and_b32 vcc_lo, exec_lo, s18
	ds_store_b32 v1, v7
	s_waitcnt lgkmcnt(0)
	s_barrier
	buffer_gl0_inv
	s_cbranch_vccz .LBB225_28
; %bb.17:
	v_cmp_gt_u16_e32 vcc_lo, 2, v8
	s_and_saveexec_b32 s0, vcc_lo
	s_cbranch_execz .LBB225_19
; %bb.18:
	ds_load_2addr_b32 v[2:3], v1 offset1:16
	s_waitcnt lgkmcnt(0)
	v_add_nc_u32_e32 v2, v2, v3
	ds_store_b32 v1, v2
.LBB225_19:
	s_or_b32 exec_lo, exec_lo, s0
	s_delay_alu instid0(SALU_CYCLE_1)
	s_mov_b32 s1, exec_lo
	s_waitcnt lgkmcnt(0)
	s_barrier
	buffer_gl0_inv
	v_cmpx_gt_u16_e32 8, v8
	s_cbranch_execz .LBB225_21
; %bb.20:
	ds_load_2addr_b32 v[2:3], v1 offset1:8
	s_waitcnt lgkmcnt(0)
	v_add_nc_u32_e32 v2, v2, v3
	ds_store_b32 v1, v2
.LBB225_21:
	s_or_b32 exec_lo, exec_lo, s1
	s_delay_alu instid0(SALU_CYCLE_1)
	s_mov_b32 s1, exec_lo
	s_waitcnt lgkmcnt(0)
	s_barrier
	buffer_gl0_inv
	v_cmpx_gt_u16_e32 4, v8
	s_cbranch_execz .LBB225_23
; %bb.22:
	ds_load_2addr_b32 v[2:3], v1 offset1:4
	s_waitcnt lgkmcnt(0)
	v_add_nc_u32_e32 v2, v2, v3
	ds_store_b32 v1, v2
.LBB225_23:
	s_or_b32 exec_lo, exec_lo, s1
	s_waitcnt lgkmcnt(0)
	s_barrier
	buffer_gl0_inv
	s_and_saveexec_b32 s0, vcc_lo
	s_cbranch_execz .LBB225_25
; %bb.24:
	ds_load_2addr_b32 v[2:3], v1 offset1:2
	s_waitcnt lgkmcnt(0)
	v_add_nc_u32_e32 v2, v2, v3
	ds_store_b32 v1, v2
.LBB225_25:
	s_or_b32 exec_lo, exec_lo, s0
	s_mov_b32 s0, 0
	s_mov_b32 s1, 0
	s_mov_b32 s2, exec_lo
	s_waitcnt lgkmcnt(0)
	s_barrier
	buffer_gl0_inv
                                        ; implicit-def: $vgpr2
                                        ; implicit-def: $vgpr3
	v_cmpx_gt_u32_e32 18, v0
	s_xor_b32 s2, exec_lo, s2
; %bb.26:
	v_mul_u32_u24_e32 v3, 18, v0
	s_mov_b32 s1, exec_lo
	s_delay_alu instid0(VALU_DEP_1)
	v_or_b32_e32 v2, 1, v3
	v_lshlrev_b32_e32 v3, 2, v3
; %bb.27:
	s_or_b32 exec_lo, exec_lo, s2
	s_delay_alu instid0(SALU_CYCLE_1)
	s_and_b32 vcc_lo, exec_lo, s0
	s_cbranch_vccnz .LBB225_29
	s_branch .LBB225_40
.LBB225_28:
	s_mov_b32 s1, 0
                                        ; implicit-def: $vgpr2
                                        ; implicit-def: $vgpr3
	s_cbranch_execz .LBB225_40
.LBB225_29:
	v_cmp_gt_u32_e32 vcc_lo, 36, v0
	s_and_saveexec_b32 s0, vcc_lo
	s_cbranch_execz .LBB225_31
; %bb.30:
	ds_load_b32 v2, v1 offset:1152
	ds_load_b32 v3, v1
	s_waitcnt lgkmcnt(0)
	v_add_nc_u32_e32 v2, v3, v2
	ds_store_b32 v1, v2
.LBB225_31:
	s_or_b32 exec_lo, exec_lo, s0
	s_delay_alu instid0(SALU_CYCLE_1)
	s_mov_b32 s2, exec_lo
	s_waitcnt lgkmcnt(0)
	s_barrier
	buffer_gl0_inv
	v_cmpx_gt_u32_e32 0x90, v0
	s_cbranch_execz .LBB225_33
; %bb.32:
	ds_load_2addr_b32 v[2:3], v1 offset1:144
	s_waitcnt lgkmcnt(0)
	v_add_nc_u32_e32 v2, v2, v3
	ds_store_b32 v1, v2
.LBB225_33:
	s_or_b32 exec_lo, exec_lo, s2
	s_delay_alu instid0(SALU_CYCLE_1)
	s_mov_b32 s2, exec_lo
	s_waitcnt lgkmcnt(0)
	s_barrier
	buffer_gl0_inv
	v_cmpx_gt_u32_e32 0x48, v0
	s_cbranch_execz .LBB225_35
; %bb.34:
	ds_load_2addr_b32 v[2:3], v1 offset1:72
	s_waitcnt lgkmcnt(0)
	v_add_nc_u32_e32 v2, v2, v3
	ds_store_b32 v1, v2
.LBB225_35:
	s_or_b32 exec_lo, exec_lo, s2
	s_waitcnt lgkmcnt(0)
	s_barrier
	buffer_gl0_inv
	s_and_saveexec_b32 s0, vcc_lo
	s_cbranch_execz .LBB225_37
; %bb.36:
	ds_load_2addr_b32 v[2:3], v1 offset1:36
	s_waitcnt lgkmcnt(0)
	v_add_nc_u32_e32 v2, v2, v3
	ds_store_b32 v1, v2
.LBB225_37:
	s_or_b32 exec_lo, exec_lo, s0
	s_delay_alu instid0(SALU_CYCLE_1)
	s_mov_b32 s0, exec_lo
	s_waitcnt lgkmcnt(0)
	buffer_gl0_inv
                                        ; implicit-def: $vgpr2
	v_cmpx_gt_u32_e32 18, v0
; %bb.38:
	v_add_nc_u32_e32 v2, 18, v0
	s_or_b32 s1, s1, exec_lo
                                        ; implicit-def: $vgpr7
; %bb.39:
	s_or_b32 exec_lo, exec_lo, s0
	v_mov_b32_e32 v3, v1
.LBB225_40:
	s_and_saveexec_b32 s0, s1
	s_cbranch_execz .LBB225_42
; %bb.41:
	v_lshlrev_b32_e32 v1, 2, v2
	ds_load_b32 v2, v3
	ds_load_b32 v1, v1
	s_waitcnt lgkmcnt(0)
	v_add_nc_u32_e32 v7, v1, v2
.LBB225_42:
	s_or_b32 exec_lo, exec_lo, s0
	s_delay_alu instid0(SALU_CYCLE_1)
	s_mov_b32 s0, exec_lo
	v_cmpx_gt_u32_e32 18, v0
	s_cbranch_execz .LBB225_46
; %bb.43:
	v_mul_lo_u32 v1, v7, s13
	s_mov_b32 s4, 0
	s_cmp_eq_u32 s3, 0
	s_mul_i32 s0, s9, 0x48
	s_mul_hi_u32 s1, s8, 0x48
	s_mul_i32 s2, s8, 0x48
	s_cbranch_scc1 .LBB225_47
; %bb.44:
	v_lshlrev_b32_e32 v4, 2, v0
	s_add_i32 s5, s1, s0
	s_add_u32 s6, s10, s2
	s_addc_u32 s7, s11, s5
	global_load_b32 v5, v4, s[6:7]
	s_waitcnt vmcnt(0)
	v_mad_u64_u32 v[2:3], null, v5, s3, v[1:2]
	global_store_b32 v4, v2, s[6:7]
	s_and_not1_b32 vcc_lo, exec_lo, s4
	s_cbranch_vccnz .LBB225_46
.LBB225_45:
	v_lshlrev_b32_e32 v0, 2, v0
	s_add_i32 s1, s1, s0
	s_add_u32 s0, s10, s2
	s_addc_u32 s1, s11, s1
	global_store_b32 v0, v1, s[0:1]
.LBB225_46:
	s_nop 0
	s_sendmsg sendmsg(MSG_DEALLOC_VGPRS)
	s_endpgm
.LBB225_47:
	s_branch .LBB225_45
	.section	.rodata,"a",@progbits
	.p2align	6, 0x0
	.amdhsa_kernel _ZN9rocsparseL20bsrxmvn_17_32_kernelILj18EillaaiEEvT2_20rocsparse_direction_NS_24const_host_device_scalarIT0_EES1_PKS1_PKT1_SA_S7_PKT3_PKT4_S5_PT5_21rocsparse_index_base_b
		.amdhsa_group_segment_fixed_size 1296
		.amdhsa_private_segment_fixed_size 0
		.amdhsa_kernarg_size 104
		.amdhsa_user_sgpr_count 15
		.amdhsa_user_sgpr_dispatch_ptr 0
		.amdhsa_user_sgpr_queue_ptr 0
		.amdhsa_user_sgpr_kernarg_segment_ptr 1
		.amdhsa_user_sgpr_dispatch_id 0
		.amdhsa_user_sgpr_private_segment_size 0
		.amdhsa_wavefront_size32 1
		.amdhsa_uses_dynamic_stack 0
		.amdhsa_enable_private_segment 0
		.amdhsa_system_sgpr_workgroup_id_x 1
		.amdhsa_system_sgpr_workgroup_id_y 0
		.amdhsa_system_sgpr_workgroup_id_z 0
		.amdhsa_system_sgpr_workgroup_info 0
		.amdhsa_system_vgpr_workitem_id 0
		.amdhsa_next_free_vgpr 15
		.amdhsa_next_free_sgpr 24
		.amdhsa_reserve_vcc 1
		.amdhsa_float_round_mode_32 0
		.amdhsa_float_round_mode_16_64 0
		.amdhsa_float_denorm_mode_32 3
		.amdhsa_float_denorm_mode_16_64 3
		.amdhsa_dx10_clamp 1
		.amdhsa_ieee_mode 1
		.amdhsa_fp16_overflow 0
		.amdhsa_workgroup_processor_mode 1
		.amdhsa_memory_ordered 1
		.amdhsa_forward_progress 0
		.amdhsa_shared_vgpr_count 0
		.amdhsa_exception_fp_ieee_invalid_op 0
		.amdhsa_exception_fp_denorm_src 0
		.amdhsa_exception_fp_ieee_div_zero 0
		.amdhsa_exception_fp_ieee_overflow 0
		.amdhsa_exception_fp_ieee_underflow 0
		.amdhsa_exception_fp_ieee_inexact 0
		.amdhsa_exception_int_div_zero 0
	.end_amdhsa_kernel
	.section	.text._ZN9rocsparseL20bsrxmvn_17_32_kernelILj18EillaaiEEvT2_20rocsparse_direction_NS_24const_host_device_scalarIT0_EES1_PKS1_PKT1_SA_S7_PKT3_PKT4_S5_PT5_21rocsparse_index_base_b,"axG",@progbits,_ZN9rocsparseL20bsrxmvn_17_32_kernelILj18EillaaiEEvT2_20rocsparse_direction_NS_24const_host_device_scalarIT0_EES1_PKS1_PKT1_SA_S7_PKT3_PKT4_S5_PT5_21rocsparse_index_base_b,comdat
.Lfunc_end225:
	.size	_ZN9rocsparseL20bsrxmvn_17_32_kernelILj18EillaaiEEvT2_20rocsparse_direction_NS_24const_host_device_scalarIT0_EES1_PKS1_PKT1_SA_S7_PKT3_PKT4_S5_PT5_21rocsparse_index_base_b, .Lfunc_end225-_ZN9rocsparseL20bsrxmvn_17_32_kernelILj18EillaaiEEvT2_20rocsparse_direction_NS_24const_host_device_scalarIT0_EES1_PKS1_PKT1_SA_S7_PKT3_PKT4_S5_PT5_21rocsparse_index_base_b
                                        ; -- End function
	.section	.AMDGPU.csdata,"",@progbits
; Kernel info:
; codeLenInByte = 1652
; NumSgprs: 26
; NumVgprs: 15
; ScratchSize: 0
; MemoryBound: 0
; FloatMode: 240
; IeeeMode: 1
; LDSByteSize: 1296 bytes/workgroup (compile time only)
; SGPRBlocks: 3
; VGPRBlocks: 1
; NumSGPRsForWavesPerEU: 26
; NumVGPRsForWavesPerEU: 15
; Occupancy: 14
; WaveLimiterHint : 1
; COMPUTE_PGM_RSRC2:SCRATCH_EN: 0
; COMPUTE_PGM_RSRC2:USER_SGPR: 15
; COMPUTE_PGM_RSRC2:TRAP_HANDLER: 0
; COMPUTE_PGM_RSRC2:TGID_X_EN: 1
; COMPUTE_PGM_RSRC2:TGID_Y_EN: 0
; COMPUTE_PGM_RSRC2:TGID_Z_EN: 0
; COMPUTE_PGM_RSRC2:TIDIG_COMP_CNT: 0
	.section	.text._ZN9rocsparseL20bsrxmvn_17_32_kernelILj19EillaaiEEvT2_20rocsparse_direction_NS_24const_host_device_scalarIT0_EES1_PKS1_PKT1_SA_S7_PKT3_PKT4_S5_PT5_21rocsparse_index_base_b,"axG",@progbits,_ZN9rocsparseL20bsrxmvn_17_32_kernelILj19EillaaiEEvT2_20rocsparse_direction_NS_24const_host_device_scalarIT0_EES1_PKS1_PKT1_SA_S7_PKT3_PKT4_S5_PT5_21rocsparse_index_base_b,comdat
	.globl	_ZN9rocsparseL20bsrxmvn_17_32_kernelILj19EillaaiEEvT2_20rocsparse_direction_NS_24const_host_device_scalarIT0_EES1_PKS1_PKT1_SA_S7_PKT3_PKT4_S5_PT5_21rocsparse_index_base_b ; -- Begin function _ZN9rocsparseL20bsrxmvn_17_32_kernelILj19EillaaiEEvT2_20rocsparse_direction_NS_24const_host_device_scalarIT0_EES1_PKS1_PKT1_SA_S7_PKT3_PKT4_S5_PT5_21rocsparse_index_base_b
	.p2align	8
	.type	_ZN9rocsparseL20bsrxmvn_17_32_kernelILj19EillaaiEEvT2_20rocsparse_direction_NS_24const_host_device_scalarIT0_EES1_PKS1_PKT1_SA_S7_PKT3_PKT4_S5_PT5_21rocsparse_index_base_b,@function
_ZN9rocsparseL20bsrxmvn_17_32_kernelILj19EillaaiEEvT2_20rocsparse_direction_NS_24const_host_device_scalarIT0_EES1_PKS1_PKT1_SA_S7_PKT3_PKT4_S5_PT5_21rocsparse_index_base_b: ; @_ZN9rocsparseL20bsrxmvn_17_32_kernelILj19EillaaiEEvT2_20rocsparse_direction_NS_24const_host_device_scalarIT0_EES1_PKS1_PKT1_SA_S7_PKT3_PKT4_S5_PT5_21rocsparse_index_base_b
; %bb.0:
	s_clause 0x1
	s_load_b64 s[12:13], s[0:1], 0x60
	s_load_b64 s[4:5], s[0:1], 0x10
	s_mov_b32 s8, s15
	s_mov_b32 s7, -1
	s_waitcnt lgkmcnt(0)
	s_bitcmp1_b32 s13, 0
                                        ; implicit-def: $sgpr13
	s_cselect_b32 s2, -1, 0
	s_delay_alu instid0(SALU_CYCLE_1) | instskip(NEXT) | instid1(SALU_CYCLE_1)
	s_xor_b32 s6, s2, -1
	s_and_b32 vcc_lo, exec_lo, s6
	s_cbranch_vccnz .LBB226_4
; %bb.1:
	s_load_b64 s[2:3], s[0:1], 0x50
	s_and_not1_b32 vcc_lo, exec_lo, s7
	s_cbranch_vccz .LBB226_5
.LBB226_2:
	s_and_b32 vcc_lo, exec_lo, s6
	s_cbranch_vccz .LBB226_6
.LBB226_3:
	s_waitcnt lgkmcnt(0)
	s_load_b32 s3, s[2:3], 0x0
	s_cbranch_execz .LBB226_7
	s_branch .LBB226_8
.LBB226_4:
	s_load_b32 s13, s[4:5], 0x0
	s_load_b64 s[2:3], s[0:1], 0x50
	s_cbranch_execnz .LBB226_2
.LBB226_5:
	s_waitcnt lgkmcnt(0)
	s_mov_b32 s13, s4
	s_and_b32 vcc_lo, exec_lo, s6
	s_cbranch_vccnz .LBB226_3
.LBB226_6:
                                        ; implicit-def: $sgpr3
.LBB226_7:
	s_waitcnt lgkmcnt(0)
	s_mov_b32 s3, s2
.LBB226_8:
	s_waitcnt lgkmcnt(0)
	s_cmp_lg_u32 s13, 0
	s_mov_b32 s9, 0
	s_cselect_b32 s2, -1, 0
	s_cmp_lg_u32 s3, 1
	s_cselect_b32 s4, -1, 0
	s_delay_alu instid0(SALU_CYCLE_1) | instskip(NEXT) | instid1(SALU_CYCLE_1)
	s_or_b32 s2, s2, s4
	s_and_not1_b32 vcc_lo, exec_lo, s2
	s_cbranch_vccnz .LBB226_46
; %bb.9:
	s_clause 0x1
	s_load_b128 s[4:7], s[0:1], 0x20
	s_load_b64 s[10:11], s[0:1], 0x30
	s_waitcnt lgkmcnt(0)
	s_cmp_eq_u64 s[4:5], 0
	s_cbranch_scc1 .LBB226_11
; %bb.10:
	s_lshl_b64 s[8:9], s[8:9], 3
	s_delay_alu instid0(SALU_CYCLE_1)
	s_add_u32 s4, s4, s8
	s_addc_u32 s5, s5, s9
	s_load_b64 s[4:5], s[4:5], 0x0
	s_waitcnt lgkmcnt(0)
	s_sub_u32 s8, s4, s12
	s_subb_u32 s9, s5, 0
.LBB226_11:
	s_load_b32 s4, s[0:1], 0x8
	v_mul_u32_u24_e32 v1, 0xd7a, v0
	v_mov_b32_e32 v7, 0
	s_delay_alu instid0(VALU_DEP_2) | instskip(NEXT) | instid1(VALU_DEP_1)
	v_lshrrev_b32_e32 v1, 16, v1
	v_mul_lo_u16 v2, v1, 19
	s_delay_alu instid0(VALU_DEP_1)
	v_sub_nc_u16 v8, v0, v2
	s_waitcnt lgkmcnt(0)
	s_cmp_eq_u32 s4, 1
	s_cselect_b32 s2, -1, 0
	s_cmp_lg_u32 s4, 1
	s_cselect_b32 s18, -1, 0
	s_lshl_b64 s[4:5], s[8:9], 3
	s_delay_alu instid0(SALU_CYCLE_1)
	s_add_u32 s6, s6, s4
	s_addc_u32 s7, s7, s5
	s_add_u32 s14, s6, 8
	s_addc_u32 s15, s7, 0
	;; [unrolled: 2-line block ×3, first 2 shown]
	s_cmp_eq_u64 s[10:11], 0
	s_load_b64 s[10:11], s[0:1], 0x58
	s_cselect_b32 s5, s15, s5
	s_cselect_b32 s4, s14, s4
	s_load_b64 s[16:17], s[6:7], 0x0
	s_load_b64 s[14:15], s[4:5], 0x0
	s_waitcnt lgkmcnt(0)
	v_cmp_ge_i64_e64 s4, s[16:17], s[14:15]
	s_delay_alu instid0(VALU_DEP_1)
	s_and_b32 vcc_lo, exec_lo, s4
	s_cbranch_vccnz .LBB226_16
; %bb.12:
	v_mul_lo_u16 v2, v1, 14
	v_and_b32_e32 v3, 0xffff, v0
	s_clause 0x1
	s_load_b128 s[4:7], s[0:1], 0x38
	s_load_b64 s[20:21], s[0:1], 0x48
	s_sub_u32 s0, s14, s12
	s_subb_u32 s1, s15, 0
	v_lshrrev_b16 v2, 8, v2
	v_mul_u32_u24_e32 v3, 0xb6, v3
	s_sub_u32 s14, s16, s12
	v_dual_mov_b32 v7, 0 :: v_dual_and_b32 v4, 0xffff, v8
	s_delay_alu instid0(VALU_DEP_3) | instskip(NEXT) | instid1(VALU_DEP_3)
	v_mul_lo_u16 v2, v2, 19
	v_lshrrev_b32_e32 v9, 16, v3
	s_subb_u32 s15, s17, 0
	s_mul_hi_u32 s19, s14, 0x169
	s_mul_i32 s23, s15, 0x169
	v_sub_nc_u16 v1, v1, v2
	v_add_co_u32 v2, s16, s16, v9
	s_delay_alu instid0(VALU_DEP_1) | instskip(NEXT) | instid1(VALU_DEP_3)
	v_add_co_ci_u32_e64 v5, null, s17, 0, s16
	v_and_b32_e32 v1, 0xff, v1
	s_delay_alu instid0(VALU_DEP_3) | instskip(SKIP_2) | instid1(VALU_DEP_2)
	v_sub_co_u32 v3, vcc_lo, v2, s12
	s_mul_i32 s22, s14, 0x169
	s_add_i32 s19, s19, s23
	v_cndmask_b32_e64 v1, v4, v1, s2
	v_subrev_co_ci_u32_e32 v4, vcc_lo, 0, v5, vcc_lo
	s_waitcnt lgkmcnt(0)
	s_delay_alu instid0(VALU_DEP_2) | instskip(NEXT) | instid1(VALU_DEP_2)
	v_add_co_u32 v1, s2, s20, v1
	v_lshlrev_b64 v[5:6], 3, v[3:4]
	v_add_co_ci_u32_e64 v2, null, s21, 0, s2
	s_add_u32 s2, s6, s22
	s_addc_u32 s6, s7, s19
	v_add_co_u32 v3, s2, s2, v0
	s_delay_alu instid0(VALU_DEP_3)
	v_add_co_u32 v5, vcc_lo, s4, v5
	v_add_co_ci_u32_e64 v4, null, s6, 0, s2
	v_add_co_ci_u32_e32 v6, vcc_lo, s5, v6, vcc_lo
	s_set_inst_prefetch_distance 0x1
	s_branch .LBB226_14
	.p2align	6
.LBB226_13:                             ;   in Loop: Header=BB226_14 Depth=1
	s_or_b32 exec_lo, exec_lo, s2
	s_add_u32 s14, s14, 1
	s_addc_u32 s15, s15, 0
	v_add_co_u32 v5, vcc_lo, v5, 8
	v_cmp_lt_i64_e64 s2, s[14:15], s[0:1]
	v_add_co_ci_u32_e32 v6, vcc_lo, 0, v6, vcc_lo
	s_delay_alu instid0(VALU_DEP_2)
	s_and_b32 vcc_lo, exec_lo, s2
	s_cbranch_vccz .LBB226_16
.LBB226_14:                             ; =>This Inner Loop Header: Depth=1
	v_add_co_u32 v10, s2, v9, s14
	s_delay_alu instid0(VALU_DEP_1) | instskip(SKIP_1) | instid1(VALU_DEP_1)
	v_add_co_ci_u32_e64 v11, null, 0, s15, s2
	s_mov_b32 s2, exec_lo
	v_cmpx_gt_i64_e64 s[0:1], v[10:11]
	s_cbranch_execz .LBB226_13
; %bb.15:                               ;   in Loop: Header=BB226_14 Depth=1
	global_load_b64 v[10:11], v[5:6], off
	s_waitcnt vmcnt(0)
	v_sub_co_u32 v12, vcc_lo, v10, s12
	v_subrev_co_ci_u32_e32 v14, vcc_lo, 0, v11, vcc_lo
	s_delay_alu instid0(VALU_DEP_2) | instskip(NEXT) | instid1(VALU_DEP_1)
	v_mad_u64_u32 v[10:11], null, v12, 19, v[1:2]
	v_mad_u64_u32 v[12:13], null, v14, 19, v[11:12]
	s_delay_alu instid0(VALU_DEP_1)
	v_mov_b32_e32 v11, v12
	global_load_i8 v12, v[3:4], off
	global_load_i8 v10, v[10:11], off
	v_add_co_u32 v3, vcc_lo, 0x169, v3
	v_add_co_ci_u32_e32 v4, vcc_lo, 0, v4, vcc_lo
	s_waitcnt vmcnt(0)
	v_mad_i32_i24 v7, v10, v12, v7
	s_branch .LBB226_13
.LBB226_16:
	s_set_inst_prefetch_distance 0x2
	v_lshlrev_b32_e32 v1, 2, v0
	s_and_b32 vcc_lo, exec_lo, s18
	ds_store_b32 v1, v7
	s_waitcnt lgkmcnt(0)
	s_barrier
	buffer_gl0_inv
	s_cbranch_vccz .LBB226_28
; %bb.17:
	s_mov_b32 s0, exec_lo
	v_cmpx_gt_u16_e32 3, v8
	s_cbranch_execz .LBB226_19
; %bb.18:
	ds_load_2addr_b32 v[2:3], v1 offset1:16
	s_waitcnt lgkmcnt(0)
	v_add_nc_u32_e32 v2, v2, v3
	ds_store_b32 v1, v2
.LBB226_19:
	s_or_b32 exec_lo, exec_lo, s0
	s_delay_alu instid0(SALU_CYCLE_1)
	s_mov_b32 s0, exec_lo
	s_waitcnt lgkmcnt(0)
	s_barrier
	buffer_gl0_inv
	v_cmpx_gt_u16_e32 8, v8
	s_cbranch_execz .LBB226_21
; %bb.20:
	ds_load_2addr_b32 v[2:3], v1 offset1:8
	s_waitcnt lgkmcnt(0)
	v_add_nc_u32_e32 v2, v2, v3
	ds_store_b32 v1, v2
.LBB226_21:
	s_or_b32 exec_lo, exec_lo, s0
	s_delay_alu instid0(SALU_CYCLE_1)
	s_mov_b32 s0, exec_lo
	s_waitcnt lgkmcnt(0)
	s_barrier
	buffer_gl0_inv
	v_cmpx_gt_u16_e32 4, v8
	s_cbranch_execz .LBB226_23
; %bb.22:
	ds_load_2addr_b32 v[2:3], v1 offset1:4
	s_waitcnt lgkmcnt(0)
	v_add_nc_u32_e32 v2, v2, v3
	ds_store_b32 v1, v2
.LBB226_23:
	s_or_b32 exec_lo, exec_lo, s0
	s_delay_alu instid0(SALU_CYCLE_1)
	s_mov_b32 s0, exec_lo
	s_waitcnt lgkmcnt(0)
	s_barrier
	buffer_gl0_inv
	v_cmpx_gt_u16_e32 2, v8
	s_cbranch_execz .LBB226_25
; %bb.24:
	ds_load_2addr_b32 v[2:3], v1 offset1:2
	s_waitcnt lgkmcnt(0)
	v_add_nc_u32_e32 v2, v2, v3
	ds_store_b32 v1, v2
.LBB226_25:
	s_or_b32 exec_lo, exec_lo, s0
	s_mov_b32 s1, 0
	s_mov_b32 s0, 0
	s_mov_b32 s2, exec_lo
	s_waitcnt lgkmcnt(0)
	s_barrier
	buffer_gl0_inv
                                        ; implicit-def: $vgpr2
                                        ; implicit-def: $vgpr3
	v_cmpx_gt_u32_e32 19, v0
	s_xor_b32 s2, exec_lo, s2
; %bb.26:
	v_mul_u32_u24_e32 v3, 19, v0
	v_mad_u32_u24 v2, v0, 19, 1
	s_mov_b32 s0, exec_lo
	s_delay_alu instid0(VALU_DEP_2)
	v_lshlrev_b32_e32 v3, 2, v3
; %bb.27:
	s_or_b32 exec_lo, exec_lo, s2
	s_delay_alu instid0(SALU_CYCLE_1)
	s_and_b32 vcc_lo, exec_lo, s1
	s_cbranch_vccnz .LBB226_29
	s_branch .LBB226_40
.LBB226_28:
	s_mov_b32 s0, 0
                                        ; implicit-def: $vgpr2
                                        ; implicit-def: $vgpr3
	s_cbranch_execz .LBB226_40
.LBB226_29:
	s_mov_b32 s1, exec_lo
	v_cmpx_gt_u32_e32 57, v0
	s_cbranch_execz .LBB226_31
; %bb.30:
	ds_load_b32 v2, v1 offset:1216
	ds_load_b32 v3, v1
	s_waitcnt lgkmcnt(0)
	v_add_nc_u32_e32 v2, v3, v2
	ds_store_b32 v1, v2
.LBB226_31:
	s_or_b32 exec_lo, exec_lo, s1
	s_delay_alu instid0(SALU_CYCLE_1)
	s_mov_b32 s1, exec_lo
	s_waitcnt lgkmcnt(0)
	s_barrier
	buffer_gl0_inv
	v_cmpx_gt_u32_e32 0x98, v0
	s_cbranch_execz .LBB226_33
; %bb.32:
	ds_load_2addr_b32 v[2:3], v1 offset1:152
	s_waitcnt lgkmcnt(0)
	v_add_nc_u32_e32 v2, v2, v3
	ds_store_b32 v1, v2
.LBB226_33:
	s_or_b32 exec_lo, exec_lo, s1
	s_delay_alu instid0(SALU_CYCLE_1)
	s_mov_b32 s1, exec_lo
	s_waitcnt lgkmcnt(0)
	s_barrier
	buffer_gl0_inv
	v_cmpx_gt_u32_e32 0x4c, v0
	s_cbranch_execz .LBB226_35
; %bb.34:
	ds_load_2addr_b32 v[2:3], v1 offset1:76
	s_waitcnt lgkmcnt(0)
	v_add_nc_u32_e32 v2, v2, v3
	ds_store_b32 v1, v2
.LBB226_35:
	;; [unrolled: 14-line block ×3, first 2 shown]
	s_or_b32 exec_lo, exec_lo, s1
	s_delay_alu instid0(SALU_CYCLE_1)
	s_mov_b32 s1, exec_lo
	s_waitcnt lgkmcnt(0)
	buffer_gl0_inv
                                        ; implicit-def: $vgpr2
	v_cmpx_gt_u32_e32 19, v0
; %bb.38:
	v_add_nc_u32_e32 v2, 19, v0
	s_or_b32 s0, s0, exec_lo
                                        ; implicit-def: $vgpr7
; %bb.39:
	s_or_b32 exec_lo, exec_lo, s1
	v_mov_b32_e32 v3, v1
.LBB226_40:
	s_and_saveexec_b32 s1, s0
	s_cbranch_execz .LBB226_42
; %bb.41:
	v_lshlrev_b32_e32 v1, 2, v2
	ds_load_b32 v2, v3
	ds_load_b32 v1, v1
	s_waitcnt lgkmcnt(0)
	v_add_nc_u32_e32 v7, v1, v2
.LBB226_42:
	s_or_b32 exec_lo, exec_lo, s1
	s_delay_alu instid0(SALU_CYCLE_1)
	s_mov_b32 s0, exec_lo
	v_cmpx_gt_u32_e32 19, v0
	s_cbranch_execz .LBB226_46
; %bb.43:
	v_mul_lo_u32 v1, v7, s13
	s_mov_b32 s4, 0
	s_cmp_eq_u32 s3, 0
	s_mul_i32 s0, s9, 0x4c
	s_mul_hi_u32 s1, s8, 0x4c
	s_mul_i32 s2, s8, 0x4c
	s_cbranch_scc1 .LBB226_47
; %bb.44:
	v_lshlrev_b32_e32 v4, 2, v0
	s_add_i32 s5, s1, s0
	s_add_u32 s6, s10, s2
	s_addc_u32 s7, s11, s5
	global_load_b32 v5, v4, s[6:7]
	s_waitcnt vmcnt(0)
	v_mad_u64_u32 v[2:3], null, v5, s3, v[1:2]
	global_store_b32 v4, v2, s[6:7]
	s_and_not1_b32 vcc_lo, exec_lo, s4
	s_cbranch_vccnz .LBB226_46
.LBB226_45:
	v_lshlrev_b32_e32 v0, 2, v0
	s_add_i32 s1, s1, s0
	s_add_u32 s0, s10, s2
	s_addc_u32 s1, s11, s1
	global_store_b32 v0, v1, s[0:1]
.LBB226_46:
	s_nop 0
	s_sendmsg sendmsg(MSG_DEALLOC_VGPRS)
	s_endpgm
.LBB226_47:
	s_branch .LBB226_45
	.section	.rodata,"a",@progbits
	.p2align	6, 0x0
	.amdhsa_kernel _ZN9rocsparseL20bsrxmvn_17_32_kernelILj19EillaaiEEvT2_20rocsparse_direction_NS_24const_host_device_scalarIT0_EES1_PKS1_PKT1_SA_S7_PKT3_PKT4_S5_PT5_21rocsparse_index_base_b
		.amdhsa_group_segment_fixed_size 1444
		.amdhsa_private_segment_fixed_size 0
		.amdhsa_kernarg_size 104
		.amdhsa_user_sgpr_count 15
		.amdhsa_user_sgpr_dispatch_ptr 0
		.amdhsa_user_sgpr_queue_ptr 0
		.amdhsa_user_sgpr_kernarg_segment_ptr 1
		.amdhsa_user_sgpr_dispatch_id 0
		.amdhsa_user_sgpr_private_segment_size 0
		.amdhsa_wavefront_size32 1
		.amdhsa_uses_dynamic_stack 0
		.amdhsa_enable_private_segment 0
		.amdhsa_system_sgpr_workgroup_id_x 1
		.amdhsa_system_sgpr_workgroup_id_y 0
		.amdhsa_system_sgpr_workgroup_id_z 0
		.amdhsa_system_sgpr_workgroup_info 0
		.amdhsa_system_vgpr_workitem_id 0
		.amdhsa_next_free_vgpr 15
		.amdhsa_next_free_sgpr 24
		.amdhsa_reserve_vcc 1
		.amdhsa_float_round_mode_32 0
		.amdhsa_float_round_mode_16_64 0
		.amdhsa_float_denorm_mode_32 3
		.amdhsa_float_denorm_mode_16_64 3
		.amdhsa_dx10_clamp 1
		.amdhsa_ieee_mode 1
		.amdhsa_fp16_overflow 0
		.amdhsa_workgroup_processor_mode 1
		.amdhsa_memory_ordered 1
		.amdhsa_forward_progress 0
		.amdhsa_shared_vgpr_count 0
		.amdhsa_exception_fp_ieee_invalid_op 0
		.amdhsa_exception_fp_denorm_src 0
		.amdhsa_exception_fp_ieee_div_zero 0
		.amdhsa_exception_fp_ieee_overflow 0
		.amdhsa_exception_fp_ieee_underflow 0
		.amdhsa_exception_fp_ieee_inexact 0
		.amdhsa_exception_int_div_zero 0
	.end_amdhsa_kernel
	.section	.text._ZN9rocsparseL20bsrxmvn_17_32_kernelILj19EillaaiEEvT2_20rocsparse_direction_NS_24const_host_device_scalarIT0_EES1_PKS1_PKT1_SA_S7_PKT3_PKT4_S5_PT5_21rocsparse_index_base_b,"axG",@progbits,_ZN9rocsparseL20bsrxmvn_17_32_kernelILj19EillaaiEEvT2_20rocsparse_direction_NS_24const_host_device_scalarIT0_EES1_PKS1_PKT1_SA_S7_PKT3_PKT4_S5_PT5_21rocsparse_index_base_b,comdat
.Lfunc_end226:
	.size	_ZN9rocsparseL20bsrxmvn_17_32_kernelILj19EillaaiEEvT2_20rocsparse_direction_NS_24const_host_device_scalarIT0_EES1_PKS1_PKT1_SA_S7_PKT3_PKT4_S5_PT5_21rocsparse_index_base_b, .Lfunc_end226-_ZN9rocsparseL20bsrxmvn_17_32_kernelILj19EillaaiEEvT2_20rocsparse_direction_NS_24const_host_device_scalarIT0_EES1_PKS1_PKT1_SA_S7_PKT3_PKT4_S5_PT5_21rocsparse_index_base_b
                                        ; -- End function
	.section	.AMDGPU.csdata,"",@progbits
; Kernel info:
; codeLenInByte = 1672
; NumSgprs: 26
; NumVgprs: 15
; ScratchSize: 0
; MemoryBound: 0
; FloatMode: 240
; IeeeMode: 1
; LDSByteSize: 1444 bytes/workgroup (compile time only)
; SGPRBlocks: 3
; VGPRBlocks: 1
; NumSGPRsForWavesPerEU: 26
; NumVGPRsForWavesPerEU: 15
; Occupancy: 15
; WaveLimiterHint : 1
; COMPUTE_PGM_RSRC2:SCRATCH_EN: 0
; COMPUTE_PGM_RSRC2:USER_SGPR: 15
; COMPUTE_PGM_RSRC2:TRAP_HANDLER: 0
; COMPUTE_PGM_RSRC2:TGID_X_EN: 1
; COMPUTE_PGM_RSRC2:TGID_Y_EN: 0
; COMPUTE_PGM_RSRC2:TGID_Z_EN: 0
; COMPUTE_PGM_RSRC2:TIDIG_COMP_CNT: 0
	.section	.text._ZN9rocsparseL20bsrxmvn_17_32_kernelILj20EillaaiEEvT2_20rocsparse_direction_NS_24const_host_device_scalarIT0_EES1_PKS1_PKT1_SA_S7_PKT3_PKT4_S5_PT5_21rocsparse_index_base_b,"axG",@progbits,_ZN9rocsparseL20bsrxmvn_17_32_kernelILj20EillaaiEEvT2_20rocsparse_direction_NS_24const_host_device_scalarIT0_EES1_PKS1_PKT1_SA_S7_PKT3_PKT4_S5_PT5_21rocsparse_index_base_b,comdat
	.globl	_ZN9rocsparseL20bsrxmvn_17_32_kernelILj20EillaaiEEvT2_20rocsparse_direction_NS_24const_host_device_scalarIT0_EES1_PKS1_PKT1_SA_S7_PKT3_PKT4_S5_PT5_21rocsparse_index_base_b ; -- Begin function _ZN9rocsparseL20bsrxmvn_17_32_kernelILj20EillaaiEEvT2_20rocsparse_direction_NS_24const_host_device_scalarIT0_EES1_PKS1_PKT1_SA_S7_PKT3_PKT4_S5_PT5_21rocsparse_index_base_b
	.p2align	8
	.type	_ZN9rocsparseL20bsrxmvn_17_32_kernelILj20EillaaiEEvT2_20rocsparse_direction_NS_24const_host_device_scalarIT0_EES1_PKS1_PKT1_SA_S7_PKT3_PKT4_S5_PT5_21rocsparse_index_base_b,@function
_ZN9rocsparseL20bsrxmvn_17_32_kernelILj20EillaaiEEvT2_20rocsparse_direction_NS_24const_host_device_scalarIT0_EES1_PKS1_PKT1_SA_S7_PKT3_PKT4_S5_PT5_21rocsparse_index_base_b: ; @_ZN9rocsparseL20bsrxmvn_17_32_kernelILj20EillaaiEEvT2_20rocsparse_direction_NS_24const_host_device_scalarIT0_EES1_PKS1_PKT1_SA_S7_PKT3_PKT4_S5_PT5_21rocsparse_index_base_b
; %bb.0:
	s_clause 0x1
	s_load_b64 s[12:13], s[0:1], 0x60
	s_load_b64 s[4:5], s[0:1], 0x10
	s_mov_b32 s8, s15
	s_mov_b32 s7, -1
	s_waitcnt lgkmcnt(0)
	s_bitcmp1_b32 s13, 0
                                        ; implicit-def: $sgpr13
	s_cselect_b32 s2, -1, 0
	s_delay_alu instid0(SALU_CYCLE_1) | instskip(NEXT) | instid1(SALU_CYCLE_1)
	s_xor_b32 s6, s2, -1
	s_and_b32 vcc_lo, exec_lo, s6
	s_cbranch_vccnz .LBB227_4
; %bb.1:
	s_load_b64 s[2:3], s[0:1], 0x50
	s_and_not1_b32 vcc_lo, exec_lo, s7
	s_cbranch_vccz .LBB227_5
.LBB227_2:
	s_and_b32 vcc_lo, exec_lo, s6
	s_cbranch_vccz .LBB227_6
.LBB227_3:
	s_waitcnt lgkmcnt(0)
	s_load_b32 s3, s[2:3], 0x0
	s_cbranch_execz .LBB227_7
	s_branch .LBB227_8
.LBB227_4:
	s_load_b32 s13, s[4:5], 0x0
	s_load_b64 s[2:3], s[0:1], 0x50
	s_cbranch_execnz .LBB227_2
.LBB227_5:
	s_waitcnt lgkmcnt(0)
	s_mov_b32 s13, s4
	s_and_b32 vcc_lo, exec_lo, s6
	s_cbranch_vccnz .LBB227_3
.LBB227_6:
                                        ; implicit-def: $sgpr3
.LBB227_7:
	s_waitcnt lgkmcnt(0)
	s_mov_b32 s3, s2
.LBB227_8:
	s_waitcnt lgkmcnt(0)
	s_cmp_lg_u32 s13, 0
	s_mov_b32 s9, 0
	s_cselect_b32 s2, -1, 0
	s_cmp_lg_u32 s3, 1
	s_cselect_b32 s4, -1, 0
	s_delay_alu instid0(SALU_CYCLE_1) | instskip(NEXT) | instid1(SALU_CYCLE_1)
	s_or_b32 s2, s2, s4
	s_and_not1_b32 vcc_lo, exec_lo, s2
	s_cbranch_vccnz .LBB227_46
; %bb.9:
	s_clause 0x1
	s_load_b128 s[4:7], s[0:1], 0x20
	s_load_b64 s[10:11], s[0:1], 0x30
	s_waitcnt lgkmcnt(0)
	s_cmp_eq_u64 s[4:5], 0
	s_cbranch_scc1 .LBB227_11
; %bb.10:
	s_lshl_b64 s[8:9], s[8:9], 3
	s_delay_alu instid0(SALU_CYCLE_1)
	s_add_u32 s4, s4, s8
	s_addc_u32 s5, s5, s9
	s_load_b64 s[4:5], s[4:5], 0x0
	s_waitcnt lgkmcnt(0)
	s_sub_u32 s8, s4, s12
	s_subb_u32 s9, s5, 0
.LBB227_11:
	s_load_b32 s4, s[0:1], 0x8
	v_mul_u32_u24_e32 v1, 0xccd, v0
	v_mov_b32_e32 v7, 0
	s_delay_alu instid0(VALU_DEP_2) | instskip(NEXT) | instid1(VALU_DEP_1)
	v_lshrrev_b32_e32 v1, 16, v1
	v_mul_lo_u16 v2, v1, 20
	s_delay_alu instid0(VALU_DEP_1)
	v_sub_nc_u16 v8, v0, v2
	s_waitcnt lgkmcnt(0)
	s_cmp_eq_u32 s4, 1
	s_cselect_b32 s2, -1, 0
	s_cmp_lg_u32 s4, 1
	s_cselect_b32 s18, -1, 0
	s_lshl_b64 s[4:5], s[8:9], 3
	s_delay_alu instid0(SALU_CYCLE_1)
	s_add_u32 s6, s6, s4
	s_addc_u32 s7, s7, s5
	s_add_u32 s14, s6, 8
	s_addc_u32 s15, s7, 0
	;; [unrolled: 2-line block ×3, first 2 shown]
	s_cmp_eq_u64 s[10:11], 0
	s_load_b64 s[10:11], s[0:1], 0x58
	s_cselect_b32 s5, s15, s5
	s_cselect_b32 s4, s14, s4
	s_load_b64 s[16:17], s[6:7], 0x0
	s_load_b64 s[14:15], s[4:5], 0x0
	s_waitcnt lgkmcnt(0)
	v_cmp_ge_i64_e64 s4, s[16:17], s[14:15]
	s_delay_alu instid0(VALU_DEP_1)
	s_and_b32 vcc_lo, exec_lo, s4
	s_cbranch_vccnz .LBB227_16
; %bb.12:
	v_mul_lo_u16 v2, v1, 13
	v_and_b32_e32 v3, 0xffff, v0
	s_clause 0x1
	s_load_b128 s[4:7], s[0:1], 0x38
	s_load_b64 s[20:21], s[0:1], 0x48
	s_sub_u32 s0, s14, s12
	s_subb_u32 s1, s15, 0
	v_lshrrev_b16 v2, 8, v2
	v_mul_u32_u24_e32 v3, 0xa4, v3
	s_sub_u32 s14, s16, s12
	v_dual_mov_b32 v7, 0 :: v_dual_and_b32 v4, 0xffff, v8
	s_delay_alu instid0(VALU_DEP_3) | instskip(NEXT) | instid1(VALU_DEP_3)
	v_mul_lo_u16 v2, v2, 20
	v_lshrrev_b32_e32 v9, 16, v3
	s_subb_u32 s15, s17, 0
	s_mul_hi_u32 s19, s14, 0x190
	s_mul_i32 s23, s15, 0x190
	v_sub_nc_u16 v1, v1, v2
	v_add_co_u32 v2, s16, s16, v9
	s_delay_alu instid0(VALU_DEP_1) | instskip(NEXT) | instid1(VALU_DEP_3)
	v_add_co_ci_u32_e64 v5, null, s17, 0, s16
	v_and_b32_e32 v1, 0xff, v1
	s_delay_alu instid0(VALU_DEP_3) | instskip(SKIP_2) | instid1(VALU_DEP_2)
	v_sub_co_u32 v3, vcc_lo, v2, s12
	s_mul_i32 s22, s14, 0x190
	s_add_i32 s19, s19, s23
	v_cndmask_b32_e64 v1, v4, v1, s2
	v_subrev_co_ci_u32_e32 v4, vcc_lo, 0, v5, vcc_lo
	s_waitcnt lgkmcnt(0)
	s_delay_alu instid0(VALU_DEP_2) | instskip(NEXT) | instid1(VALU_DEP_2)
	v_add_co_u32 v1, s2, s20, v1
	v_lshlrev_b64 v[5:6], 3, v[3:4]
	v_add_co_ci_u32_e64 v2, null, s21, 0, s2
	s_add_u32 s2, s6, s22
	s_addc_u32 s6, s7, s19
	v_add_co_u32 v3, s2, s2, v0
	s_delay_alu instid0(VALU_DEP_3)
	v_add_co_u32 v5, vcc_lo, s4, v5
	v_add_co_ci_u32_e64 v4, null, s6, 0, s2
	v_add_co_ci_u32_e32 v6, vcc_lo, s5, v6, vcc_lo
	s_set_inst_prefetch_distance 0x1
	s_branch .LBB227_14
	.p2align	6
.LBB227_13:                             ;   in Loop: Header=BB227_14 Depth=1
	s_or_b32 exec_lo, exec_lo, s2
	s_add_u32 s14, s14, 1
	s_addc_u32 s15, s15, 0
	v_add_co_u32 v5, vcc_lo, v5, 8
	v_cmp_lt_i64_e64 s2, s[14:15], s[0:1]
	v_add_co_ci_u32_e32 v6, vcc_lo, 0, v6, vcc_lo
	s_delay_alu instid0(VALU_DEP_2)
	s_and_b32 vcc_lo, exec_lo, s2
	s_cbranch_vccz .LBB227_16
.LBB227_14:                             ; =>This Inner Loop Header: Depth=1
	v_add_co_u32 v10, s2, v9, s14
	s_delay_alu instid0(VALU_DEP_1) | instskip(SKIP_1) | instid1(VALU_DEP_1)
	v_add_co_ci_u32_e64 v11, null, 0, s15, s2
	s_mov_b32 s2, exec_lo
	v_cmpx_gt_i64_e64 s[0:1], v[10:11]
	s_cbranch_execz .LBB227_13
; %bb.15:                               ;   in Loop: Header=BB227_14 Depth=1
	global_load_b64 v[10:11], v[5:6], off
	s_waitcnt vmcnt(0)
	v_sub_co_u32 v12, vcc_lo, v10, s12
	v_subrev_co_ci_u32_e32 v14, vcc_lo, 0, v11, vcc_lo
	s_delay_alu instid0(VALU_DEP_2) | instskip(NEXT) | instid1(VALU_DEP_1)
	v_mad_u64_u32 v[10:11], null, v12, 20, v[1:2]
	v_mad_u64_u32 v[12:13], null, v14, 20, v[11:12]
	s_delay_alu instid0(VALU_DEP_1)
	v_mov_b32_e32 v11, v12
	global_load_i8 v12, v[3:4], off
	global_load_i8 v10, v[10:11], off
	v_add_co_u32 v3, vcc_lo, 0x190, v3
	v_add_co_ci_u32_e32 v4, vcc_lo, 0, v4, vcc_lo
	s_waitcnt vmcnt(0)
	v_mad_i32_i24 v7, v10, v12, v7
	s_branch .LBB227_13
.LBB227_16:
	s_set_inst_prefetch_distance 0x2
	v_lshlrev_b32_e32 v1, 2, v0
	s_and_b32 vcc_lo, exec_lo, s18
	ds_store_b32 v1, v7
	s_waitcnt lgkmcnt(0)
	s_barrier
	buffer_gl0_inv
	s_cbranch_vccz .LBB227_28
; %bb.17:
	v_cmp_gt_u16_e32 vcc_lo, 4, v8
	s_and_saveexec_b32 s0, vcc_lo
	s_cbranch_execz .LBB227_19
; %bb.18:
	ds_load_2addr_b32 v[2:3], v1 offset1:16
	s_waitcnt lgkmcnt(0)
	v_add_nc_u32_e32 v2, v2, v3
	ds_store_b32 v1, v2
.LBB227_19:
	s_or_b32 exec_lo, exec_lo, s0
	s_delay_alu instid0(SALU_CYCLE_1)
	s_mov_b32 s1, exec_lo
	s_waitcnt lgkmcnt(0)
	s_barrier
	buffer_gl0_inv
	v_cmpx_gt_u16_e32 8, v8
	s_cbranch_execz .LBB227_21
; %bb.20:
	ds_load_2addr_b32 v[2:3], v1 offset1:8
	s_waitcnt lgkmcnt(0)
	v_add_nc_u32_e32 v2, v2, v3
	ds_store_b32 v1, v2
.LBB227_21:
	s_or_b32 exec_lo, exec_lo, s1
	s_waitcnt lgkmcnt(0)
	s_barrier
	buffer_gl0_inv
	s_and_saveexec_b32 s0, vcc_lo
	s_cbranch_execz .LBB227_23
; %bb.22:
	ds_load_2addr_b32 v[2:3], v1 offset1:4
	s_waitcnt lgkmcnt(0)
	v_add_nc_u32_e32 v2, v2, v3
	ds_store_b32 v1, v2
.LBB227_23:
	s_or_b32 exec_lo, exec_lo, s0
	s_delay_alu instid0(SALU_CYCLE_1)
	s_mov_b32 s0, exec_lo
	s_waitcnt lgkmcnt(0)
	s_barrier
	buffer_gl0_inv
	v_cmpx_gt_u16_e32 2, v8
	s_cbranch_execz .LBB227_25
; %bb.24:
	ds_load_2addr_b32 v[2:3], v1 offset1:2
	s_waitcnt lgkmcnt(0)
	v_add_nc_u32_e32 v2, v2, v3
	ds_store_b32 v1, v2
.LBB227_25:
	s_or_b32 exec_lo, exec_lo, s0
	s_mov_b32 s0, 0
	s_mov_b32 s1, 0
	s_mov_b32 s2, exec_lo
	s_waitcnt lgkmcnt(0)
	s_barrier
	buffer_gl0_inv
                                        ; implicit-def: $vgpr2
                                        ; implicit-def: $vgpr3
	v_cmpx_gt_u32_e32 20, v0
	s_xor_b32 s2, exec_lo, s2
; %bb.26:
	v_mul_u32_u24_e32 v3, 20, v0
	s_mov_b32 s1, exec_lo
	s_delay_alu instid0(VALU_DEP_1)
	v_or_b32_e32 v2, 1, v3
	v_lshlrev_b32_e32 v3, 2, v3
; %bb.27:
	s_or_b32 exec_lo, exec_lo, s2
	s_delay_alu instid0(SALU_CYCLE_1)
	s_and_b32 vcc_lo, exec_lo, s0
	s_cbranch_vccnz .LBB227_29
	s_branch .LBB227_40
.LBB227_28:
	s_mov_b32 s1, 0
                                        ; implicit-def: $vgpr2
                                        ; implicit-def: $vgpr3
	s_cbranch_execz .LBB227_40
.LBB227_29:
	v_cmp_gt_u32_e32 vcc_lo, 0x50, v0
	s_and_saveexec_b32 s0, vcc_lo
	s_cbranch_execz .LBB227_31
; %bb.30:
	ds_load_2addr_stride64_b32 v[2:3], v1 offset1:5
	s_waitcnt lgkmcnt(0)
	v_add_nc_u32_e32 v2, v2, v3
	ds_store_b32 v1, v2
.LBB227_31:
	s_or_b32 exec_lo, exec_lo, s0
	s_delay_alu instid0(SALU_CYCLE_1)
	s_mov_b32 s2, exec_lo
	s_waitcnt lgkmcnt(0)
	s_barrier
	buffer_gl0_inv
	v_cmpx_gt_u32_e32 0xa0, v0
	s_cbranch_execz .LBB227_33
; %bb.32:
	ds_load_2addr_b32 v[2:3], v1 offset1:160
	s_waitcnt lgkmcnt(0)
	v_add_nc_u32_e32 v2, v2, v3
	ds_store_b32 v1, v2
.LBB227_33:
	s_or_b32 exec_lo, exec_lo, s2
	s_waitcnt lgkmcnt(0)
	s_barrier
	buffer_gl0_inv
	s_and_saveexec_b32 s0, vcc_lo
	s_cbranch_execz .LBB227_35
; %bb.34:
	ds_load_2addr_b32 v[2:3], v1 offset1:80
	s_waitcnt lgkmcnt(0)
	v_add_nc_u32_e32 v2, v2, v3
	ds_store_b32 v1, v2
.LBB227_35:
	s_or_b32 exec_lo, exec_lo, s0
	s_delay_alu instid0(SALU_CYCLE_1)
	s_mov_b32 s0, exec_lo
	s_waitcnt lgkmcnt(0)
	s_barrier
	buffer_gl0_inv
	v_cmpx_gt_u32_e32 40, v0
	s_cbranch_execz .LBB227_37
; %bb.36:
	ds_load_2addr_b32 v[2:3], v1 offset1:40
	s_waitcnt lgkmcnt(0)
	v_add_nc_u32_e32 v2, v2, v3
	ds_store_b32 v1, v2
.LBB227_37:
	s_or_b32 exec_lo, exec_lo, s0
	s_delay_alu instid0(SALU_CYCLE_1)
	s_mov_b32 s0, exec_lo
	s_waitcnt lgkmcnt(0)
	buffer_gl0_inv
                                        ; implicit-def: $vgpr2
	v_cmpx_gt_u32_e32 20, v0
; %bb.38:
	v_add_nc_u32_e32 v2, 20, v0
	s_or_b32 s1, s1, exec_lo
                                        ; implicit-def: $vgpr7
; %bb.39:
	s_or_b32 exec_lo, exec_lo, s0
	v_mov_b32_e32 v3, v1
.LBB227_40:
	s_and_saveexec_b32 s0, s1
	s_cbranch_execz .LBB227_42
; %bb.41:
	v_lshlrev_b32_e32 v1, 2, v2
	ds_load_b32 v2, v3
	ds_load_b32 v1, v1
	s_waitcnt lgkmcnt(0)
	v_add_nc_u32_e32 v7, v1, v2
.LBB227_42:
	s_or_b32 exec_lo, exec_lo, s0
	s_delay_alu instid0(SALU_CYCLE_1)
	s_mov_b32 s0, exec_lo
	v_cmpx_gt_u32_e32 20, v0
	s_cbranch_execz .LBB227_46
; %bb.43:
	v_mul_lo_u32 v1, v7, s13
	s_mov_b32 s4, 0
	s_cmp_eq_u32 s3, 0
	s_mul_i32 s0, s9, 0x50
	s_mul_hi_u32 s1, s8, 0x50
	s_mul_i32 s2, s8, 0x50
	s_cbranch_scc1 .LBB227_47
; %bb.44:
	v_lshlrev_b32_e32 v4, 2, v0
	s_add_i32 s5, s1, s0
	s_add_u32 s6, s10, s2
	s_addc_u32 s7, s11, s5
	global_load_b32 v5, v4, s[6:7]
	s_waitcnt vmcnt(0)
	v_mad_u64_u32 v[2:3], null, v5, s3, v[1:2]
	global_store_b32 v4, v2, s[6:7]
	s_and_not1_b32 vcc_lo, exec_lo, s4
	s_cbranch_vccnz .LBB227_46
.LBB227_45:
	v_lshlrev_b32_e32 v0, 2, v0
	s_add_i32 s1, s1, s0
	s_add_u32 s0, s10, s2
	s_addc_u32 s1, s11, s1
	global_store_b32 v0, v1, s[0:1]
.LBB227_46:
	s_nop 0
	s_sendmsg sendmsg(MSG_DEALLOC_VGPRS)
	s_endpgm
.LBB227_47:
	s_branch .LBB227_45
	.section	.rodata,"a",@progbits
	.p2align	6, 0x0
	.amdhsa_kernel _ZN9rocsparseL20bsrxmvn_17_32_kernelILj20EillaaiEEvT2_20rocsparse_direction_NS_24const_host_device_scalarIT0_EES1_PKS1_PKT1_SA_S7_PKT3_PKT4_S5_PT5_21rocsparse_index_base_b
		.amdhsa_group_segment_fixed_size 1600
		.amdhsa_private_segment_fixed_size 0
		.amdhsa_kernarg_size 104
		.amdhsa_user_sgpr_count 15
		.amdhsa_user_sgpr_dispatch_ptr 0
		.amdhsa_user_sgpr_queue_ptr 0
		.amdhsa_user_sgpr_kernarg_segment_ptr 1
		.amdhsa_user_sgpr_dispatch_id 0
		.amdhsa_user_sgpr_private_segment_size 0
		.amdhsa_wavefront_size32 1
		.amdhsa_uses_dynamic_stack 0
		.amdhsa_enable_private_segment 0
		.amdhsa_system_sgpr_workgroup_id_x 1
		.amdhsa_system_sgpr_workgroup_id_y 0
		.amdhsa_system_sgpr_workgroup_id_z 0
		.amdhsa_system_sgpr_workgroup_info 0
		.amdhsa_system_vgpr_workitem_id 0
		.amdhsa_next_free_vgpr 15
		.amdhsa_next_free_sgpr 24
		.amdhsa_reserve_vcc 1
		.amdhsa_float_round_mode_32 0
		.amdhsa_float_round_mode_16_64 0
		.amdhsa_float_denorm_mode_32 3
		.amdhsa_float_denorm_mode_16_64 3
		.amdhsa_dx10_clamp 1
		.amdhsa_ieee_mode 1
		.amdhsa_fp16_overflow 0
		.amdhsa_workgroup_processor_mode 1
		.amdhsa_memory_ordered 1
		.amdhsa_forward_progress 0
		.amdhsa_shared_vgpr_count 0
		.amdhsa_exception_fp_ieee_invalid_op 0
		.amdhsa_exception_fp_denorm_src 0
		.amdhsa_exception_fp_ieee_div_zero 0
		.amdhsa_exception_fp_ieee_overflow 0
		.amdhsa_exception_fp_ieee_underflow 0
		.amdhsa_exception_fp_ieee_inexact 0
		.amdhsa_exception_int_div_zero 0
	.end_amdhsa_kernel
	.section	.text._ZN9rocsparseL20bsrxmvn_17_32_kernelILj20EillaaiEEvT2_20rocsparse_direction_NS_24const_host_device_scalarIT0_EES1_PKS1_PKT1_SA_S7_PKT3_PKT4_S5_PT5_21rocsparse_index_base_b,"axG",@progbits,_ZN9rocsparseL20bsrxmvn_17_32_kernelILj20EillaaiEEvT2_20rocsparse_direction_NS_24const_host_device_scalarIT0_EES1_PKS1_PKT1_SA_S7_PKT3_PKT4_S5_PT5_21rocsparse_index_base_b,comdat
.Lfunc_end227:
	.size	_ZN9rocsparseL20bsrxmvn_17_32_kernelILj20EillaaiEEvT2_20rocsparse_direction_NS_24const_host_device_scalarIT0_EES1_PKS1_PKT1_SA_S7_PKT3_PKT4_S5_PT5_21rocsparse_index_base_b, .Lfunc_end227-_ZN9rocsparseL20bsrxmvn_17_32_kernelILj20EillaaiEEvT2_20rocsparse_direction_NS_24const_host_device_scalarIT0_EES1_PKS1_PKT1_SA_S7_PKT3_PKT4_S5_PT5_21rocsparse_index_base_b
                                        ; -- End function
	.section	.AMDGPU.csdata,"",@progbits
; Kernel info:
; codeLenInByte = 1644
; NumSgprs: 26
; NumVgprs: 15
; ScratchSize: 0
; MemoryBound: 0
; FloatMode: 240
; IeeeMode: 1
; LDSByteSize: 1600 bytes/workgroup (compile time only)
; SGPRBlocks: 3
; VGPRBlocks: 1
; NumSGPRsForWavesPerEU: 26
; NumVGPRsForWavesPerEU: 15
; Occupancy: 13
; WaveLimiterHint : 1
; COMPUTE_PGM_RSRC2:SCRATCH_EN: 0
; COMPUTE_PGM_RSRC2:USER_SGPR: 15
; COMPUTE_PGM_RSRC2:TRAP_HANDLER: 0
; COMPUTE_PGM_RSRC2:TGID_X_EN: 1
; COMPUTE_PGM_RSRC2:TGID_Y_EN: 0
; COMPUTE_PGM_RSRC2:TGID_Z_EN: 0
; COMPUTE_PGM_RSRC2:TIDIG_COMP_CNT: 0
	.section	.text._ZN9rocsparseL20bsrxmvn_17_32_kernelILj21EillaaiEEvT2_20rocsparse_direction_NS_24const_host_device_scalarIT0_EES1_PKS1_PKT1_SA_S7_PKT3_PKT4_S5_PT5_21rocsparse_index_base_b,"axG",@progbits,_ZN9rocsparseL20bsrxmvn_17_32_kernelILj21EillaaiEEvT2_20rocsparse_direction_NS_24const_host_device_scalarIT0_EES1_PKS1_PKT1_SA_S7_PKT3_PKT4_S5_PT5_21rocsparse_index_base_b,comdat
	.globl	_ZN9rocsparseL20bsrxmvn_17_32_kernelILj21EillaaiEEvT2_20rocsparse_direction_NS_24const_host_device_scalarIT0_EES1_PKS1_PKT1_SA_S7_PKT3_PKT4_S5_PT5_21rocsparse_index_base_b ; -- Begin function _ZN9rocsparseL20bsrxmvn_17_32_kernelILj21EillaaiEEvT2_20rocsparse_direction_NS_24const_host_device_scalarIT0_EES1_PKS1_PKT1_SA_S7_PKT3_PKT4_S5_PT5_21rocsparse_index_base_b
	.p2align	8
	.type	_ZN9rocsparseL20bsrxmvn_17_32_kernelILj21EillaaiEEvT2_20rocsparse_direction_NS_24const_host_device_scalarIT0_EES1_PKS1_PKT1_SA_S7_PKT3_PKT4_S5_PT5_21rocsparse_index_base_b,@function
_ZN9rocsparseL20bsrxmvn_17_32_kernelILj21EillaaiEEvT2_20rocsparse_direction_NS_24const_host_device_scalarIT0_EES1_PKS1_PKT1_SA_S7_PKT3_PKT4_S5_PT5_21rocsparse_index_base_b: ; @_ZN9rocsparseL20bsrxmvn_17_32_kernelILj21EillaaiEEvT2_20rocsparse_direction_NS_24const_host_device_scalarIT0_EES1_PKS1_PKT1_SA_S7_PKT3_PKT4_S5_PT5_21rocsparse_index_base_b
; %bb.0:
	s_clause 0x1
	s_load_b64 s[12:13], s[0:1], 0x60
	s_load_b64 s[4:5], s[0:1], 0x10
	s_mov_b32 s8, s15
	s_mov_b32 s7, -1
	s_waitcnt lgkmcnt(0)
	s_bitcmp1_b32 s13, 0
                                        ; implicit-def: $sgpr13
	s_cselect_b32 s2, -1, 0
	s_delay_alu instid0(SALU_CYCLE_1) | instskip(NEXT) | instid1(SALU_CYCLE_1)
	s_xor_b32 s6, s2, -1
	s_and_b32 vcc_lo, exec_lo, s6
	s_cbranch_vccnz .LBB228_4
; %bb.1:
	s_load_b64 s[2:3], s[0:1], 0x50
	s_and_not1_b32 vcc_lo, exec_lo, s7
	s_cbranch_vccz .LBB228_5
.LBB228_2:
	s_and_b32 vcc_lo, exec_lo, s6
	s_cbranch_vccz .LBB228_6
.LBB228_3:
	s_waitcnt lgkmcnt(0)
	s_load_b32 s3, s[2:3], 0x0
	s_cbranch_execz .LBB228_7
	s_branch .LBB228_8
.LBB228_4:
	s_load_b32 s13, s[4:5], 0x0
	s_load_b64 s[2:3], s[0:1], 0x50
	s_cbranch_execnz .LBB228_2
.LBB228_5:
	s_waitcnt lgkmcnt(0)
	s_mov_b32 s13, s4
	s_and_b32 vcc_lo, exec_lo, s6
	s_cbranch_vccnz .LBB228_3
.LBB228_6:
                                        ; implicit-def: $sgpr3
.LBB228_7:
	s_waitcnt lgkmcnt(0)
	s_mov_b32 s3, s2
.LBB228_8:
	s_waitcnt lgkmcnt(0)
	s_cmp_lg_u32 s13, 0
	s_mov_b32 s9, 0
	s_cselect_b32 s2, -1, 0
	s_cmp_lg_u32 s3, 1
	s_cselect_b32 s4, -1, 0
	s_delay_alu instid0(SALU_CYCLE_1) | instskip(NEXT) | instid1(SALU_CYCLE_1)
	s_or_b32 s2, s2, s4
	s_and_not1_b32 vcc_lo, exec_lo, s2
	s_cbranch_vccnz .LBB228_46
; %bb.9:
	s_clause 0x1
	s_load_b128 s[4:7], s[0:1], 0x20
	s_load_b64 s[10:11], s[0:1], 0x30
	s_waitcnt lgkmcnt(0)
	s_cmp_eq_u64 s[4:5], 0
	s_cbranch_scc1 .LBB228_11
; %bb.10:
	s_lshl_b64 s[8:9], s[8:9], 3
	s_delay_alu instid0(SALU_CYCLE_1)
	s_add_u32 s4, s4, s8
	s_addc_u32 s5, s5, s9
	s_load_b64 s[4:5], s[4:5], 0x0
	s_waitcnt lgkmcnt(0)
	s_sub_u32 s8, s4, s12
	s_subb_u32 s9, s5, 0
.LBB228_11:
	s_load_b32 s4, s[0:1], 0x8
	v_mul_u32_u24_e32 v1, 0xc31, v0
	v_mov_b32_e32 v7, 0
	s_delay_alu instid0(VALU_DEP_2) | instskip(NEXT) | instid1(VALU_DEP_1)
	v_lshrrev_b32_e32 v1, 16, v1
	v_mul_lo_u16 v2, v1, 21
	s_delay_alu instid0(VALU_DEP_1)
	v_sub_nc_u16 v8, v0, v2
	s_waitcnt lgkmcnt(0)
	s_cmp_eq_u32 s4, 1
	s_cselect_b32 s2, -1, 0
	s_cmp_lg_u32 s4, 1
	s_cselect_b32 s18, -1, 0
	s_lshl_b64 s[4:5], s[8:9], 3
	s_delay_alu instid0(SALU_CYCLE_1)
	s_add_u32 s6, s6, s4
	s_addc_u32 s7, s7, s5
	s_add_u32 s14, s6, 8
	s_addc_u32 s15, s7, 0
	;; [unrolled: 2-line block ×3, first 2 shown]
	s_cmp_eq_u64 s[10:11], 0
	s_load_b64 s[10:11], s[0:1], 0x58
	s_cselect_b32 s5, s15, s5
	s_cselect_b32 s4, s14, s4
	s_load_b64 s[16:17], s[6:7], 0x0
	s_load_b64 s[14:15], s[4:5], 0x0
	s_waitcnt lgkmcnt(0)
	v_cmp_ge_i64_e64 s4, s[16:17], s[14:15]
	s_delay_alu instid0(VALU_DEP_1)
	s_and_b32 vcc_lo, exec_lo, s4
	s_cbranch_vccnz .LBB228_16
; %bb.12:
	v_mul_lo_u16 v2, v1, 25
	v_and_b32_e32 v3, 0xffff, v0
	s_clause 0x1
	s_load_b128 s[4:7], s[0:1], 0x38
	s_load_b64 s[20:21], s[0:1], 0x48
	s_sub_u32 s0, s14, s12
	s_subb_u32 s1, s15, 0
	v_lshrrev_b16 v2, 9, v2
	v_mul_u32_u24_e32 v3, 0x253, v3
	s_sub_u32 s14, s16, s12
	v_dual_mov_b32 v7, 0 :: v_dual_and_b32 v4, 0xffff, v8
	s_delay_alu instid0(VALU_DEP_3) | instskip(NEXT) | instid1(VALU_DEP_3)
	v_mul_lo_u16 v2, v2, 21
	v_lshrrev_b32_e32 v9, 18, v3
	s_subb_u32 s15, s17, 0
	s_mul_hi_u32 s19, s14, 0x1b9
	s_mul_i32 s23, s15, 0x1b9
	v_sub_nc_u16 v1, v1, v2
	v_add_co_u32 v2, s16, s16, v9
	s_delay_alu instid0(VALU_DEP_1) | instskip(NEXT) | instid1(VALU_DEP_3)
	v_add_co_ci_u32_e64 v5, null, s17, 0, s16
	v_and_b32_e32 v1, 0xff, v1
	s_delay_alu instid0(VALU_DEP_3) | instskip(SKIP_2) | instid1(VALU_DEP_2)
	v_sub_co_u32 v3, vcc_lo, v2, s12
	s_mul_i32 s22, s14, 0x1b9
	s_add_i32 s19, s19, s23
	v_cndmask_b32_e64 v1, v4, v1, s2
	v_subrev_co_ci_u32_e32 v4, vcc_lo, 0, v5, vcc_lo
	s_waitcnt lgkmcnt(0)
	s_delay_alu instid0(VALU_DEP_2) | instskip(NEXT) | instid1(VALU_DEP_2)
	v_add_co_u32 v1, s2, s20, v1
	v_lshlrev_b64 v[5:6], 3, v[3:4]
	v_add_co_ci_u32_e64 v2, null, s21, 0, s2
	s_add_u32 s2, s6, s22
	s_addc_u32 s6, s7, s19
	v_add_co_u32 v3, s2, s2, v0
	s_delay_alu instid0(VALU_DEP_3)
	v_add_co_u32 v5, vcc_lo, s4, v5
	v_add_co_ci_u32_e64 v4, null, s6, 0, s2
	v_add_co_ci_u32_e32 v6, vcc_lo, s5, v6, vcc_lo
	s_set_inst_prefetch_distance 0x1
	s_branch .LBB228_14
	.p2align	6
.LBB228_13:                             ;   in Loop: Header=BB228_14 Depth=1
	s_or_b32 exec_lo, exec_lo, s2
	s_add_u32 s14, s14, 1
	s_addc_u32 s15, s15, 0
	v_add_co_u32 v5, vcc_lo, v5, 8
	v_cmp_lt_i64_e64 s2, s[14:15], s[0:1]
	v_add_co_ci_u32_e32 v6, vcc_lo, 0, v6, vcc_lo
	s_delay_alu instid0(VALU_DEP_2)
	s_and_b32 vcc_lo, exec_lo, s2
	s_cbranch_vccz .LBB228_16
.LBB228_14:                             ; =>This Inner Loop Header: Depth=1
	v_add_co_u32 v10, s2, v9, s14
	s_delay_alu instid0(VALU_DEP_1) | instskip(SKIP_1) | instid1(VALU_DEP_1)
	v_add_co_ci_u32_e64 v11, null, 0, s15, s2
	s_mov_b32 s2, exec_lo
	v_cmpx_gt_i64_e64 s[0:1], v[10:11]
	s_cbranch_execz .LBB228_13
; %bb.15:                               ;   in Loop: Header=BB228_14 Depth=1
	global_load_b64 v[10:11], v[5:6], off
	s_waitcnt vmcnt(0)
	v_sub_co_u32 v12, vcc_lo, v10, s12
	v_subrev_co_ci_u32_e32 v14, vcc_lo, 0, v11, vcc_lo
	s_delay_alu instid0(VALU_DEP_2) | instskip(NEXT) | instid1(VALU_DEP_1)
	v_mad_u64_u32 v[10:11], null, v12, 21, v[1:2]
	v_mad_u64_u32 v[12:13], null, v14, 21, v[11:12]
	s_delay_alu instid0(VALU_DEP_1)
	v_mov_b32_e32 v11, v12
	global_load_i8 v12, v[3:4], off
	global_load_i8 v10, v[10:11], off
	v_add_co_u32 v3, vcc_lo, 0x1b9, v3
	v_add_co_ci_u32_e32 v4, vcc_lo, 0, v4, vcc_lo
	s_waitcnt vmcnt(0)
	v_mad_i32_i24 v7, v10, v12, v7
	s_branch .LBB228_13
.LBB228_16:
	s_set_inst_prefetch_distance 0x2
	v_lshlrev_b32_e32 v1, 2, v0
	s_and_b32 vcc_lo, exec_lo, s18
	ds_store_b32 v1, v7
	s_waitcnt lgkmcnt(0)
	s_barrier
	buffer_gl0_inv
	s_cbranch_vccz .LBB228_28
; %bb.17:
	s_mov_b32 s0, exec_lo
	v_cmpx_gt_u16_e32 5, v8
	s_cbranch_execz .LBB228_19
; %bb.18:
	ds_load_2addr_b32 v[2:3], v1 offset1:16
	s_waitcnt lgkmcnt(0)
	v_add_nc_u32_e32 v2, v2, v3
	ds_store_b32 v1, v2
.LBB228_19:
	s_or_b32 exec_lo, exec_lo, s0
	s_delay_alu instid0(SALU_CYCLE_1)
	s_mov_b32 s0, exec_lo
	s_waitcnt lgkmcnt(0)
	s_barrier
	buffer_gl0_inv
	v_cmpx_gt_u16_e32 8, v8
	s_cbranch_execz .LBB228_21
; %bb.20:
	ds_load_2addr_b32 v[2:3], v1 offset1:8
	s_waitcnt lgkmcnt(0)
	v_add_nc_u32_e32 v2, v2, v3
	ds_store_b32 v1, v2
.LBB228_21:
	s_or_b32 exec_lo, exec_lo, s0
	s_delay_alu instid0(SALU_CYCLE_1)
	s_mov_b32 s0, exec_lo
	s_waitcnt lgkmcnt(0)
	s_barrier
	buffer_gl0_inv
	v_cmpx_gt_u16_e32 4, v8
	s_cbranch_execz .LBB228_23
; %bb.22:
	ds_load_2addr_b32 v[2:3], v1 offset1:4
	s_waitcnt lgkmcnt(0)
	v_add_nc_u32_e32 v2, v2, v3
	ds_store_b32 v1, v2
.LBB228_23:
	s_or_b32 exec_lo, exec_lo, s0
	s_delay_alu instid0(SALU_CYCLE_1)
	s_mov_b32 s0, exec_lo
	s_waitcnt lgkmcnt(0)
	s_barrier
	buffer_gl0_inv
	v_cmpx_gt_u16_e32 2, v8
	s_cbranch_execz .LBB228_25
; %bb.24:
	ds_load_2addr_b32 v[2:3], v1 offset1:2
	s_waitcnt lgkmcnt(0)
	v_add_nc_u32_e32 v2, v2, v3
	ds_store_b32 v1, v2
.LBB228_25:
	s_or_b32 exec_lo, exec_lo, s0
	s_mov_b32 s1, 0
	s_mov_b32 s0, 0
	s_mov_b32 s2, exec_lo
	s_waitcnt lgkmcnt(0)
	s_barrier
	buffer_gl0_inv
                                        ; implicit-def: $vgpr2
                                        ; implicit-def: $vgpr3
	v_cmpx_gt_u32_e32 21, v0
	s_xor_b32 s2, exec_lo, s2
; %bb.26:
	v_mul_u32_u24_e32 v3, 21, v0
	v_mad_u32_u24 v2, v0, 21, 1
	s_mov_b32 s0, exec_lo
	s_delay_alu instid0(VALU_DEP_2)
	v_lshlrev_b32_e32 v3, 2, v3
; %bb.27:
	s_or_b32 exec_lo, exec_lo, s2
	s_delay_alu instid0(SALU_CYCLE_1)
	s_and_b32 vcc_lo, exec_lo, s1
	s_cbranch_vccnz .LBB228_29
	s_branch .LBB228_40
.LBB228_28:
	s_mov_b32 s0, 0
                                        ; implicit-def: $vgpr2
                                        ; implicit-def: $vgpr3
	s_cbranch_execz .LBB228_40
.LBB228_29:
	s_mov_b32 s1, exec_lo
	v_cmpx_gt_u32_e32 0x69, v0
	s_cbranch_execz .LBB228_31
; %bb.30:
	ds_load_b32 v2, v1 offset:1344
	ds_load_b32 v3, v1
	s_waitcnt lgkmcnt(0)
	v_add_nc_u32_e32 v2, v3, v2
	ds_store_b32 v1, v2
.LBB228_31:
	s_or_b32 exec_lo, exec_lo, s1
	s_delay_alu instid0(SALU_CYCLE_1)
	s_mov_b32 s1, exec_lo
	s_waitcnt lgkmcnt(0)
	s_barrier
	buffer_gl0_inv
	v_cmpx_gt_u32_e32 0xa8, v0
	s_cbranch_execz .LBB228_33
; %bb.32:
	ds_load_2addr_b32 v[2:3], v1 offset1:168
	s_waitcnt lgkmcnt(0)
	v_add_nc_u32_e32 v2, v2, v3
	ds_store_b32 v1, v2
.LBB228_33:
	s_or_b32 exec_lo, exec_lo, s1
	s_delay_alu instid0(SALU_CYCLE_1)
	s_mov_b32 s1, exec_lo
	s_waitcnt lgkmcnt(0)
	s_barrier
	buffer_gl0_inv
	v_cmpx_gt_u32_e32 0x54, v0
	s_cbranch_execz .LBB228_35
; %bb.34:
	ds_load_2addr_b32 v[2:3], v1 offset1:84
	s_waitcnt lgkmcnt(0)
	v_add_nc_u32_e32 v2, v2, v3
	ds_store_b32 v1, v2
.LBB228_35:
	;; [unrolled: 14-line block ×3, first 2 shown]
	s_or_b32 exec_lo, exec_lo, s1
	s_delay_alu instid0(SALU_CYCLE_1)
	s_mov_b32 s1, exec_lo
	s_waitcnt lgkmcnt(0)
	buffer_gl0_inv
                                        ; implicit-def: $vgpr2
	v_cmpx_gt_u32_e32 21, v0
; %bb.38:
	v_add_nc_u32_e32 v2, 21, v0
	s_or_b32 s0, s0, exec_lo
                                        ; implicit-def: $vgpr7
; %bb.39:
	s_or_b32 exec_lo, exec_lo, s1
	v_mov_b32_e32 v3, v1
.LBB228_40:
	s_and_saveexec_b32 s1, s0
	s_cbranch_execz .LBB228_42
; %bb.41:
	v_lshlrev_b32_e32 v1, 2, v2
	ds_load_b32 v2, v3
	ds_load_b32 v1, v1
	s_waitcnt lgkmcnt(0)
	v_add_nc_u32_e32 v7, v1, v2
.LBB228_42:
	s_or_b32 exec_lo, exec_lo, s1
	s_delay_alu instid0(SALU_CYCLE_1)
	s_mov_b32 s0, exec_lo
	v_cmpx_gt_u32_e32 21, v0
	s_cbranch_execz .LBB228_46
; %bb.43:
	v_mul_lo_u32 v1, v7, s13
	s_mov_b32 s4, 0
	s_cmp_eq_u32 s3, 0
	s_mul_i32 s0, s9, 0x54
	s_mul_hi_u32 s1, s8, 0x54
	s_mul_i32 s2, s8, 0x54
	s_cbranch_scc1 .LBB228_47
; %bb.44:
	v_lshlrev_b32_e32 v4, 2, v0
	s_add_i32 s5, s1, s0
	s_add_u32 s6, s10, s2
	s_addc_u32 s7, s11, s5
	global_load_b32 v5, v4, s[6:7]
	s_waitcnt vmcnt(0)
	v_mad_u64_u32 v[2:3], null, v5, s3, v[1:2]
	global_store_b32 v4, v2, s[6:7]
	s_and_not1_b32 vcc_lo, exec_lo, s4
	s_cbranch_vccnz .LBB228_46
.LBB228_45:
	v_lshlrev_b32_e32 v0, 2, v0
	s_add_i32 s1, s1, s0
	s_add_u32 s0, s10, s2
	s_addc_u32 s1, s11, s1
	global_store_b32 v0, v1, s[0:1]
.LBB228_46:
	s_nop 0
	s_sendmsg sendmsg(MSG_DEALLOC_VGPRS)
	s_endpgm
.LBB228_47:
	s_branch .LBB228_45
	.section	.rodata,"a",@progbits
	.p2align	6, 0x0
	.amdhsa_kernel _ZN9rocsparseL20bsrxmvn_17_32_kernelILj21EillaaiEEvT2_20rocsparse_direction_NS_24const_host_device_scalarIT0_EES1_PKS1_PKT1_SA_S7_PKT3_PKT4_S5_PT5_21rocsparse_index_base_b
		.amdhsa_group_segment_fixed_size 1764
		.amdhsa_private_segment_fixed_size 0
		.amdhsa_kernarg_size 104
		.amdhsa_user_sgpr_count 15
		.amdhsa_user_sgpr_dispatch_ptr 0
		.amdhsa_user_sgpr_queue_ptr 0
		.amdhsa_user_sgpr_kernarg_segment_ptr 1
		.amdhsa_user_sgpr_dispatch_id 0
		.amdhsa_user_sgpr_private_segment_size 0
		.amdhsa_wavefront_size32 1
		.amdhsa_uses_dynamic_stack 0
		.amdhsa_enable_private_segment 0
		.amdhsa_system_sgpr_workgroup_id_x 1
		.amdhsa_system_sgpr_workgroup_id_y 0
		.amdhsa_system_sgpr_workgroup_id_z 0
		.amdhsa_system_sgpr_workgroup_info 0
		.amdhsa_system_vgpr_workitem_id 0
		.amdhsa_next_free_vgpr 15
		.amdhsa_next_free_sgpr 24
		.amdhsa_reserve_vcc 1
		.amdhsa_float_round_mode_32 0
		.amdhsa_float_round_mode_16_64 0
		.amdhsa_float_denorm_mode_32 3
		.amdhsa_float_denorm_mode_16_64 3
		.amdhsa_dx10_clamp 1
		.amdhsa_ieee_mode 1
		.amdhsa_fp16_overflow 0
		.amdhsa_workgroup_processor_mode 1
		.amdhsa_memory_ordered 1
		.amdhsa_forward_progress 0
		.amdhsa_shared_vgpr_count 0
		.amdhsa_exception_fp_ieee_invalid_op 0
		.amdhsa_exception_fp_denorm_src 0
		.amdhsa_exception_fp_ieee_div_zero 0
		.amdhsa_exception_fp_ieee_overflow 0
		.amdhsa_exception_fp_ieee_underflow 0
		.amdhsa_exception_fp_ieee_inexact 0
		.amdhsa_exception_int_div_zero 0
	.end_amdhsa_kernel
	.section	.text._ZN9rocsparseL20bsrxmvn_17_32_kernelILj21EillaaiEEvT2_20rocsparse_direction_NS_24const_host_device_scalarIT0_EES1_PKS1_PKT1_SA_S7_PKT3_PKT4_S5_PT5_21rocsparse_index_base_b,"axG",@progbits,_ZN9rocsparseL20bsrxmvn_17_32_kernelILj21EillaaiEEvT2_20rocsparse_direction_NS_24const_host_device_scalarIT0_EES1_PKS1_PKT1_SA_S7_PKT3_PKT4_S5_PT5_21rocsparse_index_base_b,comdat
.Lfunc_end228:
	.size	_ZN9rocsparseL20bsrxmvn_17_32_kernelILj21EillaaiEEvT2_20rocsparse_direction_NS_24const_host_device_scalarIT0_EES1_PKS1_PKT1_SA_S7_PKT3_PKT4_S5_PT5_21rocsparse_index_base_b, .Lfunc_end228-_ZN9rocsparseL20bsrxmvn_17_32_kernelILj21EillaaiEEvT2_20rocsparse_direction_NS_24const_host_device_scalarIT0_EES1_PKS1_PKT1_SA_S7_PKT3_PKT4_S5_PT5_21rocsparse_index_base_b
                                        ; -- End function
	.section	.AMDGPU.csdata,"",@progbits
; Kernel info:
; codeLenInByte = 1676
; NumSgprs: 26
; NumVgprs: 15
; ScratchSize: 0
; MemoryBound: 0
; FloatMode: 240
; IeeeMode: 1
; LDSByteSize: 1764 bytes/workgroup (compile time only)
; SGPRBlocks: 3
; VGPRBlocks: 1
; NumSGPRsForWavesPerEU: 26
; NumVGPRsForWavesPerEU: 15
; Occupancy: 14
; WaveLimiterHint : 1
; COMPUTE_PGM_RSRC2:SCRATCH_EN: 0
; COMPUTE_PGM_RSRC2:USER_SGPR: 15
; COMPUTE_PGM_RSRC2:TRAP_HANDLER: 0
; COMPUTE_PGM_RSRC2:TGID_X_EN: 1
; COMPUTE_PGM_RSRC2:TGID_Y_EN: 0
; COMPUTE_PGM_RSRC2:TGID_Z_EN: 0
; COMPUTE_PGM_RSRC2:TIDIG_COMP_CNT: 0
	.section	.text._ZN9rocsparseL20bsrxmvn_17_32_kernelILj22EillaaiEEvT2_20rocsparse_direction_NS_24const_host_device_scalarIT0_EES1_PKS1_PKT1_SA_S7_PKT3_PKT4_S5_PT5_21rocsparse_index_base_b,"axG",@progbits,_ZN9rocsparseL20bsrxmvn_17_32_kernelILj22EillaaiEEvT2_20rocsparse_direction_NS_24const_host_device_scalarIT0_EES1_PKS1_PKT1_SA_S7_PKT3_PKT4_S5_PT5_21rocsparse_index_base_b,comdat
	.globl	_ZN9rocsparseL20bsrxmvn_17_32_kernelILj22EillaaiEEvT2_20rocsparse_direction_NS_24const_host_device_scalarIT0_EES1_PKS1_PKT1_SA_S7_PKT3_PKT4_S5_PT5_21rocsparse_index_base_b ; -- Begin function _ZN9rocsparseL20bsrxmvn_17_32_kernelILj22EillaaiEEvT2_20rocsparse_direction_NS_24const_host_device_scalarIT0_EES1_PKS1_PKT1_SA_S7_PKT3_PKT4_S5_PT5_21rocsparse_index_base_b
	.p2align	8
	.type	_ZN9rocsparseL20bsrxmvn_17_32_kernelILj22EillaaiEEvT2_20rocsparse_direction_NS_24const_host_device_scalarIT0_EES1_PKS1_PKT1_SA_S7_PKT3_PKT4_S5_PT5_21rocsparse_index_base_b,@function
_ZN9rocsparseL20bsrxmvn_17_32_kernelILj22EillaaiEEvT2_20rocsparse_direction_NS_24const_host_device_scalarIT0_EES1_PKS1_PKT1_SA_S7_PKT3_PKT4_S5_PT5_21rocsparse_index_base_b: ; @_ZN9rocsparseL20bsrxmvn_17_32_kernelILj22EillaaiEEvT2_20rocsparse_direction_NS_24const_host_device_scalarIT0_EES1_PKS1_PKT1_SA_S7_PKT3_PKT4_S5_PT5_21rocsparse_index_base_b
; %bb.0:
	s_clause 0x1
	s_load_b64 s[12:13], s[0:1], 0x60
	s_load_b64 s[4:5], s[0:1], 0x10
	s_mov_b32 s8, s15
	s_mov_b32 s7, -1
	s_waitcnt lgkmcnt(0)
	s_bitcmp1_b32 s13, 0
                                        ; implicit-def: $sgpr13
	s_cselect_b32 s2, -1, 0
	s_delay_alu instid0(SALU_CYCLE_1) | instskip(NEXT) | instid1(SALU_CYCLE_1)
	s_xor_b32 s6, s2, -1
	s_and_b32 vcc_lo, exec_lo, s6
	s_cbranch_vccnz .LBB229_4
; %bb.1:
	s_load_b64 s[2:3], s[0:1], 0x50
	s_and_not1_b32 vcc_lo, exec_lo, s7
	s_cbranch_vccz .LBB229_5
.LBB229_2:
	s_and_b32 vcc_lo, exec_lo, s6
	s_cbranch_vccz .LBB229_6
.LBB229_3:
	s_waitcnt lgkmcnt(0)
	s_load_b32 s3, s[2:3], 0x0
	s_cbranch_execz .LBB229_7
	s_branch .LBB229_8
.LBB229_4:
	s_load_b32 s13, s[4:5], 0x0
	s_load_b64 s[2:3], s[0:1], 0x50
	s_cbranch_execnz .LBB229_2
.LBB229_5:
	s_waitcnt lgkmcnt(0)
	s_mov_b32 s13, s4
	s_and_b32 vcc_lo, exec_lo, s6
	s_cbranch_vccnz .LBB229_3
.LBB229_6:
                                        ; implicit-def: $sgpr3
.LBB229_7:
	s_waitcnt lgkmcnt(0)
	s_mov_b32 s3, s2
.LBB229_8:
	s_waitcnt lgkmcnt(0)
	s_cmp_lg_u32 s13, 0
	s_mov_b32 s9, 0
	s_cselect_b32 s2, -1, 0
	s_cmp_lg_u32 s3, 1
	s_cselect_b32 s4, -1, 0
	s_delay_alu instid0(SALU_CYCLE_1) | instskip(NEXT) | instid1(SALU_CYCLE_1)
	s_or_b32 s2, s2, s4
	s_and_not1_b32 vcc_lo, exec_lo, s2
	s_cbranch_vccnz .LBB229_46
; %bb.9:
	s_clause 0x1
	s_load_b128 s[4:7], s[0:1], 0x20
	s_load_b64 s[10:11], s[0:1], 0x30
	s_waitcnt lgkmcnt(0)
	s_cmp_eq_u64 s[4:5], 0
	s_cbranch_scc1 .LBB229_11
; %bb.10:
	s_lshl_b64 s[8:9], s[8:9], 3
	s_delay_alu instid0(SALU_CYCLE_1)
	s_add_u32 s4, s4, s8
	s_addc_u32 s5, s5, s9
	s_load_b64 s[4:5], s[4:5], 0x0
	s_waitcnt lgkmcnt(0)
	s_sub_u32 s8, s4, s12
	s_subb_u32 s9, s5, 0
.LBB229_11:
	s_load_b32 s4, s[0:1], 0x8
	v_mul_u32_u24_e32 v1, 0xba3, v0
	v_mov_b32_e32 v7, 0
	s_delay_alu instid0(VALU_DEP_2) | instskip(NEXT) | instid1(VALU_DEP_1)
	v_lshrrev_b32_e32 v1, 16, v1
	v_mul_lo_u16 v2, v1, 22
	s_delay_alu instid0(VALU_DEP_1)
	v_sub_nc_u16 v8, v0, v2
	s_waitcnt lgkmcnt(0)
	s_cmp_eq_u32 s4, 1
	s_cselect_b32 s2, -1, 0
	s_cmp_lg_u32 s4, 1
	s_cselect_b32 s18, -1, 0
	s_lshl_b64 s[4:5], s[8:9], 3
	s_delay_alu instid0(SALU_CYCLE_1)
	s_add_u32 s6, s6, s4
	s_addc_u32 s7, s7, s5
	s_add_u32 s14, s6, 8
	s_addc_u32 s15, s7, 0
	;; [unrolled: 2-line block ×3, first 2 shown]
	s_cmp_eq_u64 s[10:11], 0
	s_load_b64 s[10:11], s[0:1], 0x58
	s_cselect_b32 s5, s15, s5
	s_cselect_b32 s4, s14, s4
	s_load_b64 s[16:17], s[6:7], 0x0
	s_load_b64 s[14:15], s[4:5], 0x0
	s_waitcnt lgkmcnt(0)
	v_cmp_ge_i64_e64 s4, s[16:17], s[14:15]
	s_delay_alu instid0(VALU_DEP_1)
	s_and_b32 vcc_lo, exec_lo, s4
	s_cbranch_vccnz .LBB229_16
; %bb.12:
	v_mul_lo_u16 v2, v1, 12
	v_and_b32_e32 v3, 0xffff, v0
	s_clause 0x1
	s_load_b128 s[4:7], s[0:1], 0x38
	s_load_b64 s[20:21], s[0:1], 0x48
	s_sub_u32 s0, s14, s12
	s_subb_u32 s1, s15, 0
	v_lshrrev_b16 v2, 8, v2
	v_mul_u32_u24_e32 v3, 0x10f, v3
	s_sub_u32 s14, s16, s12
	v_dual_mov_b32 v7, 0 :: v_dual_and_b32 v4, 0xffff, v8
	s_delay_alu instid0(VALU_DEP_3) | instskip(NEXT) | instid1(VALU_DEP_3)
	v_mul_lo_u16 v2, v2, 22
	v_lshrrev_b32_e32 v9, 17, v3
	s_subb_u32 s15, s17, 0
	s_mul_hi_u32 s19, s14, 0x1e4
	s_mul_i32 s23, s15, 0x1e4
	v_sub_nc_u16 v1, v1, v2
	v_add_co_u32 v2, s16, s16, v9
	s_delay_alu instid0(VALU_DEP_1) | instskip(NEXT) | instid1(VALU_DEP_3)
	v_add_co_ci_u32_e64 v5, null, s17, 0, s16
	v_and_b32_e32 v1, 0xff, v1
	s_delay_alu instid0(VALU_DEP_3) | instskip(SKIP_2) | instid1(VALU_DEP_2)
	v_sub_co_u32 v3, vcc_lo, v2, s12
	s_mul_i32 s22, s14, 0x1e4
	s_add_i32 s19, s19, s23
	v_cndmask_b32_e64 v1, v4, v1, s2
	v_subrev_co_ci_u32_e32 v4, vcc_lo, 0, v5, vcc_lo
	s_waitcnt lgkmcnt(0)
	s_delay_alu instid0(VALU_DEP_2) | instskip(NEXT) | instid1(VALU_DEP_2)
	v_add_co_u32 v1, s2, s20, v1
	v_lshlrev_b64 v[5:6], 3, v[3:4]
	v_add_co_ci_u32_e64 v2, null, s21, 0, s2
	s_add_u32 s2, s6, s22
	s_addc_u32 s6, s7, s19
	v_add_co_u32 v3, s2, s2, v0
	s_delay_alu instid0(VALU_DEP_3)
	v_add_co_u32 v5, vcc_lo, s4, v5
	v_add_co_ci_u32_e64 v4, null, s6, 0, s2
	v_add_co_ci_u32_e32 v6, vcc_lo, s5, v6, vcc_lo
	s_set_inst_prefetch_distance 0x1
	s_branch .LBB229_14
	.p2align	6
.LBB229_13:                             ;   in Loop: Header=BB229_14 Depth=1
	s_or_b32 exec_lo, exec_lo, s2
	s_add_u32 s14, s14, 1
	s_addc_u32 s15, s15, 0
	v_add_co_u32 v5, vcc_lo, v5, 8
	v_cmp_lt_i64_e64 s2, s[14:15], s[0:1]
	v_add_co_ci_u32_e32 v6, vcc_lo, 0, v6, vcc_lo
	s_delay_alu instid0(VALU_DEP_2)
	s_and_b32 vcc_lo, exec_lo, s2
	s_cbranch_vccz .LBB229_16
.LBB229_14:                             ; =>This Inner Loop Header: Depth=1
	v_add_co_u32 v10, s2, v9, s14
	s_delay_alu instid0(VALU_DEP_1) | instskip(SKIP_1) | instid1(VALU_DEP_1)
	v_add_co_ci_u32_e64 v11, null, 0, s15, s2
	s_mov_b32 s2, exec_lo
	v_cmpx_gt_i64_e64 s[0:1], v[10:11]
	s_cbranch_execz .LBB229_13
; %bb.15:                               ;   in Loop: Header=BB229_14 Depth=1
	global_load_b64 v[10:11], v[5:6], off
	s_waitcnt vmcnt(0)
	v_sub_co_u32 v12, vcc_lo, v10, s12
	v_subrev_co_ci_u32_e32 v14, vcc_lo, 0, v11, vcc_lo
	s_delay_alu instid0(VALU_DEP_2) | instskip(NEXT) | instid1(VALU_DEP_1)
	v_mad_u64_u32 v[10:11], null, v12, 22, v[1:2]
	v_mad_u64_u32 v[12:13], null, v14, 22, v[11:12]
	s_delay_alu instid0(VALU_DEP_1)
	v_mov_b32_e32 v11, v12
	global_load_i8 v12, v[3:4], off
	global_load_i8 v10, v[10:11], off
	v_add_co_u32 v3, vcc_lo, 0x1e4, v3
	v_add_co_ci_u32_e32 v4, vcc_lo, 0, v4, vcc_lo
	s_waitcnt vmcnt(0)
	v_mad_i32_i24 v7, v10, v12, v7
	s_branch .LBB229_13
.LBB229_16:
	s_set_inst_prefetch_distance 0x2
	v_lshlrev_b32_e32 v1, 2, v0
	s_and_b32 vcc_lo, exec_lo, s18
	ds_store_b32 v1, v7
	s_waitcnt lgkmcnt(0)
	s_barrier
	buffer_gl0_inv
	s_cbranch_vccz .LBB229_28
; %bb.17:
	s_mov_b32 s0, exec_lo
	v_cmpx_gt_u16_e32 6, v8
	s_cbranch_execz .LBB229_19
; %bb.18:
	ds_load_2addr_b32 v[2:3], v1 offset1:16
	s_waitcnt lgkmcnt(0)
	v_add_nc_u32_e32 v2, v2, v3
	ds_store_b32 v1, v2
.LBB229_19:
	s_or_b32 exec_lo, exec_lo, s0
	s_delay_alu instid0(SALU_CYCLE_1)
	s_mov_b32 s0, exec_lo
	s_waitcnt lgkmcnt(0)
	s_barrier
	buffer_gl0_inv
	v_cmpx_gt_u16_e32 8, v8
	s_cbranch_execz .LBB229_21
; %bb.20:
	ds_load_2addr_b32 v[2:3], v1 offset1:8
	s_waitcnt lgkmcnt(0)
	v_add_nc_u32_e32 v2, v2, v3
	ds_store_b32 v1, v2
.LBB229_21:
	s_or_b32 exec_lo, exec_lo, s0
	s_delay_alu instid0(SALU_CYCLE_1)
	s_mov_b32 s0, exec_lo
	s_waitcnt lgkmcnt(0)
	s_barrier
	buffer_gl0_inv
	;; [unrolled: 14-line block ×3, first 2 shown]
	v_cmpx_gt_u16_e32 2, v8
	s_cbranch_execz .LBB229_25
; %bb.24:
	ds_load_2addr_b32 v[2:3], v1 offset1:2
	s_waitcnt lgkmcnt(0)
	v_add_nc_u32_e32 v2, v2, v3
	ds_store_b32 v1, v2
.LBB229_25:
	s_or_b32 exec_lo, exec_lo, s0
	s_mov_b32 s1, 0
	s_mov_b32 s0, 0
	s_mov_b32 s2, exec_lo
	s_waitcnt lgkmcnt(0)
	s_barrier
	buffer_gl0_inv
                                        ; implicit-def: $vgpr2
                                        ; implicit-def: $vgpr3
	v_cmpx_gt_u32_e32 22, v0
	s_xor_b32 s2, exec_lo, s2
; %bb.26:
	v_mul_u32_u24_e32 v3, 22, v0
	s_mov_b32 s0, exec_lo
	s_delay_alu instid0(VALU_DEP_1)
	v_or_b32_e32 v2, 1, v3
	v_lshlrev_b32_e32 v3, 2, v3
; %bb.27:
	s_or_b32 exec_lo, exec_lo, s2
	s_delay_alu instid0(SALU_CYCLE_1)
	s_and_b32 vcc_lo, exec_lo, s1
	s_cbranch_vccnz .LBB229_29
	s_branch .LBB229_40
.LBB229_28:
	s_mov_b32 s0, 0
                                        ; implicit-def: $vgpr2
                                        ; implicit-def: $vgpr3
	s_cbranch_execz .LBB229_40
.LBB229_29:
	s_mov_b32 s1, exec_lo
	v_cmpx_gt_u32_e32 0x84, v0
	s_cbranch_execz .LBB229_31
; %bb.30:
	ds_load_b32 v2, v1 offset:1408
	ds_load_b32 v3, v1
	s_waitcnt lgkmcnt(0)
	v_add_nc_u32_e32 v2, v3, v2
	ds_store_b32 v1, v2
.LBB229_31:
	s_or_b32 exec_lo, exec_lo, s1
	s_delay_alu instid0(SALU_CYCLE_1)
	s_mov_b32 s1, exec_lo
	s_waitcnt lgkmcnt(0)
	s_barrier
	buffer_gl0_inv
	v_cmpx_gt_u32_e32 0xb0, v0
	s_cbranch_execz .LBB229_33
; %bb.32:
	ds_load_2addr_b32 v[2:3], v1 offset1:176
	s_waitcnt lgkmcnt(0)
	v_add_nc_u32_e32 v2, v2, v3
	ds_store_b32 v1, v2
.LBB229_33:
	s_or_b32 exec_lo, exec_lo, s1
	s_delay_alu instid0(SALU_CYCLE_1)
	s_mov_b32 s1, exec_lo
	s_waitcnt lgkmcnt(0)
	s_barrier
	buffer_gl0_inv
	v_cmpx_gt_u32_e32 0x58, v0
	s_cbranch_execz .LBB229_35
; %bb.34:
	ds_load_2addr_b32 v[2:3], v1 offset1:88
	s_waitcnt lgkmcnt(0)
	v_add_nc_u32_e32 v2, v2, v3
	ds_store_b32 v1, v2
.LBB229_35:
	;; [unrolled: 14-line block ×3, first 2 shown]
	s_or_b32 exec_lo, exec_lo, s1
	s_delay_alu instid0(SALU_CYCLE_1)
	s_mov_b32 s1, exec_lo
	s_waitcnt lgkmcnt(0)
	buffer_gl0_inv
                                        ; implicit-def: $vgpr2
	v_cmpx_gt_u32_e32 22, v0
; %bb.38:
	v_add_nc_u32_e32 v2, 22, v0
	s_or_b32 s0, s0, exec_lo
                                        ; implicit-def: $vgpr7
; %bb.39:
	s_or_b32 exec_lo, exec_lo, s1
	v_mov_b32_e32 v3, v1
.LBB229_40:
	s_and_saveexec_b32 s1, s0
	s_cbranch_execz .LBB229_42
; %bb.41:
	v_lshlrev_b32_e32 v1, 2, v2
	ds_load_b32 v2, v3
	ds_load_b32 v1, v1
	s_waitcnt lgkmcnt(0)
	v_add_nc_u32_e32 v7, v1, v2
.LBB229_42:
	s_or_b32 exec_lo, exec_lo, s1
	s_delay_alu instid0(SALU_CYCLE_1)
	s_mov_b32 s0, exec_lo
	v_cmpx_gt_u32_e32 22, v0
	s_cbranch_execz .LBB229_46
; %bb.43:
	v_mul_lo_u32 v1, v7, s13
	s_mov_b32 s4, 0
	s_cmp_eq_u32 s3, 0
	s_mul_i32 s0, s9, 0x58
	s_mul_hi_u32 s1, s8, 0x58
	s_mul_i32 s2, s8, 0x58
	s_cbranch_scc1 .LBB229_47
; %bb.44:
	v_lshlrev_b32_e32 v4, 2, v0
	s_add_i32 s5, s1, s0
	s_add_u32 s6, s10, s2
	s_addc_u32 s7, s11, s5
	global_load_b32 v5, v4, s[6:7]
	s_waitcnt vmcnt(0)
	v_mad_u64_u32 v[2:3], null, v5, s3, v[1:2]
	global_store_b32 v4, v2, s[6:7]
	s_and_not1_b32 vcc_lo, exec_lo, s4
	s_cbranch_vccnz .LBB229_46
.LBB229_45:
	v_lshlrev_b32_e32 v0, 2, v0
	s_add_i32 s1, s1, s0
	s_add_u32 s0, s10, s2
	s_addc_u32 s1, s11, s1
	global_store_b32 v0, v1, s[0:1]
.LBB229_46:
	s_nop 0
	s_sendmsg sendmsg(MSG_DEALLOC_VGPRS)
	s_endpgm
.LBB229_47:
	s_branch .LBB229_45
	.section	.rodata,"a",@progbits
	.p2align	6, 0x0
	.amdhsa_kernel _ZN9rocsparseL20bsrxmvn_17_32_kernelILj22EillaaiEEvT2_20rocsparse_direction_NS_24const_host_device_scalarIT0_EES1_PKS1_PKT1_SA_S7_PKT3_PKT4_S5_PT5_21rocsparse_index_base_b
		.amdhsa_group_segment_fixed_size 1936
		.amdhsa_private_segment_fixed_size 0
		.amdhsa_kernarg_size 104
		.amdhsa_user_sgpr_count 15
		.amdhsa_user_sgpr_dispatch_ptr 0
		.amdhsa_user_sgpr_queue_ptr 0
		.amdhsa_user_sgpr_kernarg_segment_ptr 1
		.amdhsa_user_sgpr_dispatch_id 0
		.amdhsa_user_sgpr_private_segment_size 0
		.amdhsa_wavefront_size32 1
		.amdhsa_uses_dynamic_stack 0
		.amdhsa_enable_private_segment 0
		.amdhsa_system_sgpr_workgroup_id_x 1
		.amdhsa_system_sgpr_workgroup_id_y 0
		.amdhsa_system_sgpr_workgroup_id_z 0
		.amdhsa_system_sgpr_workgroup_info 0
		.amdhsa_system_vgpr_workitem_id 0
		.amdhsa_next_free_vgpr 15
		.amdhsa_next_free_sgpr 24
		.amdhsa_reserve_vcc 1
		.amdhsa_float_round_mode_32 0
		.amdhsa_float_round_mode_16_64 0
		.amdhsa_float_denorm_mode_32 3
		.amdhsa_float_denorm_mode_16_64 3
		.amdhsa_dx10_clamp 1
		.amdhsa_ieee_mode 1
		.amdhsa_fp16_overflow 0
		.amdhsa_workgroup_processor_mode 1
		.amdhsa_memory_ordered 1
		.amdhsa_forward_progress 0
		.amdhsa_shared_vgpr_count 0
		.amdhsa_exception_fp_ieee_invalid_op 0
		.amdhsa_exception_fp_denorm_src 0
		.amdhsa_exception_fp_ieee_div_zero 0
		.amdhsa_exception_fp_ieee_overflow 0
		.amdhsa_exception_fp_ieee_underflow 0
		.amdhsa_exception_fp_ieee_inexact 0
		.amdhsa_exception_int_div_zero 0
	.end_amdhsa_kernel
	.section	.text._ZN9rocsparseL20bsrxmvn_17_32_kernelILj22EillaaiEEvT2_20rocsparse_direction_NS_24const_host_device_scalarIT0_EES1_PKS1_PKT1_SA_S7_PKT3_PKT4_S5_PT5_21rocsparse_index_base_b,"axG",@progbits,_ZN9rocsparseL20bsrxmvn_17_32_kernelILj22EillaaiEEvT2_20rocsparse_direction_NS_24const_host_device_scalarIT0_EES1_PKS1_PKT1_SA_S7_PKT3_PKT4_S5_PT5_21rocsparse_index_base_b,comdat
.Lfunc_end229:
	.size	_ZN9rocsparseL20bsrxmvn_17_32_kernelILj22EillaaiEEvT2_20rocsparse_direction_NS_24const_host_device_scalarIT0_EES1_PKS1_PKT1_SA_S7_PKT3_PKT4_S5_PT5_21rocsparse_index_base_b, .Lfunc_end229-_ZN9rocsparseL20bsrxmvn_17_32_kernelILj22EillaaiEEvT2_20rocsparse_direction_NS_24const_host_device_scalarIT0_EES1_PKS1_PKT1_SA_S7_PKT3_PKT4_S5_PT5_21rocsparse_index_base_b
                                        ; -- End function
	.section	.AMDGPU.csdata,"",@progbits
; Kernel info:
; codeLenInByte = 1672
; NumSgprs: 26
; NumVgprs: 15
; ScratchSize: 0
; MemoryBound: 0
; FloatMode: 240
; IeeeMode: 1
; LDSByteSize: 1936 bytes/workgroup (compile time only)
; SGPRBlocks: 3
; VGPRBlocks: 1
; NumSGPRsForWavesPerEU: 26
; NumVGPRsForWavesPerEU: 15
; Occupancy: 16
; WaveLimiterHint : 1
; COMPUTE_PGM_RSRC2:SCRATCH_EN: 0
; COMPUTE_PGM_RSRC2:USER_SGPR: 15
; COMPUTE_PGM_RSRC2:TRAP_HANDLER: 0
; COMPUTE_PGM_RSRC2:TGID_X_EN: 1
; COMPUTE_PGM_RSRC2:TGID_Y_EN: 0
; COMPUTE_PGM_RSRC2:TGID_Z_EN: 0
; COMPUTE_PGM_RSRC2:TIDIG_COMP_CNT: 0
	.section	.text._ZN9rocsparseL20bsrxmvn_17_32_kernelILj23EillaaiEEvT2_20rocsparse_direction_NS_24const_host_device_scalarIT0_EES1_PKS1_PKT1_SA_S7_PKT3_PKT4_S5_PT5_21rocsparse_index_base_b,"axG",@progbits,_ZN9rocsparseL20bsrxmvn_17_32_kernelILj23EillaaiEEvT2_20rocsparse_direction_NS_24const_host_device_scalarIT0_EES1_PKS1_PKT1_SA_S7_PKT3_PKT4_S5_PT5_21rocsparse_index_base_b,comdat
	.globl	_ZN9rocsparseL20bsrxmvn_17_32_kernelILj23EillaaiEEvT2_20rocsparse_direction_NS_24const_host_device_scalarIT0_EES1_PKS1_PKT1_SA_S7_PKT3_PKT4_S5_PT5_21rocsparse_index_base_b ; -- Begin function _ZN9rocsparseL20bsrxmvn_17_32_kernelILj23EillaaiEEvT2_20rocsparse_direction_NS_24const_host_device_scalarIT0_EES1_PKS1_PKT1_SA_S7_PKT3_PKT4_S5_PT5_21rocsparse_index_base_b
	.p2align	8
	.type	_ZN9rocsparseL20bsrxmvn_17_32_kernelILj23EillaaiEEvT2_20rocsparse_direction_NS_24const_host_device_scalarIT0_EES1_PKS1_PKT1_SA_S7_PKT3_PKT4_S5_PT5_21rocsparse_index_base_b,@function
_ZN9rocsparseL20bsrxmvn_17_32_kernelILj23EillaaiEEvT2_20rocsparse_direction_NS_24const_host_device_scalarIT0_EES1_PKS1_PKT1_SA_S7_PKT3_PKT4_S5_PT5_21rocsparse_index_base_b: ; @_ZN9rocsparseL20bsrxmvn_17_32_kernelILj23EillaaiEEvT2_20rocsparse_direction_NS_24const_host_device_scalarIT0_EES1_PKS1_PKT1_SA_S7_PKT3_PKT4_S5_PT5_21rocsparse_index_base_b
; %bb.0:
	s_clause 0x1
	s_load_b64 s[10:11], s[0:1], 0x60
	s_load_b64 s[4:5], s[0:1], 0x10
	s_mov_b32 s8, s15
	s_mov_b32 s7, -1
	s_waitcnt lgkmcnt(0)
	s_bitcmp1_b32 s11, 0
                                        ; implicit-def: $sgpr11
	s_cselect_b32 s2, -1, 0
	s_delay_alu instid0(SALU_CYCLE_1) | instskip(NEXT) | instid1(SALU_CYCLE_1)
	s_xor_b32 s6, s2, -1
	s_and_b32 vcc_lo, exec_lo, s6
	s_cbranch_vccnz .LBB230_4
; %bb.1:
	s_load_b64 s[2:3], s[0:1], 0x50
	s_and_not1_b32 vcc_lo, exec_lo, s7
	s_cbranch_vccz .LBB230_5
.LBB230_2:
	s_and_b32 vcc_lo, exec_lo, s6
	s_cbranch_vccz .LBB230_6
.LBB230_3:
	s_waitcnt lgkmcnt(0)
	s_load_b32 s3, s[2:3], 0x0
	s_cbranch_execz .LBB230_7
	s_branch .LBB230_8
.LBB230_4:
	s_load_b32 s11, s[4:5], 0x0
	s_load_b64 s[2:3], s[0:1], 0x50
	s_cbranch_execnz .LBB230_2
.LBB230_5:
	s_waitcnt lgkmcnt(0)
	s_mov_b32 s11, s4
	s_and_b32 vcc_lo, exec_lo, s6
	s_cbranch_vccnz .LBB230_3
.LBB230_6:
                                        ; implicit-def: $sgpr3
.LBB230_7:
	s_waitcnt lgkmcnt(0)
	s_mov_b32 s3, s2
.LBB230_8:
	s_waitcnt lgkmcnt(0)
	s_cmp_lg_u32 s11, 0
	s_mov_b32 s9, 0
	s_cselect_b32 s2, -1, 0
	s_cmp_lg_u32 s3, 1
	s_cselect_b32 s4, -1, 0
	s_delay_alu instid0(SALU_CYCLE_1) | instskip(NEXT) | instid1(SALU_CYCLE_1)
	s_or_b32 s2, s2, s4
	s_and_not1_b32 vcc_lo, exec_lo, s2
	s_cbranch_vccnz .LBB230_46
; %bb.9:
	s_clause 0x1
	s_load_b128 s[4:7], s[0:1], 0x20
	s_load_b64 s[12:13], s[0:1], 0x30
	s_waitcnt lgkmcnt(0)
	s_cmp_eq_u64 s[4:5], 0
	s_cbranch_scc1 .LBB230_11
; %bb.10:
	s_lshl_b64 s[8:9], s[8:9], 3
	s_delay_alu instid0(SALU_CYCLE_1)
	s_add_u32 s4, s4, s8
	s_addc_u32 s5, s5, s9
	s_load_b64 s[4:5], s[4:5], 0x0
	s_waitcnt lgkmcnt(0)
	s_sub_u32 s8, s4, s10
	s_subb_u32 s9, s5, 0
.LBB230_11:
	s_load_b32 s4, s[0:1], 0x8
	v_mul_u32_u24_e32 v1, 0xb22, v0
	v_mov_b32_e32 v7, 0
	s_delay_alu instid0(VALU_DEP_2) | instskip(NEXT) | instid1(VALU_DEP_1)
	v_lshrrev_b32_e32 v1, 16, v1
	v_mul_lo_u16 v2, v1, 23
	s_delay_alu instid0(VALU_DEP_1)
	v_sub_nc_u16 v8, v0, v2
	s_waitcnt lgkmcnt(0)
	s_cmp_eq_u32 s4, 1
	s_cselect_b32 s2, -1, 0
	s_cmp_lg_u32 s4, 1
	s_cselect_b32 s14, -1, 0
	s_lshl_b64 s[4:5], s[8:9], 3
	s_delay_alu instid0(SALU_CYCLE_1)
	s_add_u32 s6, s6, s4
	s_addc_u32 s7, s7, s5
	s_add_u32 s15, s6, 8
	s_addc_u32 s16, s7, 0
	;; [unrolled: 2-line block ×3, first 2 shown]
	s_cmp_eq_u64 s[12:13], 0
	s_cselect_b32 s5, s16, s5
	s_cselect_b32 s4, s15, s4
	s_load_b64 s[12:13], s[6:7], 0x0
	s_load_b64 s[6:7], s[4:5], 0x0
	;; [unrolled: 1-line block ×3, first 2 shown]
	s_waitcnt lgkmcnt(0)
	v_cmp_ge_i64_e64 s15, s[12:13], s[6:7]
	s_delay_alu instid0(VALU_DEP_1)
	s_and_b32 vcc_lo, exec_lo, s15
	s_cbranch_vccnz .LBB230_16
; %bb.12:
	v_and_b32_e32 v1, 0xffff, v1
	v_cmp_gt_u32_e32 vcc_lo, 0x211, v0
	v_and_b32_e32 v3, 0xffff, v8
	s_clause 0x1
	s_load_b64 s[20:21], s[0:1], 0x48
	s_load_b128 s[16:19], s[0:1], 0x38
	v_subrev_nc_u32_e32 v2, 23, v1
	s_sub_u32 s0, s6, s10
	s_subb_u32 s1, s7, 0
	s_sub_u32 s6, s12, s10
	s_subb_u32 s7, s13, 0
	v_cndmask_b32_e32 v1, v2, v1, vcc_lo
	v_cmp_lt_u32_e32 vcc_lo, 0x210, v0
	v_mov_b32_e32 v7, 0
	s_delay_alu instid0(VALU_DEP_3) | instskip(SKIP_2) | instid1(VALU_DEP_1)
	v_cndmask_b32_e64 v1, v3, v1, s2
	v_cndmask_b32_e64 v9, 0, 1, vcc_lo
	s_mul_i32 s2, s7, 0x211
	v_add_co_u32 v3, s12, s12, v9
	s_delay_alu instid0(VALU_DEP_1) | instskip(SKIP_1) | instid1(VALU_DEP_2)
	v_add_co_ci_u32_e64 v4, null, s13, 0, s12
	s_mul_hi_u32 s12, s6, 0x211
	v_sub_co_u32 v3, vcc_lo, v3, s10
	s_delay_alu instid0(VALU_DEP_2)
	v_subrev_co_ci_u32_e32 v4, vcc_lo, 0, v4, vcc_lo
	s_mul_i32 s13, s6, 0x211
	s_add_i32 s12, s12, s2
	s_waitcnt lgkmcnt(0)
	s_add_u32 s2, s18, s13
	v_lshlrev_b64 v[5:6], 3, v[3:4]
	v_add_co_u32 v1, s15, s20, v1
	s_addc_u32 s12, s19, s12
	v_add_co_u32 v3, s2, s2, v0
	s_delay_alu instid0(VALU_DEP_3)
	v_add_co_u32 v5, vcc_lo, s16, v5
	v_add_co_ci_u32_e64 v2, null, s21, 0, s15
	v_add_co_ci_u32_e64 v4, null, s12, 0, s2
	v_add_co_ci_u32_e32 v6, vcc_lo, s17, v6, vcc_lo
	s_set_inst_prefetch_distance 0x1
	s_branch .LBB230_14
	.p2align	6
.LBB230_13:                             ;   in Loop: Header=BB230_14 Depth=1
	s_or_b32 exec_lo, exec_lo, s2
	s_add_u32 s6, s6, 1
	s_addc_u32 s7, s7, 0
	v_add_co_u32 v5, vcc_lo, v5, 8
	v_cmp_lt_i64_e64 s2, s[6:7], s[0:1]
	v_add_co_ci_u32_e32 v6, vcc_lo, 0, v6, vcc_lo
	s_delay_alu instid0(VALU_DEP_2)
	s_and_b32 vcc_lo, exec_lo, s2
	s_cbranch_vccz .LBB230_16
.LBB230_14:                             ; =>This Inner Loop Header: Depth=1
	v_add_co_u32 v10, s2, v9, s6
	s_delay_alu instid0(VALU_DEP_1) | instskip(SKIP_1) | instid1(VALU_DEP_1)
	v_add_co_ci_u32_e64 v11, null, 0, s7, s2
	s_mov_b32 s2, exec_lo
	v_cmpx_gt_i64_e64 s[0:1], v[10:11]
	s_cbranch_execz .LBB230_13
; %bb.15:                               ;   in Loop: Header=BB230_14 Depth=1
	global_load_b64 v[10:11], v[5:6], off
	s_waitcnt vmcnt(0)
	v_sub_co_u32 v12, vcc_lo, v10, s10
	v_subrev_co_ci_u32_e32 v14, vcc_lo, 0, v11, vcc_lo
	s_delay_alu instid0(VALU_DEP_2) | instskip(NEXT) | instid1(VALU_DEP_1)
	v_mad_u64_u32 v[10:11], null, v12, 23, v[1:2]
	v_mad_u64_u32 v[12:13], null, v14, 23, v[11:12]
	s_delay_alu instid0(VALU_DEP_1)
	v_mov_b32_e32 v11, v12
	global_load_i8 v12, v[3:4], off
	global_load_i8 v10, v[10:11], off
	v_add_co_u32 v3, vcc_lo, 0x211, v3
	v_add_co_ci_u32_e32 v4, vcc_lo, 0, v4, vcc_lo
	s_waitcnt vmcnt(0)
	v_mad_i32_i24 v7, v10, v12, v7
	s_branch .LBB230_13
.LBB230_16:
	s_set_inst_prefetch_distance 0x2
	v_lshlrev_b32_e32 v1, 2, v0
	s_and_b32 vcc_lo, exec_lo, s14
	ds_store_b32 v1, v7
	s_waitcnt lgkmcnt(0)
	s_barrier
	buffer_gl0_inv
	s_cbranch_vccz .LBB230_28
; %bb.17:
	s_mov_b32 s0, exec_lo
	v_cmpx_gt_u16_e32 7, v8
	s_cbranch_execz .LBB230_19
; %bb.18:
	ds_load_2addr_b32 v[2:3], v1 offset1:16
	s_waitcnt lgkmcnt(0)
	v_add_nc_u32_e32 v2, v2, v3
	ds_store_b32 v1, v2
.LBB230_19:
	s_or_b32 exec_lo, exec_lo, s0
	s_delay_alu instid0(SALU_CYCLE_1)
	s_mov_b32 s0, exec_lo
	s_waitcnt lgkmcnt(0)
	s_barrier
	buffer_gl0_inv
	v_cmpx_gt_u16_e32 8, v8
	s_cbranch_execz .LBB230_21
; %bb.20:
	ds_load_2addr_b32 v[2:3], v1 offset1:8
	s_waitcnt lgkmcnt(0)
	v_add_nc_u32_e32 v2, v2, v3
	ds_store_b32 v1, v2
.LBB230_21:
	s_or_b32 exec_lo, exec_lo, s0
	s_delay_alu instid0(SALU_CYCLE_1)
	s_mov_b32 s0, exec_lo
	s_waitcnt lgkmcnt(0)
	s_barrier
	buffer_gl0_inv
	;; [unrolled: 14-line block ×3, first 2 shown]
	v_cmpx_gt_u16_e32 2, v8
	s_cbranch_execz .LBB230_25
; %bb.24:
	ds_load_2addr_b32 v[2:3], v1 offset1:2
	s_waitcnt lgkmcnt(0)
	v_add_nc_u32_e32 v2, v2, v3
	ds_store_b32 v1, v2
.LBB230_25:
	s_or_b32 exec_lo, exec_lo, s0
	s_mov_b32 s1, 0
	s_mov_b32 s0, 0
	s_mov_b32 s2, exec_lo
	s_waitcnt lgkmcnt(0)
	s_barrier
	buffer_gl0_inv
                                        ; implicit-def: $vgpr2
                                        ; implicit-def: $vgpr3
	v_cmpx_gt_u32_e32 23, v0
	s_xor_b32 s2, exec_lo, s2
; %bb.26:
	v_mul_u32_u24_e32 v3, 23, v0
	v_mad_u32_u24 v2, v0, 23, 1
	s_mov_b32 s0, exec_lo
	s_delay_alu instid0(VALU_DEP_2)
	v_lshlrev_b32_e32 v3, 2, v3
; %bb.27:
	s_or_b32 exec_lo, exec_lo, s2
	s_delay_alu instid0(SALU_CYCLE_1)
	s_and_b32 vcc_lo, exec_lo, s1
	s_cbranch_vccnz .LBB230_29
	s_branch .LBB230_40
.LBB230_28:
	s_mov_b32 s0, 0
                                        ; implicit-def: $vgpr2
                                        ; implicit-def: $vgpr3
	s_cbranch_execz .LBB230_40
.LBB230_29:
	s_mov_b32 s1, exec_lo
	v_cmpx_gt_u32_e32 0xa1, v0
	s_cbranch_execz .LBB230_31
; %bb.30:
	ds_load_b32 v2, v1 offset:1472
	ds_load_b32 v3, v1
	s_waitcnt lgkmcnt(0)
	v_add_nc_u32_e32 v2, v3, v2
	ds_store_b32 v1, v2
.LBB230_31:
	s_or_b32 exec_lo, exec_lo, s1
	s_delay_alu instid0(SALU_CYCLE_1)
	s_mov_b32 s1, exec_lo
	s_waitcnt lgkmcnt(0)
	s_barrier
	buffer_gl0_inv
	v_cmpx_gt_u32_e32 0xb8, v0
	s_cbranch_execz .LBB230_33
; %bb.32:
	ds_load_2addr_b32 v[2:3], v1 offset1:184
	s_waitcnt lgkmcnt(0)
	v_add_nc_u32_e32 v2, v2, v3
	ds_store_b32 v1, v2
.LBB230_33:
	s_or_b32 exec_lo, exec_lo, s1
	s_delay_alu instid0(SALU_CYCLE_1)
	s_mov_b32 s1, exec_lo
	s_waitcnt lgkmcnt(0)
	s_barrier
	buffer_gl0_inv
	v_cmpx_gt_u32_e32 0x5c, v0
	s_cbranch_execz .LBB230_35
; %bb.34:
	ds_load_2addr_b32 v[2:3], v1 offset1:92
	s_waitcnt lgkmcnt(0)
	v_add_nc_u32_e32 v2, v2, v3
	ds_store_b32 v1, v2
.LBB230_35:
	s_or_b32 exec_lo, exec_lo, s1
	s_delay_alu instid0(SALU_CYCLE_1)
	s_mov_b32 s1, exec_lo
	s_waitcnt lgkmcnt(0)
	s_barrier
	buffer_gl0_inv
	v_cmpx_gt_u32_e32 46, v0
	s_cbranch_execz .LBB230_37
; %bb.36:
	ds_load_2addr_b32 v[2:3], v1 offset1:46
	s_waitcnt lgkmcnt(0)
	v_add_nc_u32_e32 v2, v2, v3
	ds_store_b32 v1, v2
.LBB230_37:
	s_or_b32 exec_lo, exec_lo, s1
	s_delay_alu instid0(SALU_CYCLE_1)
	s_mov_b32 s1, exec_lo
	s_waitcnt lgkmcnt(0)
	buffer_gl0_inv
                                        ; implicit-def: $vgpr2
	v_cmpx_gt_u32_e32 23, v0
; %bb.38:
	v_add_nc_u32_e32 v2, 23, v0
	s_or_b32 s0, s0, exec_lo
                                        ; implicit-def: $vgpr7
; %bb.39:
	s_or_b32 exec_lo, exec_lo, s1
	v_mov_b32_e32 v3, v1
.LBB230_40:
	s_and_saveexec_b32 s1, s0
	s_cbranch_execz .LBB230_42
; %bb.41:
	v_lshlrev_b32_e32 v1, 2, v2
	ds_load_b32 v2, v3
	ds_load_b32 v1, v1
	s_waitcnt lgkmcnt(0)
	v_add_nc_u32_e32 v7, v1, v2
.LBB230_42:
	s_or_b32 exec_lo, exec_lo, s1
	s_delay_alu instid0(SALU_CYCLE_1)
	s_mov_b32 s0, exec_lo
	v_cmpx_gt_u32_e32 23, v0
	s_cbranch_execz .LBB230_46
; %bb.43:
	v_mul_lo_u32 v1, v7, s11
	s_mov_b32 s6, 0
	s_cmp_eq_u32 s3, 0
	s_mul_i32 s0, s9, 0x5c
	s_mul_hi_u32 s1, s8, 0x5c
	s_mul_i32 s2, s8, 0x5c
	s_cbranch_scc1 .LBB230_47
; %bb.44:
	v_lshlrev_b32_e32 v4, 2, v0
	s_add_i32 s7, s1, s0
	s_add_u32 s8, s4, s2
	s_addc_u32 s9, s5, s7
	global_load_b32 v5, v4, s[8:9]
	s_waitcnt vmcnt(0)
	v_mad_u64_u32 v[2:3], null, v5, s3, v[1:2]
	global_store_b32 v4, v2, s[8:9]
	s_and_not1_b32 vcc_lo, exec_lo, s6
	s_cbranch_vccnz .LBB230_46
.LBB230_45:
	v_lshlrev_b32_e32 v0, 2, v0
	s_add_i32 s1, s1, s0
	s_add_u32 s0, s4, s2
	s_addc_u32 s1, s5, s1
	global_store_b32 v0, v1, s[0:1]
.LBB230_46:
	s_nop 0
	s_sendmsg sendmsg(MSG_DEALLOC_VGPRS)
	s_endpgm
.LBB230_47:
	s_branch .LBB230_45
	.section	.rodata,"a",@progbits
	.p2align	6, 0x0
	.amdhsa_kernel _ZN9rocsparseL20bsrxmvn_17_32_kernelILj23EillaaiEEvT2_20rocsparse_direction_NS_24const_host_device_scalarIT0_EES1_PKS1_PKT1_SA_S7_PKT3_PKT4_S5_PT5_21rocsparse_index_base_b
		.amdhsa_group_segment_fixed_size 2116
		.amdhsa_private_segment_fixed_size 0
		.amdhsa_kernarg_size 104
		.amdhsa_user_sgpr_count 15
		.amdhsa_user_sgpr_dispatch_ptr 0
		.amdhsa_user_sgpr_queue_ptr 0
		.amdhsa_user_sgpr_kernarg_segment_ptr 1
		.amdhsa_user_sgpr_dispatch_id 0
		.amdhsa_user_sgpr_private_segment_size 0
		.amdhsa_wavefront_size32 1
		.amdhsa_uses_dynamic_stack 0
		.amdhsa_enable_private_segment 0
		.amdhsa_system_sgpr_workgroup_id_x 1
		.amdhsa_system_sgpr_workgroup_id_y 0
		.amdhsa_system_sgpr_workgroup_id_z 0
		.amdhsa_system_sgpr_workgroup_info 0
		.amdhsa_system_vgpr_workitem_id 0
		.amdhsa_next_free_vgpr 15
		.amdhsa_next_free_sgpr 22
		.amdhsa_reserve_vcc 1
		.amdhsa_float_round_mode_32 0
		.amdhsa_float_round_mode_16_64 0
		.amdhsa_float_denorm_mode_32 3
		.amdhsa_float_denorm_mode_16_64 3
		.amdhsa_dx10_clamp 1
		.amdhsa_ieee_mode 1
		.amdhsa_fp16_overflow 0
		.amdhsa_workgroup_processor_mode 1
		.amdhsa_memory_ordered 1
		.amdhsa_forward_progress 0
		.amdhsa_shared_vgpr_count 0
		.amdhsa_exception_fp_ieee_invalid_op 0
		.amdhsa_exception_fp_denorm_src 0
		.amdhsa_exception_fp_ieee_div_zero 0
		.amdhsa_exception_fp_ieee_overflow 0
		.amdhsa_exception_fp_ieee_underflow 0
		.amdhsa_exception_fp_ieee_inexact 0
		.amdhsa_exception_int_div_zero 0
	.end_amdhsa_kernel
	.section	.text._ZN9rocsparseL20bsrxmvn_17_32_kernelILj23EillaaiEEvT2_20rocsparse_direction_NS_24const_host_device_scalarIT0_EES1_PKS1_PKT1_SA_S7_PKT3_PKT4_S5_PT5_21rocsparse_index_base_b,"axG",@progbits,_ZN9rocsparseL20bsrxmvn_17_32_kernelILj23EillaaiEEvT2_20rocsparse_direction_NS_24const_host_device_scalarIT0_EES1_PKS1_PKT1_SA_S7_PKT3_PKT4_S5_PT5_21rocsparse_index_base_b,comdat
.Lfunc_end230:
	.size	_ZN9rocsparseL20bsrxmvn_17_32_kernelILj23EillaaiEEvT2_20rocsparse_direction_NS_24const_host_device_scalarIT0_EES1_PKS1_PKT1_SA_S7_PKT3_PKT4_S5_PT5_21rocsparse_index_base_b, .Lfunc_end230-_ZN9rocsparseL20bsrxmvn_17_32_kernelILj23EillaaiEEvT2_20rocsparse_direction_NS_24const_host_device_scalarIT0_EES1_PKS1_PKT1_SA_S7_PKT3_PKT4_S5_PT5_21rocsparse_index_base_b
                                        ; -- End function
	.section	.AMDGPU.csdata,"",@progbits
; Kernel info:
; codeLenInByte = 1652
; NumSgprs: 24
; NumVgprs: 15
; ScratchSize: 0
; MemoryBound: 0
; FloatMode: 240
; IeeeMode: 1
; LDSByteSize: 2116 bytes/workgroup (compile time only)
; SGPRBlocks: 2
; VGPRBlocks: 1
; NumSGPRsForWavesPerEU: 24
; NumVGPRsForWavesPerEU: 15
; Occupancy: 13
; WaveLimiterHint : 1
; COMPUTE_PGM_RSRC2:SCRATCH_EN: 0
; COMPUTE_PGM_RSRC2:USER_SGPR: 15
; COMPUTE_PGM_RSRC2:TRAP_HANDLER: 0
; COMPUTE_PGM_RSRC2:TGID_X_EN: 1
; COMPUTE_PGM_RSRC2:TGID_Y_EN: 0
; COMPUTE_PGM_RSRC2:TGID_Z_EN: 0
; COMPUTE_PGM_RSRC2:TIDIG_COMP_CNT: 0
	.section	.text._ZN9rocsparseL20bsrxmvn_17_32_kernelILj24EillaaiEEvT2_20rocsparse_direction_NS_24const_host_device_scalarIT0_EES1_PKS1_PKT1_SA_S7_PKT3_PKT4_S5_PT5_21rocsparse_index_base_b,"axG",@progbits,_ZN9rocsparseL20bsrxmvn_17_32_kernelILj24EillaaiEEvT2_20rocsparse_direction_NS_24const_host_device_scalarIT0_EES1_PKS1_PKT1_SA_S7_PKT3_PKT4_S5_PT5_21rocsparse_index_base_b,comdat
	.globl	_ZN9rocsparseL20bsrxmvn_17_32_kernelILj24EillaaiEEvT2_20rocsparse_direction_NS_24const_host_device_scalarIT0_EES1_PKS1_PKT1_SA_S7_PKT3_PKT4_S5_PT5_21rocsparse_index_base_b ; -- Begin function _ZN9rocsparseL20bsrxmvn_17_32_kernelILj24EillaaiEEvT2_20rocsparse_direction_NS_24const_host_device_scalarIT0_EES1_PKS1_PKT1_SA_S7_PKT3_PKT4_S5_PT5_21rocsparse_index_base_b
	.p2align	8
	.type	_ZN9rocsparseL20bsrxmvn_17_32_kernelILj24EillaaiEEvT2_20rocsparse_direction_NS_24const_host_device_scalarIT0_EES1_PKS1_PKT1_SA_S7_PKT3_PKT4_S5_PT5_21rocsparse_index_base_b,@function
_ZN9rocsparseL20bsrxmvn_17_32_kernelILj24EillaaiEEvT2_20rocsparse_direction_NS_24const_host_device_scalarIT0_EES1_PKS1_PKT1_SA_S7_PKT3_PKT4_S5_PT5_21rocsparse_index_base_b: ; @_ZN9rocsparseL20bsrxmvn_17_32_kernelILj24EillaaiEEvT2_20rocsparse_direction_NS_24const_host_device_scalarIT0_EES1_PKS1_PKT1_SA_S7_PKT3_PKT4_S5_PT5_21rocsparse_index_base_b
; %bb.0:
	s_clause 0x1
	s_load_b64 s[10:11], s[0:1], 0x60
	s_load_b64 s[4:5], s[0:1], 0x10
	s_mov_b32 s8, s15
	s_mov_b32 s7, -1
	s_waitcnt lgkmcnt(0)
	s_bitcmp1_b32 s11, 0
                                        ; implicit-def: $sgpr11
	s_cselect_b32 s2, -1, 0
	s_delay_alu instid0(SALU_CYCLE_1) | instskip(NEXT) | instid1(SALU_CYCLE_1)
	s_xor_b32 s6, s2, -1
	s_and_b32 vcc_lo, exec_lo, s6
	s_cbranch_vccnz .LBB231_4
; %bb.1:
	s_load_b64 s[2:3], s[0:1], 0x50
	s_and_not1_b32 vcc_lo, exec_lo, s7
	s_cbranch_vccz .LBB231_5
.LBB231_2:
	s_and_b32 vcc_lo, exec_lo, s6
	s_cbranch_vccz .LBB231_6
.LBB231_3:
	s_waitcnt lgkmcnt(0)
	s_load_b32 s3, s[2:3], 0x0
	s_cbranch_execz .LBB231_7
	s_branch .LBB231_8
.LBB231_4:
	s_load_b32 s11, s[4:5], 0x0
	s_load_b64 s[2:3], s[0:1], 0x50
	s_cbranch_execnz .LBB231_2
.LBB231_5:
	s_waitcnt lgkmcnt(0)
	s_mov_b32 s11, s4
	s_and_b32 vcc_lo, exec_lo, s6
	s_cbranch_vccnz .LBB231_3
.LBB231_6:
                                        ; implicit-def: $sgpr3
.LBB231_7:
	s_waitcnt lgkmcnt(0)
	s_mov_b32 s3, s2
.LBB231_8:
	s_waitcnt lgkmcnt(0)
	s_cmp_lg_u32 s11, 0
	s_mov_b32 s9, 0
	s_cselect_b32 s2, -1, 0
	s_cmp_lg_u32 s3, 1
	s_cselect_b32 s4, -1, 0
	s_delay_alu instid0(SALU_CYCLE_1) | instskip(NEXT) | instid1(SALU_CYCLE_1)
	s_or_b32 s2, s2, s4
	s_and_not1_b32 vcc_lo, exec_lo, s2
	s_cbranch_vccnz .LBB231_46
; %bb.9:
	s_clause 0x1
	s_load_b128 s[4:7], s[0:1], 0x20
	s_load_b64 s[12:13], s[0:1], 0x30
	s_waitcnt lgkmcnt(0)
	s_cmp_eq_u64 s[4:5], 0
	s_cbranch_scc1 .LBB231_11
; %bb.10:
	s_lshl_b64 s[8:9], s[8:9], 3
	s_delay_alu instid0(SALU_CYCLE_1)
	s_add_u32 s4, s4, s8
	s_addc_u32 s5, s5, s9
	s_load_b64 s[4:5], s[4:5], 0x0
	s_waitcnt lgkmcnt(0)
	s_sub_u32 s8, s4, s10
	s_subb_u32 s9, s5, 0
.LBB231_11:
	s_load_b32 s4, s[0:1], 0x8
	v_mul_u32_u24_e32 v1, 0xaab, v0
	v_mov_b32_e32 v7, 0
	s_delay_alu instid0(VALU_DEP_2) | instskip(NEXT) | instid1(VALU_DEP_1)
	v_lshrrev_b32_e32 v1, 16, v1
	v_mul_lo_u16 v2, v1, 24
	s_delay_alu instid0(VALU_DEP_1)
	v_sub_nc_u16 v8, v0, v2
	s_waitcnt lgkmcnt(0)
	s_cmp_eq_u32 s4, 1
	s_cselect_b32 s2, -1, 0
	s_cmp_lg_u32 s4, 1
	s_cselect_b32 s14, -1, 0
	s_lshl_b64 s[4:5], s[8:9], 3
	s_delay_alu instid0(SALU_CYCLE_1)
	s_add_u32 s6, s6, s4
	s_addc_u32 s7, s7, s5
	s_add_u32 s15, s6, 8
	s_addc_u32 s16, s7, 0
	;; [unrolled: 2-line block ×3, first 2 shown]
	s_cmp_eq_u64 s[12:13], 0
	s_cselect_b32 s5, s16, s5
	s_cselect_b32 s4, s15, s4
	s_load_b64 s[12:13], s[6:7], 0x0
	s_load_b64 s[6:7], s[4:5], 0x0
	;; [unrolled: 1-line block ×3, first 2 shown]
	s_waitcnt lgkmcnt(0)
	v_cmp_ge_i64_e64 s15, s[12:13], s[6:7]
	s_delay_alu instid0(VALU_DEP_1)
	s_and_b32 vcc_lo, exec_lo, s15
	s_cbranch_vccnz .LBB231_16
; %bb.12:
	v_and_b32_e32 v1, 0xffff, v1
	v_cmp_gt_u32_e32 vcc_lo, 0x240, v0
	v_and_b32_e32 v3, 0xffff, v8
	s_clause 0x1
	s_load_b64 s[20:21], s[0:1], 0x48
	s_load_b128 s[16:19], s[0:1], 0x38
	v_subrev_nc_u32_e32 v2, 24, v1
	s_sub_u32 s0, s6, s10
	s_subb_u32 s1, s7, 0
	s_sub_u32 s6, s12, s10
	s_subb_u32 s7, s13, 0
	v_cndmask_b32_e32 v1, v2, v1, vcc_lo
	v_cmp_lt_u32_e32 vcc_lo, 0x23f, v0
	v_mov_b32_e32 v7, 0
	s_delay_alu instid0(VALU_DEP_3) | instskip(SKIP_2) | instid1(VALU_DEP_1)
	v_cndmask_b32_e64 v1, v3, v1, s2
	v_cndmask_b32_e64 v9, 0, 1, vcc_lo
	s_mul_i32 s2, s7, 0x240
	v_add_co_u32 v3, s12, s12, v9
	s_delay_alu instid0(VALU_DEP_1) | instskip(SKIP_1) | instid1(VALU_DEP_2)
	v_add_co_ci_u32_e64 v4, null, s13, 0, s12
	s_mul_hi_u32 s12, s6, 0x240
	v_sub_co_u32 v3, vcc_lo, v3, s10
	s_delay_alu instid0(VALU_DEP_2)
	v_subrev_co_ci_u32_e32 v4, vcc_lo, 0, v4, vcc_lo
	s_mul_i32 s13, s6, 0x240
	s_add_i32 s12, s12, s2
	s_waitcnt lgkmcnt(0)
	s_add_u32 s2, s18, s13
	v_lshlrev_b64 v[5:6], 3, v[3:4]
	v_add_co_u32 v1, s15, s20, v1
	s_addc_u32 s12, s19, s12
	v_add_co_u32 v3, s2, s2, v0
	s_delay_alu instid0(VALU_DEP_3)
	v_add_co_u32 v5, vcc_lo, s16, v5
	v_add_co_ci_u32_e64 v2, null, s21, 0, s15
	v_add_co_ci_u32_e64 v4, null, s12, 0, s2
	v_add_co_ci_u32_e32 v6, vcc_lo, s17, v6, vcc_lo
	s_set_inst_prefetch_distance 0x1
	s_branch .LBB231_14
	.p2align	6
.LBB231_13:                             ;   in Loop: Header=BB231_14 Depth=1
	s_or_b32 exec_lo, exec_lo, s2
	s_add_u32 s6, s6, 1
	s_addc_u32 s7, s7, 0
	v_add_co_u32 v5, vcc_lo, v5, 8
	v_cmp_lt_i64_e64 s2, s[6:7], s[0:1]
	v_add_co_ci_u32_e32 v6, vcc_lo, 0, v6, vcc_lo
	s_delay_alu instid0(VALU_DEP_2)
	s_and_b32 vcc_lo, exec_lo, s2
	s_cbranch_vccz .LBB231_16
.LBB231_14:                             ; =>This Inner Loop Header: Depth=1
	v_add_co_u32 v10, s2, v9, s6
	s_delay_alu instid0(VALU_DEP_1) | instskip(SKIP_1) | instid1(VALU_DEP_1)
	v_add_co_ci_u32_e64 v11, null, 0, s7, s2
	s_mov_b32 s2, exec_lo
	v_cmpx_gt_i64_e64 s[0:1], v[10:11]
	s_cbranch_execz .LBB231_13
; %bb.15:                               ;   in Loop: Header=BB231_14 Depth=1
	global_load_b64 v[10:11], v[5:6], off
	s_waitcnt vmcnt(0)
	v_sub_co_u32 v12, vcc_lo, v10, s10
	v_subrev_co_ci_u32_e32 v14, vcc_lo, 0, v11, vcc_lo
	s_delay_alu instid0(VALU_DEP_2) | instskip(NEXT) | instid1(VALU_DEP_1)
	v_mad_u64_u32 v[10:11], null, v12, 24, v[1:2]
	v_mad_u64_u32 v[12:13], null, v14, 24, v[11:12]
	s_delay_alu instid0(VALU_DEP_1)
	v_mov_b32_e32 v11, v12
	global_load_i8 v12, v[3:4], off
	global_load_i8 v10, v[10:11], off
	v_add_co_u32 v3, vcc_lo, 0x240, v3
	v_add_co_ci_u32_e32 v4, vcc_lo, 0, v4, vcc_lo
	s_waitcnt vmcnt(0)
	v_mad_i32_i24 v7, v10, v12, v7
	s_branch .LBB231_13
.LBB231_16:
	s_set_inst_prefetch_distance 0x2
	v_lshlrev_b32_e32 v1, 2, v0
	s_and_b32 vcc_lo, exec_lo, s14
	ds_store_b32 v1, v7
	s_waitcnt lgkmcnt(0)
	s_barrier
	buffer_gl0_inv
	s_cbranch_vccz .LBB231_28
; %bb.17:
	v_cmp_gt_u16_e32 vcc_lo, 8, v8
	s_and_saveexec_b32 s0, vcc_lo
	s_cbranch_execz .LBB231_19
; %bb.18:
	ds_load_2addr_b32 v[2:3], v1 offset1:16
	s_waitcnt lgkmcnt(0)
	v_add_nc_u32_e32 v2, v2, v3
	ds_store_b32 v1, v2
.LBB231_19:
	s_or_b32 exec_lo, exec_lo, s0
	s_waitcnt lgkmcnt(0)
	s_barrier
	buffer_gl0_inv
	s_and_saveexec_b32 s0, vcc_lo
	s_cbranch_execz .LBB231_21
; %bb.20:
	ds_load_2addr_b32 v[2:3], v1 offset1:8
	s_waitcnt lgkmcnt(0)
	v_add_nc_u32_e32 v2, v2, v3
	ds_store_b32 v1, v2
.LBB231_21:
	s_or_b32 exec_lo, exec_lo, s0
	s_delay_alu instid0(SALU_CYCLE_1)
	s_mov_b32 s0, exec_lo
	s_waitcnt lgkmcnt(0)
	s_barrier
	buffer_gl0_inv
	v_cmpx_gt_u16_e32 4, v8
	s_cbranch_execz .LBB231_23
; %bb.22:
	ds_load_2addr_b32 v[2:3], v1 offset1:4
	s_waitcnt lgkmcnt(0)
	v_add_nc_u32_e32 v2, v2, v3
	ds_store_b32 v1, v2
.LBB231_23:
	s_or_b32 exec_lo, exec_lo, s0
	s_delay_alu instid0(SALU_CYCLE_1)
	s_mov_b32 s0, exec_lo
	s_waitcnt lgkmcnt(0)
	s_barrier
	buffer_gl0_inv
	v_cmpx_gt_u16_e32 2, v8
	s_cbranch_execz .LBB231_25
; %bb.24:
	ds_load_2addr_b32 v[2:3], v1 offset1:2
	s_waitcnt lgkmcnt(0)
	v_add_nc_u32_e32 v2, v2, v3
	ds_store_b32 v1, v2
.LBB231_25:
	s_or_b32 exec_lo, exec_lo, s0
	s_mov_b32 s1, 0
	s_mov_b32 s0, 0
	s_mov_b32 s2, exec_lo
	s_waitcnt lgkmcnt(0)
	s_barrier
	buffer_gl0_inv
                                        ; implicit-def: $vgpr2
                                        ; implicit-def: $vgpr3
	v_cmpx_gt_u32_e32 24, v0
	s_xor_b32 s2, exec_lo, s2
; %bb.26:
	v_mul_u32_u24_e32 v3, 24, v0
	s_mov_b32 s0, exec_lo
	s_delay_alu instid0(VALU_DEP_1)
	v_or_b32_e32 v2, 1, v3
	v_lshlrev_b32_e32 v3, 2, v3
; %bb.27:
	s_or_b32 exec_lo, exec_lo, s2
	s_delay_alu instid0(SALU_CYCLE_1)
	s_and_b32 vcc_lo, exec_lo, s1
	s_cbranch_vccnz .LBB231_29
	s_branch .LBB231_40
.LBB231_28:
	s_mov_b32 s0, 0
                                        ; implicit-def: $vgpr2
                                        ; implicit-def: $vgpr3
	s_cbranch_execz .LBB231_40
.LBB231_29:
	v_cmp_gt_u32_e32 vcc_lo, 0xc0, v0
	s_and_saveexec_b32 s1, vcc_lo
	s_cbranch_execz .LBB231_31
; %bb.30:
	ds_load_2addr_stride64_b32 v[2:3], v1 offset1:6
	s_waitcnt lgkmcnt(0)
	v_add_nc_u32_e32 v2, v2, v3
	ds_store_b32 v1, v2
.LBB231_31:
	s_or_b32 exec_lo, exec_lo, s1
	s_waitcnt lgkmcnt(0)
	s_barrier
	buffer_gl0_inv
	s_and_saveexec_b32 s1, vcc_lo
	s_cbranch_execz .LBB231_33
; %bb.32:
	ds_load_2addr_stride64_b32 v[2:3], v1 offset1:3
	s_waitcnt lgkmcnt(0)
	v_add_nc_u32_e32 v2, v2, v3
	ds_store_b32 v1, v2
.LBB231_33:
	s_or_b32 exec_lo, exec_lo, s1
	s_delay_alu instid0(SALU_CYCLE_1)
	s_mov_b32 s1, exec_lo
	s_waitcnt lgkmcnt(0)
	s_barrier
	buffer_gl0_inv
	v_cmpx_gt_u32_e32 0x60, v0
	s_cbranch_execz .LBB231_35
; %bb.34:
	ds_load_2addr_b32 v[2:3], v1 offset1:96
	s_waitcnt lgkmcnt(0)
	v_add_nc_u32_e32 v2, v2, v3
	ds_store_b32 v1, v2
.LBB231_35:
	s_or_b32 exec_lo, exec_lo, s1
	s_delay_alu instid0(SALU_CYCLE_1)
	s_mov_b32 s1, exec_lo
	s_waitcnt lgkmcnt(0)
	s_barrier
	buffer_gl0_inv
	v_cmpx_gt_u32_e32 48, v0
	s_cbranch_execz .LBB231_37
; %bb.36:
	ds_load_2addr_b32 v[2:3], v1 offset1:48
	s_waitcnt lgkmcnt(0)
	v_add_nc_u32_e32 v2, v2, v3
	ds_store_b32 v1, v2
.LBB231_37:
	s_or_b32 exec_lo, exec_lo, s1
	s_delay_alu instid0(SALU_CYCLE_1)
	s_mov_b32 s1, exec_lo
	s_waitcnt lgkmcnt(0)
	buffer_gl0_inv
                                        ; implicit-def: $vgpr2
	v_cmpx_gt_u32_e32 24, v0
; %bb.38:
	v_add_nc_u32_e32 v2, 24, v0
	s_or_b32 s0, s0, exec_lo
                                        ; implicit-def: $vgpr7
; %bb.39:
	s_or_b32 exec_lo, exec_lo, s1
	v_mov_b32_e32 v3, v1
.LBB231_40:
	s_and_saveexec_b32 s1, s0
	s_cbranch_execz .LBB231_42
; %bb.41:
	v_lshlrev_b32_e32 v1, 2, v2
	ds_load_b32 v2, v3
	ds_load_b32 v1, v1
	s_waitcnt lgkmcnt(0)
	v_add_nc_u32_e32 v7, v1, v2
.LBB231_42:
	s_or_b32 exec_lo, exec_lo, s1
	s_delay_alu instid0(SALU_CYCLE_1)
	s_mov_b32 s0, exec_lo
	v_cmpx_gt_u32_e32 24, v0
	s_cbranch_execz .LBB231_46
; %bb.43:
	v_mul_lo_u32 v1, v7, s11
	s_mov_b32 s6, 0
	s_cmp_eq_u32 s3, 0
	s_mul_i32 s0, s9, 0x60
	s_mul_hi_u32 s1, s8, 0x60
	s_mul_i32 s2, s8, 0x60
	s_cbranch_scc1 .LBB231_47
; %bb.44:
	v_lshlrev_b32_e32 v4, 2, v0
	s_add_i32 s7, s1, s0
	s_add_u32 s8, s4, s2
	s_addc_u32 s9, s5, s7
	global_load_b32 v5, v4, s[8:9]
	s_waitcnt vmcnt(0)
	v_mad_u64_u32 v[2:3], null, v5, s3, v[1:2]
	global_store_b32 v4, v2, s[8:9]
	s_and_not1_b32 vcc_lo, exec_lo, s6
	s_cbranch_vccnz .LBB231_46
.LBB231_45:
	v_lshlrev_b32_e32 v0, 2, v0
	s_add_i32 s1, s1, s0
	s_add_u32 s0, s4, s2
	s_addc_u32 s1, s5, s1
	global_store_b32 v0, v1, s[0:1]
.LBB231_46:
	s_nop 0
	s_sendmsg sendmsg(MSG_DEALLOC_VGPRS)
	s_endpgm
.LBB231_47:
	s_branch .LBB231_45
	.section	.rodata,"a",@progbits
	.p2align	6, 0x0
	.amdhsa_kernel _ZN9rocsparseL20bsrxmvn_17_32_kernelILj24EillaaiEEvT2_20rocsparse_direction_NS_24const_host_device_scalarIT0_EES1_PKS1_PKT1_SA_S7_PKT3_PKT4_S5_PT5_21rocsparse_index_base_b
		.amdhsa_group_segment_fixed_size 2304
		.amdhsa_private_segment_fixed_size 0
		.amdhsa_kernarg_size 104
		.amdhsa_user_sgpr_count 15
		.amdhsa_user_sgpr_dispatch_ptr 0
		.amdhsa_user_sgpr_queue_ptr 0
		.amdhsa_user_sgpr_kernarg_segment_ptr 1
		.amdhsa_user_sgpr_dispatch_id 0
		.amdhsa_user_sgpr_private_segment_size 0
		.amdhsa_wavefront_size32 1
		.amdhsa_uses_dynamic_stack 0
		.amdhsa_enable_private_segment 0
		.amdhsa_system_sgpr_workgroup_id_x 1
		.amdhsa_system_sgpr_workgroup_id_y 0
		.amdhsa_system_sgpr_workgroup_id_z 0
		.amdhsa_system_sgpr_workgroup_info 0
		.amdhsa_system_vgpr_workitem_id 0
		.amdhsa_next_free_vgpr 15
		.amdhsa_next_free_sgpr 22
		.amdhsa_reserve_vcc 1
		.amdhsa_float_round_mode_32 0
		.amdhsa_float_round_mode_16_64 0
		.amdhsa_float_denorm_mode_32 3
		.amdhsa_float_denorm_mode_16_64 3
		.amdhsa_dx10_clamp 1
		.amdhsa_ieee_mode 1
		.amdhsa_fp16_overflow 0
		.amdhsa_workgroup_processor_mode 1
		.amdhsa_memory_ordered 1
		.amdhsa_forward_progress 0
		.amdhsa_shared_vgpr_count 0
		.amdhsa_exception_fp_ieee_invalid_op 0
		.amdhsa_exception_fp_denorm_src 0
		.amdhsa_exception_fp_ieee_div_zero 0
		.amdhsa_exception_fp_ieee_overflow 0
		.amdhsa_exception_fp_ieee_underflow 0
		.amdhsa_exception_fp_ieee_inexact 0
		.amdhsa_exception_int_div_zero 0
	.end_amdhsa_kernel
	.section	.text._ZN9rocsparseL20bsrxmvn_17_32_kernelILj24EillaaiEEvT2_20rocsparse_direction_NS_24const_host_device_scalarIT0_EES1_PKS1_PKT1_SA_S7_PKT3_PKT4_S5_PT5_21rocsparse_index_base_b,"axG",@progbits,_ZN9rocsparseL20bsrxmvn_17_32_kernelILj24EillaaiEEvT2_20rocsparse_direction_NS_24const_host_device_scalarIT0_EES1_PKS1_PKT1_SA_S7_PKT3_PKT4_S5_PT5_21rocsparse_index_base_b,comdat
.Lfunc_end231:
	.size	_ZN9rocsparseL20bsrxmvn_17_32_kernelILj24EillaaiEEvT2_20rocsparse_direction_NS_24const_host_device_scalarIT0_EES1_PKS1_PKT1_SA_S7_PKT3_PKT4_S5_PT5_21rocsparse_index_base_b, .Lfunc_end231-_ZN9rocsparseL20bsrxmvn_17_32_kernelILj24EillaaiEEvT2_20rocsparse_direction_NS_24const_host_device_scalarIT0_EES1_PKS1_PKT1_SA_S7_PKT3_PKT4_S5_PT5_21rocsparse_index_base_b
                                        ; -- End function
	.section	.AMDGPU.csdata,"",@progbits
; Kernel info:
; codeLenInByte = 1620
; NumSgprs: 24
; NumVgprs: 15
; ScratchSize: 0
; MemoryBound: 0
; FloatMode: 240
; IeeeMode: 1
; LDSByteSize: 2304 bytes/workgroup (compile time only)
; SGPRBlocks: 2
; VGPRBlocks: 1
; NumSGPRsForWavesPerEU: 24
; NumVGPRsForWavesPerEU: 15
; Occupancy: 14
; WaveLimiterHint : 1
; COMPUTE_PGM_RSRC2:SCRATCH_EN: 0
; COMPUTE_PGM_RSRC2:USER_SGPR: 15
; COMPUTE_PGM_RSRC2:TRAP_HANDLER: 0
; COMPUTE_PGM_RSRC2:TGID_X_EN: 1
; COMPUTE_PGM_RSRC2:TGID_Y_EN: 0
; COMPUTE_PGM_RSRC2:TGID_Z_EN: 0
; COMPUTE_PGM_RSRC2:TIDIG_COMP_CNT: 0
	.section	.text._ZN9rocsparseL20bsrxmvn_17_32_kernelILj25EillaaiEEvT2_20rocsparse_direction_NS_24const_host_device_scalarIT0_EES1_PKS1_PKT1_SA_S7_PKT3_PKT4_S5_PT5_21rocsparse_index_base_b,"axG",@progbits,_ZN9rocsparseL20bsrxmvn_17_32_kernelILj25EillaaiEEvT2_20rocsparse_direction_NS_24const_host_device_scalarIT0_EES1_PKS1_PKT1_SA_S7_PKT3_PKT4_S5_PT5_21rocsparse_index_base_b,comdat
	.globl	_ZN9rocsparseL20bsrxmvn_17_32_kernelILj25EillaaiEEvT2_20rocsparse_direction_NS_24const_host_device_scalarIT0_EES1_PKS1_PKT1_SA_S7_PKT3_PKT4_S5_PT5_21rocsparse_index_base_b ; -- Begin function _ZN9rocsparseL20bsrxmvn_17_32_kernelILj25EillaaiEEvT2_20rocsparse_direction_NS_24const_host_device_scalarIT0_EES1_PKS1_PKT1_SA_S7_PKT3_PKT4_S5_PT5_21rocsparse_index_base_b
	.p2align	8
	.type	_ZN9rocsparseL20bsrxmvn_17_32_kernelILj25EillaaiEEvT2_20rocsparse_direction_NS_24const_host_device_scalarIT0_EES1_PKS1_PKT1_SA_S7_PKT3_PKT4_S5_PT5_21rocsparse_index_base_b,@function
_ZN9rocsparseL20bsrxmvn_17_32_kernelILj25EillaaiEEvT2_20rocsparse_direction_NS_24const_host_device_scalarIT0_EES1_PKS1_PKT1_SA_S7_PKT3_PKT4_S5_PT5_21rocsparse_index_base_b: ; @_ZN9rocsparseL20bsrxmvn_17_32_kernelILj25EillaaiEEvT2_20rocsparse_direction_NS_24const_host_device_scalarIT0_EES1_PKS1_PKT1_SA_S7_PKT3_PKT4_S5_PT5_21rocsparse_index_base_b
; %bb.0:
	s_clause 0x1
	s_load_b64 s[10:11], s[0:1], 0x60
	s_load_b64 s[4:5], s[0:1], 0x10
	s_mov_b32 s8, s15
	s_mov_b32 s7, -1
	s_waitcnt lgkmcnt(0)
	s_bitcmp1_b32 s11, 0
                                        ; implicit-def: $sgpr11
	s_cselect_b32 s2, -1, 0
	s_delay_alu instid0(SALU_CYCLE_1) | instskip(NEXT) | instid1(SALU_CYCLE_1)
	s_xor_b32 s6, s2, -1
	s_and_b32 vcc_lo, exec_lo, s6
	s_cbranch_vccnz .LBB232_4
; %bb.1:
	s_load_b64 s[2:3], s[0:1], 0x50
	s_and_not1_b32 vcc_lo, exec_lo, s7
	s_cbranch_vccz .LBB232_5
.LBB232_2:
	s_and_b32 vcc_lo, exec_lo, s6
	s_cbranch_vccz .LBB232_6
.LBB232_3:
	s_waitcnt lgkmcnt(0)
	s_load_b32 s3, s[2:3], 0x0
	s_cbranch_execz .LBB232_7
	s_branch .LBB232_8
.LBB232_4:
	s_load_b32 s11, s[4:5], 0x0
	s_load_b64 s[2:3], s[0:1], 0x50
	s_cbranch_execnz .LBB232_2
.LBB232_5:
	s_waitcnt lgkmcnt(0)
	s_mov_b32 s11, s4
	s_and_b32 vcc_lo, exec_lo, s6
	s_cbranch_vccnz .LBB232_3
.LBB232_6:
                                        ; implicit-def: $sgpr3
.LBB232_7:
	s_waitcnt lgkmcnt(0)
	s_mov_b32 s3, s2
.LBB232_8:
	s_waitcnt lgkmcnt(0)
	s_cmp_lg_u32 s11, 0
	s_mov_b32 s9, 0
	s_cselect_b32 s2, -1, 0
	s_cmp_lg_u32 s3, 1
	s_cselect_b32 s4, -1, 0
	s_delay_alu instid0(SALU_CYCLE_1) | instskip(NEXT) | instid1(SALU_CYCLE_1)
	s_or_b32 s2, s2, s4
	s_and_not1_b32 vcc_lo, exec_lo, s2
	s_cbranch_vccnz .LBB232_46
; %bb.9:
	s_clause 0x1
	s_load_b128 s[4:7], s[0:1], 0x20
	s_load_b64 s[12:13], s[0:1], 0x30
	s_waitcnt lgkmcnt(0)
	s_cmp_eq_u64 s[4:5], 0
	s_cbranch_scc1 .LBB232_11
; %bb.10:
	s_lshl_b64 s[8:9], s[8:9], 3
	s_delay_alu instid0(SALU_CYCLE_1)
	s_add_u32 s4, s4, s8
	s_addc_u32 s5, s5, s9
	s_load_b64 s[4:5], s[4:5], 0x0
	s_waitcnt lgkmcnt(0)
	s_sub_u32 s8, s4, s10
	s_subb_u32 s9, s5, 0
.LBB232_11:
	s_load_b32 s4, s[0:1], 0x8
	v_mul_u32_u24_e32 v1, 0xa3e, v0
	v_mov_b32_e32 v7, 0
	s_delay_alu instid0(VALU_DEP_2) | instskip(NEXT) | instid1(VALU_DEP_1)
	v_lshrrev_b32_e32 v1, 16, v1
	v_mul_lo_u16 v2, v1, 25
	s_delay_alu instid0(VALU_DEP_1)
	v_sub_nc_u16 v8, v0, v2
	s_waitcnt lgkmcnt(0)
	s_cmp_eq_u32 s4, 1
	s_cselect_b32 s2, -1, 0
	s_cmp_lg_u32 s4, 1
	s_cselect_b32 s14, -1, 0
	s_lshl_b64 s[4:5], s[8:9], 3
	s_delay_alu instid0(SALU_CYCLE_1)
	s_add_u32 s6, s6, s4
	s_addc_u32 s7, s7, s5
	s_add_u32 s15, s6, 8
	s_addc_u32 s16, s7, 0
	;; [unrolled: 2-line block ×3, first 2 shown]
	s_cmp_eq_u64 s[12:13], 0
	s_cselect_b32 s5, s16, s5
	s_cselect_b32 s4, s15, s4
	s_load_b64 s[12:13], s[6:7], 0x0
	s_load_b64 s[6:7], s[4:5], 0x0
	;; [unrolled: 1-line block ×3, first 2 shown]
	s_waitcnt lgkmcnt(0)
	v_cmp_ge_i64_e64 s15, s[12:13], s[6:7]
	s_delay_alu instid0(VALU_DEP_1)
	s_and_b32 vcc_lo, exec_lo, s15
	s_cbranch_vccnz .LBB232_16
; %bb.12:
	v_and_b32_e32 v1, 0xffff, v1
	v_cmp_gt_u32_e32 vcc_lo, 0x271, v0
	v_and_b32_e32 v3, 0xffff, v8
	s_clause 0x1
	s_load_b64 s[20:21], s[0:1], 0x48
	s_load_b128 s[16:19], s[0:1], 0x38
	v_subrev_nc_u32_e32 v2, 25, v1
	s_sub_u32 s0, s6, s10
	s_subb_u32 s1, s7, 0
	s_sub_u32 s6, s12, s10
	s_subb_u32 s7, s13, 0
	v_cndmask_b32_e32 v1, v2, v1, vcc_lo
	v_cmp_lt_u32_e32 vcc_lo, 0x270, v0
	v_mov_b32_e32 v7, 0
	s_delay_alu instid0(VALU_DEP_3) | instskip(SKIP_2) | instid1(VALU_DEP_1)
	v_cndmask_b32_e64 v1, v3, v1, s2
	v_cndmask_b32_e64 v9, 0, 1, vcc_lo
	s_mul_i32 s2, s7, 0x271
	v_add_co_u32 v3, s12, s12, v9
	s_delay_alu instid0(VALU_DEP_1) | instskip(SKIP_1) | instid1(VALU_DEP_2)
	v_add_co_ci_u32_e64 v4, null, s13, 0, s12
	s_mul_hi_u32 s12, s6, 0x271
	v_sub_co_u32 v3, vcc_lo, v3, s10
	s_delay_alu instid0(VALU_DEP_2)
	v_subrev_co_ci_u32_e32 v4, vcc_lo, 0, v4, vcc_lo
	s_mul_i32 s13, s6, 0x271
	s_add_i32 s12, s12, s2
	s_waitcnt lgkmcnt(0)
	s_add_u32 s2, s18, s13
	v_lshlrev_b64 v[5:6], 3, v[3:4]
	v_add_co_u32 v1, s15, s20, v1
	s_addc_u32 s12, s19, s12
	v_add_co_u32 v3, s2, s2, v0
	s_delay_alu instid0(VALU_DEP_3)
	v_add_co_u32 v5, vcc_lo, s16, v5
	v_add_co_ci_u32_e64 v2, null, s21, 0, s15
	v_add_co_ci_u32_e64 v4, null, s12, 0, s2
	v_add_co_ci_u32_e32 v6, vcc_lo, s17, v6, vcc_lo
	s_set_inst_prefetch_distance 0x1
	s_branch .LBB232_14
	.p2align	6
.LBB232_13:                             ;   in Loop: Header=BB232_14 Depth=1
	s_or_b32 exec_lo, exec_lo, s2
	s_add_u32 s6, s6, 1
	s_addc_u32 s7, s7, 0
	v_add_co_u32 v5, vcc_lo, v5, 8
	v_cmp_lt_i64_e64 s2, s[6:7], s[0:1]
	v_add_co_ci_u32_e32 v6, vcc_lo, 0, v6, vcc_lo
	s_delay_alu instid0(VALU_DEP_2)
	s_and_b32 vcc_lo, exec_lo, s2
	s_cbranch_vccz .LBB232_16
.LBB232_14:                             ; =>This Inner Loop Header: Depth=1
	v_add_co_u32 v10, s2, v9, s6
	s_delay_alu instid0(VALU_DEP_1) | instskip(SKIP_1) | instid1(VALU_DEP_1)
	v_add_co_ci_u32_e64 v11, null, 0, s7, s2
	s_mov_b32 s2, exec_lo
	v_cmpx_gt_i64_e64 s[0:1], v[10:11]
	s_cbranch_execz .LBB232_13
; %bb.15:                               ;   in Loop: Header=BB232_14 Depth=1
	global_load_b64 v[10:11], v[5:6], off
	s_waitcnt vmcnt(0)
	v_sub_co_u32 v12, vcc_lo, v10, s10
	v_subrev_co_ci_u32_e32 v14, vcc_lo, 0, v11, vcc_lo
	s_delay_alu instid0(VALU_DEP_2) | instskip(NEXT) | instid1(VALU_DEP_1)
	v_mad_u64_u32 v[10:11], null, v12, 25, v[1:2]
	v_mad_u64_u32 v[12:13], null, v14, 25, v[11:12]
	s_delay_alu instid0(VALU_DEP_1)
	v_mov_b32_e32 v11, v12
	global_load_i8 v12, v[3:4], off
	global_load_i8 v10, v[10:11], off
	v_add_co_u32 v3, vcc_lo, 0x271, v3
	v_add_co_ci_u32_e32 v4, vcc_lo, 0, v4, vcc_lo
	s_waitcnt vmcnt(0)
	v_mad_i32_i24 v7, v10, v12, v7
	s_branch .LBB232_13
.LBB232_16:
	s_set_inst_prefetch_distance 0x2
	v_lshlrev_b32_e32 v1, 2, v0
	s_and_b32 vcc_lo, exec_lo, s14
	ds_store_b32 v1, v7
	s_waitcnt lgkmcnt(0)
	s_barrier
	buffer_gl0_inv
	s_cbranch_vccz .LBB232_28
; %bb.17:
	s_mov_b32 s0, exec_lo
	v_cmpx_gt_u16_e32 9, v8
	s_cbranch_execz .LBB232_19
; %bb.18:
	ds_load_2addr_b32 v[2:3], v1 offset1:16
	s_waitcnt lgkmcnt(0)
	v_add_nc_u32_e32 v2, v2, v3
	ds_store_b32 v1, v2
.LBB232_19:
	s_or_b32 exec_lo, exec_lo, s0
	s_delay_alu instid0(SALU_CYCLE_1)
	s_mov_b32 s0, exec_lo
	s_waitcnt lgkmcnt(0)
	s_barrier
	buffer_gl0_inv
	v_cmpx_gt_u16_e32 8, v8
	s_cbranch_execz .LBB232_21
; %bb.20:
	ds_load_2addr_b32 v[2:3], v1 offset1:8
	s_waitcnt lgkmcnt(0)
	v_add_nc_u32_e32 v2, v2, v3
	ds_store_b32 v1, v2
.LBB232_21:
	s_or_b32 exec_lo, exec_lo, s0
	s_delay_alu instid0(SALU_CYCLE_1)
	s_mov_b32 s0, exec_lo
	s_waitcnt lgkmcnt(0)
	s_barrier
	buffer_gl0_inv
	;; [unrolled: 14-line block ×3, first 2 shown]
	v_cmpx_gt_u16_e32 2, v8
	s_cbranch_execz .LBB232_25
; %bb.24:
	ds_load_2addr_b32 v[2:3], v1 offset1:2
	s_waitcnt lgkmcnt(0)
	v_add_nc_u32_e32 v2, v2, v3
	ds_store_b32 v1, v2
.LBB232_25:
	s_or_b32 exec_lo, exec_lo, s0
	s_mov_b32 s1, 0
	s_mov_b32 s0, 0
	s_mov_b32 s2, exec_lo
	s_waitcnt lgkmcnt(0)
	s_barrier
	buffer_gl0_inv
                                        ; implicit-def: $vgpr2
                                        ; implicit-def: $vgpr3
	v_cmpx_gt_u32_e32 25, v0
	s_xor_b32 s2, exec_lo, s2
; %bb.26:
	v_mul_u32_u24_e32 v3, 25, v0
	v_mad_u32_u24 v2, v0, 25, 1
	s_mov_b32 s0, exec_lo
	s_delay_alu instid0(VALU_DEP_2)
	v_lshlrev_b32_e32 v3, 2, v3
; %bb.27:
	s_or_b32 exec_lo, exec_lo, s2
	s_delay_alu instid0(SALU_CYCLE_1)
	s_and_b32 vcc_lo, exec_lo, s1
	s_cbranch_vccnz .LBB232_29
	s_branch .LBB232_40
.LBB232_28:
	s_mov_b32 s0, 0
                                        ; implicit-def: $vgpr2
                                        ; implicit-def: $vgpr3
	s_cbranch_execz .LBB232_40
.LBB232_29:
	s_mov_b32 s1, exec_lo
	v_cmpx_gt_u32_e32 0xe1, v0
	s_cbranch_execz .LBB232_31
; %bb.30:
	ds_load_b32 v2, v1 offset:1600
	ds_load_b32 v3, v1
	s_waitcnt lgkmcnt(0)
	v_add_nc_u32_e32 v2, v3, v2
	ds_store_b32 v1, v2
.LBB232_31:
	s_or_b32 exec_lo, exec_lo, s1
	s_delay_alu instid0(SALU_CYCLE_1)
	s_mov_b32 s1, exec_lo
	s_waitcnt lgkmcnt(0)
	s_barrier
	buffer_gl0_inv
	v_cmpx_gt_u32_e32 0xc8, v0
	s_cbranch_execz .LBB232_33
; %bb.32:
	ds_load_2addr_b32 v[2:3], v1 offset1:200
	s_waitcnt lgkmcnt(0)
	v_add_nc_u32_e32 v2, v2, v3
	ds_store_b32 v1, v2
.LBB232_33:
	s_or_b32 exec_lo, exec_lo, s1
	s_delay_alu instid0(SALU_CYCLE_1)
	s_mov_b32 s1, exec_lo
	s_waitcnt lgkmcnt(0)
	s_barrier
	buffer_gl0_inv
	v_cmpx_gt_u32_e32 0x64, v0
	s_cbranch_execz .LBB232_35
; %bb.34:
	ds_load_2addr_b32 v[2:3], v1 offset1:100
	s_waitcnt lgkmcnt(0)
	v_add_nc_u32_e32 v2, v2, v3
	ds_store_b32 v1, v2
.LBB232_35:
	;; [unrolled: 14-line block ×3, first 2 shown]
	s_or_b32 exec_lo, exec_lo, s1
	s_delay_alu instid0(SALU_CYCLE_1)
	s_mov_b32 s1, exec_lo
	s_waitcnt lgkmcnt(0)
	buffer_gl0_inv
                                        ; implicit-def: $vgpr2
	v_cmpx_gt_u32_e32 25, v0
; %bb.38:
	v_add_nc_u32_e32 v2, 25, v0
	s_or_b32 s0, s0, exec_lo
                                        ; implicit-def: $vgpr7
; %bb.39:
	s_or_b32 exec_lo, exec_lo, s1
	v_mov_b32_e32 v3, v1
.LBB232_40:
	s_and_saveexec_b32 s1, s0
	s_cbranch_execz .LBB232_42
; %bb.41:
	v_lshlrev_b32_e32 v1, 2, v2
	ds_load_b32 v2, v3
	ds_load_b32 v1, v1
	s_waitcnt lgkmcnt(0)
	v_add_nc_u32_e32 v7, v1, v2
.LBB232_42:
	s_or_b32 exec_lo, exec_lo, s1
	s_delay_alu instid0(SALU_CYCLE_1)
	s_mov_b32 s0, exec_lo
	v_cmpx_gt_u32_e32 25, v0
	s_cbranch_execz .LBB232_46
; %bb.43:
	v_mul_lo_u32 v1, v7, s11
	s_mov_b32 s6, 0
	s_cmp_eq_u32 s3, 0
	s_mul_i32 s0, s9, 0x64
	s_mul_hi_u32 s1, s8, 0x64
	s_mul_i32 s2, s8, 0x64
	s_cbranch_scc1 .LBB232_47
; %bb.44:
	v_lshlrev_b32_e32 v4, 2, v0
	s_add_i32 s7, s1, s0
	s_add_u32 s8, s4, s2
	s_addc_u32 s9, s5, s7
	global_load_b32 v5, v4, s[8:9]
	s_waitcnt vmcnt(0)
	v_mad_u64_u32 v[2:3], null, v5, s3, v[1:2]
	global_store_b32 v4, v2, s[8:9]
	s_and_not1_b32 vcc_lo, exec_lo, s6
	s_cbranch_vccnz .LBB232_46
.LBB232_45:
	v_lshlrev_b32_e32 v0, 2, v0
	s_add_i32 s1, s1, s0
	s_add_u32 s0, s4, s2
	s_addc_u32 s1, s5, s1
	global_store_b32 v0, v1, s[0:1]
.LBB232_46:
	s_nop 0
	s_sendmsg sendmsg(MSG_DEALLOC_VGPRS)
	s_endpgm
.LBB232_47:
	s_branch .LBB232_45
	.section	.rodata,"a",@progbits
	.p2align	6, 0x0
	.amdhsa_kernel _ZN9rocsparseL20bsrxmvn_17_32_kernelILj25EillaaiEEvT2_20rocsparse_direction_NS_24const_host_device_scalarIT0_EES1_PKS1_PKT1_SA_S7_PKT3_PKT4_S5_PT5_21rocsparse_index_base_b
		.amdhsa_group_segment_fixed_size 2500
		.amdhsa_private_segment_fixed_size 0
		.amdhsa_kernarg_size 104
		.amdhsa_user_sgpr_count 15
		.amdhsa_user_sgpr_dispatch_ptr 0
		.amdhsa_user_sgpr_queue_ptr 0
		.amdhsa_user_sgpr_kernarg_segment_ptr 1
		.amdhsa_user_sgpr_dispatch_id 0
		.amdhsa_user_sgpr_private_segment_size 0
		.amdhsa_wavefront_size32 1
		.amdhsa_uses_dynamic_stack 0
		.amdhsa_enable_private_segment 0
		.amdhsa_system_sgpr_workgroup_id_x 1
		.amdhsa_system_sgpr_workgroup_id_y 0
		.amdhsa_system_sgpr_workgroup_id_z 0
		.amdhsa_system_sgpr_workgroup_info 0
		.amdhsa_system_vgpr_workitem_id 0
		.amdhsa_next_free_vgpr 15
		.amdhsa_next_free_sgpr 22
		.amdhsa_reserve_vcc 1
		.amdhsa_float_round_mode_32 0
		.amdhsa_float_round_mode_16_64 0
		.amdhsa_float_denorm_mode_32 3
		.amdhsa_float_denorm_mode_16_64 3
		.amdhsa_dx10_clamp 1
		.amdhsa_ieee_mode 1
		.amdhsa_fp16_overflow 0
		.amdhsa_workgroup_processor_mode 1
		.amdhsa_memory_ordered 1
		.amdhsa_forward_progress 0
		.amdhsa_shared_vgpr_count 0
		.amdhsa_exception_fp_ieee_invalid_op 0
		.amdhsa_exception_fp_denorm_src 0
		.amdhsa_exception_fp_ieee_div_zero 0
		.amdhsa_exception_fp_ieee_overflow 0
		.amdhsa_exception_fp_ieee_underflow 0
		.amdhsa_exception_fp_ieee_inexact 0
		.amdhsa_exception_int_div_zero 0
	.end_amdhsa_kernel
	.section	.text._ZN9rocsparseL20bsrxmvn_17_32_kernelILj25EillaaiEEvT2_20rocsparse_direction_NS_24const_host_device_scalarIT0_EES1_PKS1_PKT1_SA_S7_PKT3_PKT4_S5_PT5_21rocsparse_index_base_b,"axG",@progbits,_ZN9rocsparseL20bsrxmvn_17_32_kernelILj25EillaaiEEvT2_20rocsparse_direction_NS_24const_host_device_scalarIT0_EES1_PKS1_PKT1_SA_S7_PKT3_PKT4_S5_PT5_21rocsparse_index_base_b,comdat
.Lfunc_end232:
	.size	_ZN9rocsparseL20bsrxmvn_17_32_kernelILj25EillaaiEEvT2_20rocsparse_direction_NS_24const_host_device_scalarIT0_EES1_PKS1_PKT1_SA_S7_PKT3_PKT4_S5_PT5_21rocsparse_index_base_b, .Lfunc_end232-_ZN9rocsparseL20bsrxmvn_17_32_kernelILj25EillaaiEEvT2_20rocsparse_direction_NS_24const_host_device_scalarIT0_EES1_PKS1_PKT1_SA_S7_PKT3_PKT4_S5_PT5_21rocsparse_index_base_b
                                        ; -- End function
	.section	.AMDGPU.csdata,"",@progbits
; Kernel info:
; codeLenInByte = 1652
; NumSgprs: 24
; NumVgprs: 15
; ScratchSize: 0
; MemoryBound: 0
; FloatMode: 240
; IeeeMode: 1
; LDSByteSize: 2500 bytes/workgroup (compile time only)
; SGPRBlocks: 2
; VGPRBlocks: 1
; NumSGPRsForWavesPerEU: 24
; NumVGPRsForWavesPerEU: 15
; Occupancy: 15
; WaveLimiterHint : 1
; COMPUTE_PGM_RSRC2:SCRATCH_EN: 0
; COMPUTE_PGM_RSRC2:USER_SGPR: 15
; COMPUTE_PGM_RSRC2:TRAP_HANDLER: 0
; COMPUTE_PGM_RSRC2:TGID_X_EN: 1
; COMPUTE_PGM_RSRC2:TGID_Y_EN: 0
; COMPUTE_PGM_RSRC2:TGID_Z_EN: 0
; COMPUTE_PGM_RSRC2:TIDIG_COMP_CNT: 0
	.section	.text._ZN9rocsparseL20bsrxmvn_17_32_kernelILj26EillaaiEEvT2_20rocsparse_direction_NS_24const_host_device_scalarIT0_EES1_PKS1_PKT1_SA_S7_PKT3_PKT4_S5_PT5_21rocsparse_index_base_b,"axG",@progbits,_ZN9rocsparseL20bsrxmvn_17_32_kernelILj26EillaaiEEvT2_20rocsparse_direction_NS_24const_host_device_scalarIT0_EES1_PKS1_PKT1_SA_S7_PKT3_PKT4_S5_PT5_21rocsparse_index_base_b,comdat
	.globl	_ZN9rocsparseL20bsrxmvn_17_32_kernelILj26EillaaiEEvT2_20rocsparse_direction_NS_24const_host_device_scalarIT0_EES1_PKS1_PKT1_SA_S7_PKT3_PKT4_S5_PT5_21rocsparse_index_base_b ; -- Begin function _ZN9rocsparseL20bsrxmvn_17_32_kernelILj26EillaaiEEvT2_20rocsparse_direction_NS_24const_host_device_scalarIT0_EES1_PKS1_PKT1_SA_S7_PKT3_PKT4_S5_PT5_21rocsparse_index_base_b
	.p2align	8
	.type	_ZN9rocsparseL20bsrxmvn_17_32_kernelILj26EillaaiEEvT2_20rocsparse_direction_NS_24const_host_device_scalarIT0_EES1_PKS1_PKT1_SA_S7_PKT3_PKT4_S5_PT5_21rocsparse_index_base_b,@function
_ZN9rocsparseL20bsrxmvn_17_32_kernelILj26EillaaiEEvT2_20rocsparse_direction_NS_24const_host_device_scalarIT0_EES1_PKS1_PKT1_SA_S7_PKT3_PKT4_S5_PT5_21rocsparse_index_base_b: ; @_ZN9rocsparseL20bsrxmvn_17_32_kernelILj26EillaaiEEvT2_20rocsparse_direction_NS_24const_host_device_scalarIT0_EES1_PKS1_PKT1_SA_S7_PKT3_PKT4_S5_PT5_21rocsparse_index_base_b
; %bb.0:
	s_clause 0x1
	s_load_b64 s[10:11], s[0:1], 0x60
	s_load_b64 s[4:5], s[0:1], 0x10
	s_mov_b32 s8, s15
	s_mov_b32 s7, -1
	s_waitcnt lgkmcnt(0)
	s_bitcmp1_b32 s11, 0
                                        ; implicit-def: $sgpr11
	s_cselect_b32 s2, -1, 0
	s_delay_alu instid0(SALU_CYCLE_1) | instskip(NEXT) | instid1(SALU_CYCLE_1)
	s_xor_b32 s6, s2, -1
	s_and_b32 vcc_lo, exec_lo, s6
	s_cbranch_vccnz .LBB233_4
; %bb.1:
	s_load_b64 s[2:3], s[0:1], 0x50
	s_and_not1_b32 vcc_lo, exec_lo, s7
	s_cbranch_vccz .LBB233_5
.LBB233_2:
	s_and_b32 vcc_lo, exec_lo, s6
	s_cbranch_vccz .LBB233_6
.LBB233_3:
	s_waitcnt lgkmcnt(0)
	s_load_b32 s3, s[2:3], 0x0
	s_cbranch_execz .LBB233_7
	s_branch .LBB233_8
.LBB233_4:
	s_load_b32 s11, s[4:5], 0x0
	s_load_b64 s[2:3], s[0:1], 0x50
	s_cbranch_execnz .LBB233_2
.LBB233_5:
	s_waitcnt lgkmcnt(0)
	s_mov_b32 s11, s4
	s_and_b32 vcc_lo, exec_lo, s6
	s_cbranch_vccnz .LBB233_3
.LBB233_6:
                                        ; implicit-def: $sgpr3
.LBB233_7:
	s_waitcnt lgkmcnt(0)
	s_mov_b32 s3, s2
.LBB233_8:
	s_waitcnt lgkmcnt(0)
	s_cmp_lg_u32 s11, 0
	s_mov_b32 s9, 0
	s_cselect_b32 s2, -1, 0
	s_cmp_lg_u32 s3, 1
	s_cselect_b32 s4, -1, 0
	s_delay_alu instid0(SALU_CYCLE_1) | instskip(NEXT) | instid1(SALU_CYCLE_1)
	s_or_b32 s2, s2, s4
	s_and_not1_b32 vcc_lo, exec_lo, s2
	s_cbranch_vccnz .LBB233_46
; %bb.9:
	s_clause 0x1
	s_load_b128 s[4:7], s[0:1], 0x20
	s_load_b64 s[12:13], s[0:1], 0x30
	s_waitcnt lgkmcnt(0)
	s_cmp_eq_u64 s[4:5], 0
	s_cbranch_scc1 .LBB233_11
; %bb.10:
	s_lshl_b64 s[8:9], s[8:9], 3
	s_delay_alu instid0(SALU_CYCLE_1)
	s_add_u32 s4, s4, s8
	s_addc_u32 s5, s5, s9
	s_load_b64 s[4:5], s[4:5], 0x0
	s_waitcnt lgkmcnt(0)
	s_sub_u32 s8, s4, s10
	s_subb_u32 s9, s5, 0
.LBB233_11:
	s_load_b32 s4, s[0:1], 0x8
	v_mul_u32_u24_e32 v1, 0x9d9, v0
	v_mov_b32_e32 v7, 0
	s_delay_alu instid0(VALU_DEP_2) | instskip(NEXT) | instid1(VALU_DEP_1)
	v_lshrrev_b32_e32 v1, 16, v1
	v_mul_lo_u16 v2, v1, 26
	s_delay_alu instid0(VALU_DEP_1)
	v_sub_nc_u16 v8, v0, v2
	s_waitcnt lgkmcnt(0)
	s_cmp_eq_u32 s4, 1
	s_cselect_b32 s2, -1, 0
	s_cmp_lg_u32 s4, 1
	s_cselect_b32 s14, -1, 0
	s_lshl_b64 s[4:5], s[8:9], 3
	s_delay_alu instid0(SALU_CYCLE_1)
	s_add_u32 s6, s6, s4
	s_addc_u32 s7, s7, s5
	s_add_u32 s15, s6, 8
	s_addc_u32 s16, s7, 0
	;; [unrolled: 2-line block ×3, first 2 shown]
	s_cmp_eq_u64 s[12:13], 0
	s_cselect_b32 s5, s16, s5
	s_cselect_b32 s4, s15, s4
	s_load_b64 s[12:13], s[6:7], 0x0
	s_load_b64 s[6:7], s[4:5], 0x0
	;; [unrolled: 1-line block ×3, first 2 shown]
	s_waitcnt lgkmcnt(0)
	v_cmp_ge_i64_e64 s15, s[12:13], s[6:7]
	s_delay_alu instid0(VALU_DEP_1)
	s_and_b32 vcc_lo, exec_lo, s15
	s_cbranch_vccnz .LBB233_16
; %bb.12:
	v_and_b32_e32 v1, 0xffff, v1
	v_cmp_gt_u32_e32 vcc_lo, 0x2a4, v0
	v_and_b32_e32 v3, 0xffff, v8
	s_clause 0x1
	s_load_b64 s[20:21], s[0:1], 0x48
	s_load_b128 s[16:19], s[0:1], 0x38
	v_subrev_nc_u32_e32 v2, 26, v1
	s_sub_u32 s0, s6, s10
	s_subb_u32 s1, s7, 0
	s_sub_u32 s6, s12, s10
	s_subb_u32 s7, s13, 0
	v_cndmask_b32_e32 v1, v2, v1, vcc_lo
	v_cmp_lt_u32_e32 vcc_lo, 0x2a3, v0
	v_mov_b32_e32 v7, 0
	s_delay_alu instid0(VALU_DEP_3) | instskip(SKIP_2) | instid1(VALU_DEP_1)
	v_cndmask_b32_e64 v1, v3, v1, s2
	v_cndmask_b32_e64 v9, 0, 1, vcc_lo
	s_mul_i32 s2, s7, 0x2a4
	v_add_co_u32 v3, s12, s12, v9
	s_delay_alu instid0(VALU_DEP_1) | instskip(SKIP_1) | instid1(VALU_DEP_2)
	v_add_co_ci_u32_e64 v4, null, s13, 0, s12
	s_mul_hi_u32 s12, s6, 0x2a4
	v_sub_co_u32 v3, vcc_lo, v3, s10
	s_delay_alu instid0(VALU_DEP_2)
	v_subrev_co_ci_u32_e32 v4, vcc_lo, 0, v4, vcc_lo
	s_mul_i32 s13, s6, 0x2a4
	s_add_i32 s12, s12, s2
	s_waitcnt lgkmcnt(0)
	s_add_u32 s2, s18, s13
	v_lshlrev_b64 v[5:6], 3, v[3:4]
	v_add_co_u32 v1, s15, s20, v1
	s_addc_u32 s12, s19, s12
	v_add_co_u32 v3, s2, s2, v0
	s_delay_alu instid0(VALU_DEP_3)
	v_add_co_u32 v5, vcc_lo, s16, v5
	v_add_co_ci_u32_e64 v2, null, s21, 0, s15
	v_add_co_ci_u32_e64 v4, null, s12, 0, s2
	v_add_co_ci_u32_e32 v6, vcc_lo, s17, v6, vcc_lo
	s_set_inst_prefetch_distance 0x1
	s_branch .LBB233_14
	.p2align	6
.LBB233_13:                             ;   in Loop: Header=BB233_14 Depth=1
	s_or_b32 exec_lo, exec_lo, s2
	s_add_u32 s6, s6, 1
	s_addc_u32 s7, s7, 0
	v_add_co_u32 v5, vcc_lo, v5, 8
	v_cmp_lt_i64_e64 s2, s[6:7], s[0:1]
	v_add_co_ci_u32_e32 v6, vcc_lo, 0, v6, vcc_lo
	s_delay_alu instid0(VALU_DEP_2)
	s_and_b32 vcc_lo, exec_lo, s2
	s_cbranch_vccz .LBB233_16
.LBB233_14:                             ; =>This Inner Loop Header: Depth=1
	v_add_co_u32 v10, s2, v9, s6
	s_delay_alu instid0(VALU_DEP_1) | instskip(SKIP_1) | instid1(VALU_DEP_1)
	v_add_co_ci_u32_e64 v11, null, 0, s7, s2
	s_mov_b32 s2, exec_lo
	v_cmpx_gt_i64_e64 s[0:1], v[10:11]
	s_cbranch_execz .LBB233_13
; %bb.15:                               ;   in Loop: Header=BB233_14 Depth=1
	global_load_b64 v[10:11], v[5:6], off
	s_waitcnt vmcnt(0)
	v_sub_co_u32 v12, vcc_lo, v10, s10
	v_subrev_co_ci_u32_e32 v14, vcc_lo, 0, v11, vcc_lo
	s_delay_alu instid0(VALU_DEP_2) | instskip(NEXT) | instid1(VALU_DEP_1)
	v_mad_u64_u32 v[10:11], null, v12, 26, v[1:2]
	v_mad_u64_u32 v[12:13], null, v14, 26, v[11:12]
	s_delay_alu instid0(VALU_DEP_1)
	v_mov_b32_e32 v11, v12
	global_load_i8 v12, v[3:4], off
	global_load_i8 v10, v[10:11], off
	v_add_co_u32 v3, vcc_lo, 0x2a4, v3
	v_add_co_ci_u32_e32 v4, vcc_lo, 0, v4, vcc_lo
	s_waitcnt vmcnt(0)
	v_mad_i32_i24 v7, v10, v12, v7
	s_branch .LBB233_13
.LBB233_16:
	s_set_inst_prefetch_distance 0x2
	v_lshlrev_b32_e32 v1, 2, v0
	s_and_b32 vcc_lo, exec_lo, s14
	ds_store_b32 v1, v7
	s_waitcnt lgkmcnt(0)
	s_barrier
	buffer_gl0_inv
	s_cbranch_vccz .LBB233_28
; %bb.17:
	s_mov_b32 s0, exec_lo
	v_cmpx_gt_u16_e32 10, v8
	s_cbranch_execz .LBB233_19
; %bb.18:
	ds_load_2addr_b32 v[2:3], v1 offset1:16
	s_waitcnt lgkmcnt(0)
	v_add_nc_u32_e32 v2, v2, v3
	ds_store_b32 v1, v2
.LBB233_19:
	s_or_b32 exec_lo, exec_lo, s0
	s_delay_alu instid0(SALU_CYCLE_1)
	s_mov_b32 s0, exec_lo
	s_waitcnt lgkmcnt(0)
	s_barrier
	buffer_gl0_inv
	v_cmpx_gt_u16_e32 8, v8
	s_cbranch_execz .LBB233_21
; %bb.20:
	ds_load_2addr_b32 v[2:3], v1 offset1:8
	s_waitcnt lgkmcnt(0)
	v_add_nc_u32_e32 v2, v2, v3
	ds_store_b32 v1, v2
.LBB233_21:
	s_or_b32 exec_lo, exec_lo, s0
	s_delay_alu instid0(SALU_CYCLE_1)
	s_mov_b32 s0, exec_lo
	s_waitcnt lgkmcnt(0)
	s_barrier
	buffer_gl0_inv
	;; [unrolled: 14-line block ×3, first 2 shown]
	v_cmpx_gt_u16_e32 2, v8
	s_cbranch_execz .LBB233_25
; %bb.24:
	ds_load_2addr_b32 v[2:3], v1 offset1:2
	s_waitcnt lgkmcnt(0)
	v_add_nc_u32_e32 v2, v2, v3
	ds_store_b32 v1, v2
.LBB233_25:
	s_or_b32 exec_lo, exec_lo, s0
	s_mov_b32 s1, 0
	s_mov_b32 s0, 0
	s_mov_b32 s2, exec_lo
	s_waitcnt lgkmcnt(0)
	s_barrier
	buffer_gl0_inv
                                        ; implicit-def: $vgpr2
                                        ; implicit-def: $vgpr3
	v_cmpx_gt_u32_e32 26, v0
	s_xor_b32 s2, exec_lo, s2
; %bb.26:
	v_mul_u32_u24_e32 v3, 26, v0
	s_mov_b32 s0, exec_lo
	s_delay_alu instid0(VALU_DEP_1)
	v_or_b32_e32 v2, 1, v3
	v_lshlrev_b32_e32 v3, 2, v3
; %bb.27:
	s_or_b32 exec_lo, exec_lo, s2
	s_delay_alu instid0(SALU_CYCLE_1)
	s_and_b32 vcc_lo, exec_lo, s1
	s_cbranch_vccnz .LBB233_29
	s_branch .LBB233_40
.LBB233_28:
	s_mov_b32 s0, 0
                                        ; implicit-def: $vgpr2
                                        ; implicit-def: $vgpr3
	s_cbranch_execz .LBB233_40
.LBB233_29:
	s_mov_b32 s1, exec_lo
	v_cmpx_gt_u32_e32 0x104, v0
	s_cbranch_execz .LBB233_31
; %bb.30:
	ds_load_b32 v2, v1 offset:1664
	ds_load_b32 v3, v1
	s_waitcnt lgkmcnt(0)
	v_add_nc_u32_e32 v2, v3, v2
	ds_store_b32 v1, v2
.LBB233_31:
	s_or_b32 exec_lo, exec_lo, s1
	s_delay_alu instid0(SALU_CYCLE_1)
	s_mov_b32 s1, exec_lo
	s_waitcnt lgkmcnt(0)
	s_barrier
	buffer_gl0_inv
	v_cmpx_gt_u32_e32 0xd0, v0
	s_cbranch_execz .LBB233_33
; %bb.32:
	ds_load_2addr_b32 v[2:3], v1 offset1:208
	s_waitcnt lgkmcnt(0)
	v_add_nc_u32_e32 v2, v2, v3
	ds_store_b32 v1, v2
.LBB233_33:
	s_or_b32 exec_lo, exec_lo, s1
	s_delay_alu instid0(SALU_CYCLE_1)
	s_mov_b32 s1, exec_lo
	s_waitcnt lgkmcnt(0)
	s_barrier
	buffer_gl0_inv
	v_cmpx_gt_u32_e32 0x68, v0
	s_cbranch_execz .LBB233_35
; %bb.34:
	ds_load_2addr_b32 v[2:3], v1 offset1:104
	s_waitcnt lgkmcnt(0)
	v_add_nc_u32_e32 v2, v2, v3
	ds_store_b32 v1, v2
.LBB233_35:
	;; [unrolled: 14-line block ×3, first 2 shown]
	s_or_b32 exec_lo, exec_lo, s1
	s_delay_alu instid0(SALU_CYCLE_1)
	s_mov_b32 s1, exec_lo
	s_waitcnt lgkmcnt(0)
	buffer_gl0_inv
                                        ; implicit-def: $vgpr2
	v_cmpx_gt_u32_e32 26, v0
; %bb.38:
	v_add_nc_u32_e32 v2, 26, v0
	s_or_b32 s0, s0, exec_lo
                                        ; implicit-def: $vgpr7
; %bb.39:
	s_or_b32 exec_lo, exec_lo, s1
	v_mov_b32_e32 v3, v1
.LBB233_40:
	s_and_saveexec_b32 s1, s0
	s_cbranch_execz .LBB233_42
; %bb.41:
	v_lshlrev_b32_e32 v1, 2, v2
	ds_load_b32 v2, v3
	ds_load_b32 v1, v1
	s_waitcnt lgkmcnt(0)
	v_add_nc_u32_e32 v7, v1, v2
.LBB233_42:
	s_or_b32 exec_lo, exec_lo, s1
	s_delay_alu instid0(SALU_CYCLE_1)
	s_mov_b32 s0, exec_lo
	v_cmpx_gt_u32_e32 26, v0
	s_cbranch_execz .LBB233_46
; %bb.43:
	v_mul_lo_u32 v1, v7, s11
	s_mov_b32 s6, 0
	s_cmp_eq_u32 s3, 0
	s_mul_i32 s0, s9, 0x68
	s_mul_hi_u32 s1, s8, 0x68
	s_mul_i32 s2, s8, 0x68
	s_cbranch_scc1 .LBB233_47
; %bb.44:
	v_lshlrev_b32_e32 v4, 2, v0
	s_add_i32 s7, s1, s0
	s_add_u32 s8, s4, s2
	s_addc_u32 s9, s5, s7
	global_load_b32 v5, v4, s[8:9]
	s_waitcnt vmcnt(0)
	v_mad_u64_u32 v[2:3], null, v5, s3, v[1:2]
	global_store_b32 v4, v2, s[8:9]
	s_and_not1_b32 vcc_lo, exec_lo, s6
	s_cbranch_vccnz .LBB233_46
.LBB233_45:
	v_lshlrev_b32_e32 v0, 2, v0
	s_add_i32 s1, s1, s0
	s_add_u32 s0, s4, s2
	s_addc_u32 s1, s5, s1
	global_store_b32 v0, v1, s[0:1]
.LBB233_46:
	s_nop 0
	s_sendmsg sendmsg(MSG_DEALLOC_VGPRS)
	s_endpgm
.LBB233_47:
	s_branch .LBB233_45
	.section	.rodata,"a",@progbits
	.p2align	6, 0x0
	.amdhsa_kernel _ZN9rocsparseL20bsrxmvn_17_32_kernelILj26EillaaiEEvT2_20rocsparse_direction_NS_24const_host_device_scalarIT0_EES1_PKS1_PKT1_SA_S7_PKT3_PKT4_S5_PT5_21rocsparse_index_base_b
		.amdhsa_group_segment_fixed_size 2704
		.amdhsa_private_segment_fixed_size 0
		.amdhsa_kernarg_size 104
		.amdhsa_user_sgpr_count 15
		.amdhsa_user_sgpr_dispatch_ptr 0
		.amdhsa_user_sgpr_queue_ptr 0
		.amdhsa_user_sgpr_kernarg_segment_ptr 1
		.amdhsa_user_sgpr_dispatch_id 0
		.amdhsa_user_sgpr_private_segment_size 0
		.amdhsa_wavefront_size32 1
		.amdhsa_uses_dynamic_stack 0
		.amdhsa_enable_private_segment 0
		.amdhsa_system_sgpr_workgroup_id_x 1
		.amdhsa_system_sgpr_workgroup_id_y 0
		.amdhsa_system_sgpr_workgroup_id_z 0
		.amdhsa_system_sgpr_workgroup_info 0
		.amdhsa_system_vgpr_workitem_id 0
		.amdhsa_next_free_vgpr 15
		.amdhsa_next_free_sgpr 22
		.amdhsa_reserve_vcc 1
		.amdhsa_float_round_mode_32 0
		.amdhsa_float_round_mode_16_64 0
		.amdhsa_float_denorm_mode_32 3
		.amdhsa_float_denorm_mode_16_64 3
		.amdhsa_dx10_clamp 1
		.amdhsa_ieee_mode 1
		.amdhsa_fp16_overflow 0
		.amdhsa_workgroup_processor_mode 1
		.amdhsa_memory_ordered 1
		.amdhsa_forward_progress 0
		.amdhsa_shared_vgpr_count 0
		.amdhsa_exception_fp_ieee_invalid_op 0
		.amdhsa_exception_fp_denorm_src 0
		.amdhsa_exception_fp_ieee_div_zero 0
		.amdhsa_exception_fp_ieee_overflow 0
		.amdhsa_exception_fp_ieee_underflow 0
		.amdhsa_exception_fp_ieee_inexact 0
		.amdhsa_exception_int_div_zero 0
	.end_amdhsa_kernel
	.section	.text._ZN9rocsparseL20bsrxmvn_17_32_kernelILj26EillaaiEEvT2_20rocsparse_direction_NS_24const_host_device_scalarIT0_EES1_PKS1_PKT1_SA_S7_PKT3_PKT4_S5_PT5_21rocsparse_index_base_b,"axG",@progbits,_ZN9rocsparseL20bsrxmvn_17_32_kernelILj26EillaaiEEvT2_20rocsparse_direction_NS_24const_host_device_scalarIT0_EES1_PKS1_PKT1_SA_S7_PKT3_PKT4_S5_PT5_21rocsparse_index_base_b,comdat
.Lfunc_end233:
	.size	_ZN9rocsparseL20bsrxmvn_17_32_kernelILj26EillaaiEEvT2_20rocsparse_direction_NS_24const_host_device_scalarIT0_EES1_PKS1_PKT1_SA_S7_PKT3_PKT4_S5_PT5_21rocsparse_index_base_b, .Lfunc_end233-_ZN9rocsparseL20bsrxmvn_17_32_kernelILj26EillaaiEEvT2_20rocsparse_direction_NS_24const_host_device_scalarIT0_EES1_PKS1_PKT1_SA_S7_PKT3_PKT4_S5_PT5_21rocsparse_index_base_b
                                        ; -- End function
	.section	.AMDGPU.csdata,"",@progbits
; Kernel info:
; codeLenInByte = 1648
; NumSgprs: 24
; NumVgprs: 15
; ScratchSize: 0
; MemoryBound: 0
; FloatMode: 240
; IeeeMode: 1
; LDSByteSize: 2704 bytes/workgroup (compile time only)
; SGPRBlocks: 2
; VGPRBlocks: 1
; NumSGPRsForWavesPerEU: 24
; NumVGPRsForWavesPerEU: 15
; Occupancy: 11
; WaveLimiterHint : 1
; COMPUTE_PGM_RSRC2:SCRATCH_EN: 0
; COMPUTE_PGM_RSRC2:USER_SGPR: 15
; COMPUTE_PGM_RSRC2:TRAP_HANDLER: 0
; COMPUTE_PGM_RSRC2:TGID_X_EN: 1
; COMPUTE_PGM_RSRC2:TGID_Y_EN: 0
; COMPUTE_PGM_RSRC2:TGID_Z_EN: 0
; COMPUTE_PGM_RSRC2:TIDIG_COMP_CNT: 0
	.section	.text._ZN9rocsparseL20bsrxmvn_17_32_kernelILj27EillaaiEEvT2_20rocsparse_direction_NS_24const_host_device_scalarIT0_EES1_PKS1_PKT1_SA_S7_PKT3_PKT4_S5_PT5_21rocsparse_index_base_b,"axG",@progbits,_ZN9rocsparseL20bsrxmvn_17_32_kernelILj27EillaaiEEvT2_20rocsparse_direction_NS_24const_host_device_scalarIT0_EES1_PKS1_PKT1_SA_S7_PKT3_PKT4_S5_PT5_21rocsparse_index_base_b,comdat
	.globl	_ZN9rocsparseL20bsrxmvn_17_32_kernelILj27EillaaiEEvT2_20rocsparse_direction_NS_24const_host_device_scalarIT0_EES1_PKS1_PKT1_SA_S7_PKT3_PKT4_S5_PT5_21rocsparse_index_base_b ; -- Begin function _ZN9rocsparseL20bsrxmvn_17_32_kernelILj27EillaaiEEvT2_20rocsparse_direction_NS_24const_host_device_scalarIT0_EES1_PKS1_PKT1_SA_S7_PKT3_PKT4_S5_PT5_21rocsparse_index_base_b
	.p2align	8
	.type	_ZN9rocsparseL20bsrxmvn_17_32_kernelILj27EillaaiEEvT2_20rocsparse_direction_NS_24const_host_device_scalarIT0_EES1_PKS1_PKT1_SA_S7_PKT3_PKT4_S5_PT5_21rocsparse_index_base_b,@function
_ZN9rocsparseL20bsrxmvn_17_32_kernelILj27EillaaiEEvT2_20rocsparse_direction_NS_24const_host_device_scalarIT0_EES1_PKS1_PKT1_SA_S7_PKT3_PKT4_S5_PT5_21rocsparse_index_base_b: ; @_ZN9rocsparseL20bsrxmvn_17_32_kernelILj27EillaaiEEvT2_20rocsparse_direction_NS_24const_host_device_scalarIT0_EES1_PKS1_PKT1_SA_S7_PKT3_PKT4_S5_PT5_21rocsparse_index_base_b
; %bb.0:
	s_clause 0x1
	s_load_b64 s[10:11], s[0:1], 0x60
	s_load_b64 s[4:5], s[0:1], 0x10
	s_mov_b32 s8, s15
	s_mov_b32 s7, -1
	s_waitcnt lgkmcnt(0)
	s_bitcmp1_b32 s11, 0
                                        ; implicit-def: $sgpr11
	s_cselect_b32 s2, -1, 0
	s_delay_alu instid0(SALU_CYCLE_1) | instskip(NEXT) | instid1(SALU_CYCLE_1)
	s_xor_b32 s6, s2, -1
	s_and_b32 vcc_lo, exec_lo, s6
	s_cbranch_vccnz .LBB234_4
; %bb.1:
	s_load_b64 s[2:3], s[0:1], 0x50
	s_and_not1_b32 vcc_lo, exec_lo, s7
	s_cbranch_vccz .LBB234_5
.LBB234_2:
	s_and_b32 vcc_lo, exec_lo, s6
	s_cbranch_vccz .LBB234_6
.LBB234_3:
	s_waitcnt lgkmcnt(0)
	s_load_b32 s3, s[2:3], 0x0
	s_cbranch_execz .LBB234_7
	s_branch .LBB234_8
.LBB234_4:
	s_load_b32 s11, s[4:5], 0x0
	s_load_b64 s[2:3], s[0:1], 0x50
	s_cbranch_execnz .LBB234_2
.LBB234_5:
	s_waitcnt lgkmcnt(0)
	s_mov_b32 s11, s4
	s_and_b32 vcc_lo, exec_lo, s6
	s_cbranch_vccnz .LBB234_3
.LBB234_6:
                                        ; implicit-def: $sgpr3
.LBB234_7:
	s_waitcnt lgkmcnt(0)
	s_mov_b32 s3, s2
.LBB234_8:
	s_waitcnt lgkmcnt(0)
	s_cmp_lg_u32 s11, 0
	s_mov_b32 s9, 0
	s_cselect_b32 s2, -1, 0
	s_cmp_lg_u32 s3, 1
	s_cselect_b32 s4, -1, 0
	s_delay_alu instid0(SALU_CYCLE_1) | instskip(NEXT) | instid1(SALU_CYCLE_1)
	s_or_b32 s2, s2, s4
	s_and_not1_b32 vcc_lo, exec_lo, s2
	s_cbranch_vccnz .LBB234_46
; %bb.9:
	s_clause 0x1
	s_load_b128 s[4:7], s[0:1], 0x20
	s_load_b64 s[12:13], s[0:1], 0x30
	s_waitcnt lgkmcnt(0)
	s_cmp_eq_u64 s[4:5], 0
	s_cbranch_scc1 .LBB234_11
; %bb.10:
	s_lshl_b64 s[8:9], s[8:9], 3
	s_delay_alu instid0(SALU_CYCLE_1)
	s_add_u32 s4, s4, s8
	s_addc_u32 s5, s5, s9
	s_load_b64 s[4:5], s[4:5], 0x0
	s_waitcnt lgkmcnt(0)
	s_sub_u32 s8, s4, s10
	s_subb_u32 s9, s5, 0
.LBB234_11:
	s_load_b32 s4, s[0:1], 0x8
	v_mul_u32_u24_e32 v1, 0x97c, v0
	v_mov_b32_e32 v7, 0
	s_delay_alu instid0(VALU_DEP_2) | instskip(NEXT) | instid1(VALU_DEP_1)
	v_lshrrev_b32_e32 v1, 16, v1
	v_mul_lo_u16 v2, v1, 27
	s_delay_alu instid0(VALU_DEP_1)
	v_sub_nc_u16 v8, v0, v2
	s_waitcnt lgkmcnt(0)
	s_cmp_eq_u32 s4, 1
	s_cselect_b32 s2, -1, 0
	s_cmp_lg_u32 s4, 1
	s_cselect_b32 s14, -1, 0
	s_lshl_b64 s[4:5], s[8:9], 3
	s_delay_alu instid0(SALU_CYCLE_1)
	s_add_u32 s6, s6, s4
	s_addc_u32 s7, s7, s5
	s_add_u32 s15, s6, 8
	s_addc_u32 s16, s7, 0
	;; [unrolled: 2-line block ×3, first 2 shown]
	s_cmp_eq_u64 s[12:13], 0
	s_cselect_b32 s5, s16, s5
	s_cselect_b32 s4, s15, s4
	s_load_b64 s[12:13], s[6:7], 0x0
	s_load_b64 s[6:7], s[4:5], 0x0
	;; [unrolled: 1-line block ×3, first 2 shown]
	s_waitcnt lgkmcnt(0)
	v_cmp_ge_i64_e64 s15, s[12:13], s[6:7]
	s_delay_alu instid0(VALU_DEP_1)
	s_and_b32 vcc_lo, exec_lo, s15
	s_cbranch_vccnz .LBB234_16
; %bb.12:
	v_and_b32_e32 v1, 0xffff, v1
	v_cmp_gt_u32_e32 vcc_lo, 0x2d9, v0
	v_and_b32_e32 v3, 0xffff, v8
	s_clause 0x1
	s_load_b64 s[20:21], s[0:1], 0x48
	s_load_b128 s[16:19], s[0:1], 0x38
	v_subrev_nc_u32_e32 v2, 27, v1
	s_sub_u32 s0, s6, s10
	s_subb_u32 s1, s7, 0
	s_sub_u32 s6, s12, s10
	s_subb_u32 s7, s13, 0
	v_cndmask_b32_e32 v1, v2, v1, vcc_lo
	v_cmp_lt_u32_e32 vcc_lo, 0x2d8, v0
	v_mov_b32_e32 v7, 0
	s_delay_alu instid0(VALU_DEP_3) | instskip(SKIP_2) | instid1(VALU_DEP_1)
	v_cndmask_b32_e64 v1, v3, v1, s2
	v_cndmask_b32_e64 v9, 0, 1, vcc_lo
	s_mul_i32 s2, s7, 0x2d9
	v_add_co_u32 v3, s12, s12, v9
	s_delay_alu instid0(VALU_DEP_1) | instskip(SKIP_1) | instid1(VALU_DEP_2)
	v_add_co_ci_u32_e64 v4, null, s13, 0, s12
	s_mul_hi_u32 s12, s6, 0x2d9
	v_sub_co_u32 v3, vcc_lo, v3, s10
	s_delay_alu instid0(VALU_DEP_2)
	v_subrev_co_ci_u32_e32 v4, vcc_lo, 0, v4, vcc_lo
	s_mul_i32 s13, s6, 0x2d9
	s_add_i32 s12, s12, s2
	s_waitcnt lgkmcnt(0)
	s_add_u32 s2, s18, s13
	v_lshlrev_b64 v[5:6], 3, v[3:4]
	v_add_co_u32 v1, s15, s20, v1
	s_addc_u32 s12, s19, s12
	v_add_co_u32 v3, s2, s2, v0
	s_delay_alu instid0(VALU_DEP_3)
	v_add_co_u32 v5, vcc_lo, s16, v5
	v_add_co_ci_u32_e64 v2, null, s21, 0, s15
	v_add_co_ci_u32_e64 v4, null, s12, 0, s2
	v_add_co_ci_u32_e32 v6, vcc_lo, s17, v6, vcc_lo
	s_set_inst_prefetch_distance 0x1
	s_branch .LBB234_14
	.p2align	6
.LBB234_13:                             ;   in Loop: Header=BB234_14 Depth=1
	s_or_b32 exec_lo, exec_lo, s2
	s_add_u32 s6, s6, 1
	s_addc_u32 s7, s7, 0
	v_add_co_u32 v5, vcc_lo, v5, 8
	v_cmp_lt_i64_e64 s2, s[6:7], s[0:1]
	v_add_co_ci_u32_e32 v6, vcc_lo, 0, v6, vcc_lo
	s_delay_alu instid0(VALU_DEP_2)
	s_and_b32 vcc_lo, exec_lo, s2
	s_cbranch_vccz .LBB234_16
.LBB234_14:                             ; =>This Inner Loop Header: Depth=1
	v_add_co_u32 v10, s2, v9, s6
	s_delay_alu instid0(VALU_DEP_1) | instskip(SKIP_1) | instid1(VALU_DEP_1)
	v_add_co_ci_u32_e64 v11, null, 0, s7, s2
	s_mov_b32 s2, exec_lo
	v_cmpx_gt_i64_e64 s[0:1], v[10:11]
	s_cbranch_execz .LBB234_13
; %bb.15:                               ;   in Loop: Header=BB234_14 Depth=1
	global_load_b64 v[10:11], v[5:6], off
	s_waitcnt vmcnt(0)
	v_sub_co_u32 v12, vcc_lo, v10, s10
	v_subrev_co_ci_u32_e32 v14, vcc_lo, 0, v11, vcc_lo
	s_delay_alu instid0(VALU_DEP_2) | instskip(NEXT) | instid1(VALU_DEP_1)
	v_mad_u64_u32 v[10:11], null, v12, 27, v[1:2]
	v_mad_u64_u32 v[12:13], null, v14, 27, v[11:12]
	s_delay_alu instid0(VALU_DEP_1)
	v_mov_b32_e32 v11, v12
	global_load_i8 v12, v[3:4], off
	global_load_i8 v10, v[10:11], off
	v_add_co_u32 v3, vcc_lo, 0x2d9, v3
	v_add_co_ci_u32_e32 v4, vcc_lo, 0, v4, vcc_lo
	s_waitcnt vmcnt(0)
	v_mad_i32_i24 v7, v10, v12, v7
	s_branch .LBB234_13
.LBB234_16:
	s_set_inst_prefetch_distance 0x2
	v_lshlrev_b32_e32 v1, 2, v0
	s_and_b32 vcc_lo, exec_lo, s14
	ds_store_b32 v1, v7
	s_waitcnt lgkmcnt(0)
	s_barrier
	buffer_gl0_inv
	s_cbranch_vccz .LBB234_28
; %bb.17:
	s_mov_b32 s0, exec_lo
	v_cmpx_gt_u16_e32 11, v8
	s_cbranch_execz .LBB234_19
; %bb.18:
	ds_load_2addr_b32 v[2:3], v1 offset1:16
	s_waitcnt lgkmcnt(0)
	v_add_nc_u32_e32 v2, v2, v3
	ds_store_b32 v1, v2
.LBB234_19:
	s_or_b32 exec_lo, exec_lo, s0
	s_delay_alu instid0(SALU_CYCLE_1)
	s_mov_b32 s0, exec_lo
	s_waitcnt lgkmcnt(0)
	s_barrier
	buffer_gl0_inv
	v_cmpx_gt_u16_e32 8, v8
	s_cbranch_execz .LBB234_21
; %bb.20:
	ds_load_2addr_b32 v[2:3], v1 offset1:8
	s_waitcnt lgkmcnt(0)
	v_add_nc_u32_e32 v2, v2, v3
	ds_store_b32 v1, v2
.LBB234_21:
	s_or_b32 exec_lo, exec_lo, s0
	s_delay_alu instid0(SALU_CYCLE_1)
	s_mov_b32 s0, exec_lo
	s_waitcnt lgkmcnt(0)
	s_barrier
	buffer_gl0_inv
	;; [unrolled: 14-line block ×3, first 2 shown]
	v_cmpx_gt_u16_e32 2, v8
	s_cbranch_execz .LBB234_25
; %bb.24:
	ds_load_2addr_b32 v[2:3], v1 offset1:2
	s_waitcnt lgkmcnt(0)
	v_add_nc_u32_e32 v2, v2, v3
	ds_store_b32 v1, v2
.LBB234_25:
	s_or_b32 exec_lo, exec_lo, s0
	s_mov_b32 s1, 0
	s_mov_b32 s0, 0
	s_mov_b32 s2, exec_lo
	s_waitcnt lgkmcnt(0)
	s_barrier
	buffer_gl0_inv
                                        ; implicit-def: $vgpr2
                                        ; implicit-def: $vgpr3
	v_cmpx_gt_u32_e32 27, v0
	s_xor_b32 s2, exec_lo, s2
; %bb.26:
	v_mul_u32_u24_e32 v3, 27, v0
	v_mad_u32_u24 v2, v0, 27, 1
	s_mov_b32 s0, exec_lo
	s_delay_alu instid0(VALU_DEP_2)
	v_lshlrev_b32_e32 v3, 2, v3
; %bb.27:
	s_or_b32 exec_lo, exec_lo, s2
	s_delay_alu instid0(SALU_CYCLE_1)
	s_and_b32 vcc_lo, exec_lo, s1
	s_cbranch_vccnz .LBB234_29
	s_branch .LBB234_40
.LBB234_28:
	s_mov_b32 s0, 0
                                        ; implicit-def: $vgpr2
                                        ; implicit-def: $vgpr3
	s_cbranch_execz .LBB234_40
.LBB234_29:
	s_mov_b32 s1, exec_lo
	v_cmpx_gt_u32_e32 0x129, v0
	s_cbranch_execz .LBB234_31
; %bb.30:
	ds_load_b32 v2, v1 offset:1728
	ds_load_b32 v3, v1
	s_waitcnt lgkmcnt(0)
	v_add_nc_u32_e32 v2, v3, v2
	ds_store_b32 v1, v2
.LBB234_31:
	s_or_b32 exec_lo, exec_lo, s1
	s_delay_alu instid0(SALU_CYCLE_1)
	s_mov_b32 s1, exec_lo
	s_waitcnt lgkmcnt(0)
	s_barrier
	buffer_gl0_inv
	v_cmpx_gt_u32_e32 0xd8, v0
	s_cbranch_execz .LBB234_33
; %bb.32:
	ds_load_2addr_b32 v[2:3], v1 offset1:216
	s_waitcnt lgkmcnt(0)
	v_add_nc_u32_e32 v2, v2, v3
	ds_store_b32 v1, v2
.LBB234_33:
	s_or_b32 exec_lo, exec_lo, s1
	s_delay_alu instid0(SALU_CYCLE_1)
	s_mov_b32 s1, exec_lo
	s_waitcnt lgkmcnt(0)
	s_barrier
	buffer_gl0_inv
	v_cmpx_gt_u32_e32 0x6c, v0
	s_cbranch_execz .LBB234_35
; %bb.34:
	ds_load_2addr_b32 v[2:3], v1 offset1:108
	s_waitcnt lgkmcnt(0)
	v_add_nc_u32_e32 v2, v2, v3
	ds_store_b32 v1, v2
.LBB234_35:
	;; [unrolled: 14-line block ×3, first 2 shown]
	s_or_b32 exec_lo, exec_lo, s1
	s_delay_alu instid0(SALU_CYCLE_1)
	s_mov_b32 s1, exec_lo
	s_waitcnt lgkmcnt(0)
	buffer_gl0_inv
                                        ; implicit-def: $vgpr2
	v_cmpx_gt_u32_e32 27, v0
; %bb.38:
	v_add_nc_u32_e32 v2, 27, v0
	s_or_b32 s0, s0, exec_lo
                                        ; implicit-def: $vgpr7
; %bb.39:
	s_or_b32 exec_lo, exec_lo, s1
	v_mov_b32_e32 v3, v1
.LBB234_40:
	s_and_saveexec_b32 s1, s0
	s_cbranch_execz .LBB234_42
; %bb.41:
	v_lshlrev_b32_e32 v1, 2, v2
	ds_load_b32 v2, v3
	ds_load_b32 v1, v1
	s_waitcnt lgkmcnt(0)
	v_add_nc_u32_e32 v7, v1, v2
.LBB234_42:
	s_or_b32 exec_lo, exec_lo, s1
	s_delay_alu instid0(SALU_CYCLE_1)
	s_mov_b32 s0, exec_lo
	v_cmpx_gt_u32_e32 27, v0
	s_cbranch_execz .LBB234_46
; %bb.43:
	v_mul_lo_u32 v1, v7, s11
	s_mov_b32 s6, 0
	s_cmp_eq_u32 s3, 0
	s_mul_i32 s0, s9, 0x6c
	s_mul_hi_u32 s1, s8, 0x6c
	s_mul_i32 s2, s8, 0x6c
	s_cbranch_scc1 .LBB234_47
; %bb.44:
	v_lshlrev_b32_e32 v4, 2, v0
	s_add_i32 s7, s1, s0
	s_add_u32 s8, s4, s2
	s_addc_u32 s9, s5, s7
	global_load_b32 v5, v4, s[8:9]
	s_waitcnt vmcnt(0)
	v_mad_u64_u32 v[2:3], null, v5, s3, v[1:2]
	global_store_b32 v4, v2, s[8:9]
	s_and_not1_b32 vcc_lo, exec_lo, s6
	s_cbranch_vccnz .LBB234_46
.LBB234_45:
	v_lshlrev_b32_e32 v0, 2, v0
	s_add_i32 s1, s1, s0
	s_add_u32 s0, s4, s2
	s_addc_u32 s1, s5, s1
	global_store_b32 v0, v1, s[0:1]
.LBB234_46:
	s_nop 0
	s_sendmsg sendmsg(MSG_DEALLOC_VGPRS)
	s_endpgm
.LBB234_47:
	s_branch .LBB234_45
	.section	.rodata,"a",@progbits
	.p2align	6, 0x0
	.amdhsa_kernel _ZN9rocsparseL20bsrxmvn_17_32_kernelILj27EillaaiEEvT2_20rocsparse_direction_NS_24const_host_device_scalarIT0_EES1_PKS1_PKT1_SA_S7_PKT3_PKT4_S5_PT5_21rocsparse_index_base_b
		.amdhsa_group_segment_fixed_size 2916
		.amdhsa_private_segment_fixed_size 0
		.amdhsa_kernarg_size 104
		.amdhsa_user_sgpr_count 15
		.amdhsa_user_sgpr_dispatch_ptr 0
		.amdhsa_user_sgpr_queue_ptr 0
		.amdhsa_user_sgpr_kernarg_segment_ptr 1
		.amdhsa_user_sgpr_dispatch_id 0
		.amdhsa_user_sgpr_private_segment_size 0
		.amdhsa_wavefront_size32 1
		.amdhsa_uses_dynamic_stack 0
		.amdhsa_enable_private_segment 0
		.amdhsa_system_sgpr_workgroup_id_x 1
		.amdhsa_system_sgpr_workgroup_id_y 0
		.amdhsa_system_sgpr_workgroup_id_z 0
		.amdhsa_system_sgpr_workgroup_info 0
		.amdhsa_system_vgpr_workitem_id 0
		.amdhsa_next_free_vgpr 15
		.amdhsa_next_free_sgpr 22
		.amdhsa_reserve_vcc 1
		.amdhsa_float_round_mode_32 0
		.amdhsa_float_round_mode_16_64 0
		.amdhsa_float_denorm_mode_32 3
		.amdhsa_float_denorm_mode_16_64 3
		.amdhsa_dx10_clamp 1
		.amdhsa_ieee_mode 1
		.amdhsa_fp16_overflow 0
		.amdhsa_workgroup_processor_mode 1
		.amdhsa_memory_ordered 1
		.amdhsa_forward_progress 0
		.amdhsa_shared_vgpr_count 0
		.amdhsa_exception_fp_ieee_invalid_op 0
		.amdhsa_exception_fp_denorm_src 0
		.amdhsa_exception_fp_ieee_div_zero 0
		.amdhsa_exception_fp_ieee_overflow 0
		.amdhsa_exception_fp_ieee_underflow 0
		.amdhsa_exception_fp_ieee_inexact 0
		.amdhsa_exception_int_div_zero 0
	.end_amdhsa_kernel
	.section	.text._ZN9rocsparseL20bsrxmvn_17_32_kernelILj27EillaaiEEvT2_20rocsparse_direction_NS_24const_host_device_scalarIT0_EES1_PKS1_PKT1_SA_S7_PKT3_PKT4_S5_PT5_21rocsparse_index_base_b,"axG",@progbits,_ZN9rocsparseL20bsrxmvn_17_32_kernelILj27EillaaiEEvT2_20rocsparse_direction_NS_24const_host_device_scalarIT0_EES1_PKS1_PKT1_SA_S7_PKT3_PKT4_S5_PT5_21rocsparse_index_base_b,comdat
.Lfunc_end234:
	.size	_ZN9rocsparseL20bsrxmvn_17_32_kernelILj27EillaaiEEvT2_20rocsparse_direction_NS_24const_host_device_scalarIT0_EES1_PKS1_PKT1_SA_S7_PKT3_PKT4_S5_PT5_21rocsparse_index_base_b, .Lfunc_end234-_ZN9rocsparseL20bsrxmvn_17_32_kernelILj27EillaaiEEvT2_20rocsparse_direction_NS_24const_host_device_scalarIT0_EES1_PKS1_PKT1_SA_S7_PKT3_PKT4_S5_PT5_21rocsparse_index_base_b
                                        ; -- End function
	.section	.AMDGPU.csdata,"",@progbits
; Kernel info:
; codeLenInByte = 1652
; NumSgprs: 24
; NumVgprs: 15
; ScratchSize: 0
; MemoryBound: 0
; FloatMode: 240
; IeeeMode: 1
; LDSByteSize: 2916 bytes/workgroup (compile time only)
; SGPRBlocks: 2
; VGPRBlocks: 1
; NumSGPRsForWavesPerEU: 24
; NumVGPRsForWavesPerEU: 15
; Occupancy: 12
; WaveLimiterHint : 1
; COMPUTE_PGM_RSRC2:SCRATCH_EN: 0
; COMPUTE_PGM_RSRC2:USER_SGPR: 15
; COMPUTE_PGM_RSRC2:TRAP_HANDLER: 0
; COMPUTE_PGM_RSRC2:TGID_X_EN: 1
; COMPUTE_PGM_RSRC2:TGID_Y_EN: 0
; COMPUTE_PGM_RSRC2:TGID_Z_EN: 0
; COMPUTE_PGM_RSRC2:TIDIG_COMP_CNT: 0
	.section	.text._ZN9rocsparseL20bsrxmvn_17_32_kernelILj28EillaaiEEvT2_20rocsparse_direction_NS_24const_host_device_scalarIT0_EES1_PKS1_PKT1_SA_S7_PKT3_PKT4_S5_PT5_21rocsparse_index_base_b,"axG",@progbits,_ZN9rocsparseL20bsrxmvn_17_32_kernelILj28EillaaiEEvT2_20rocsparse_direction_NS_24const_host_device_scalarIT0_EES1_PKS1_PKT1_SA_S7_PKT3_PKT4_S5_PT5_21rocsparse_index_base_b,comdat
	.globl	_ZN9rocsparseL20bsrxmvn_17_32_kernelILj28EillaaiEEvT2_20rocsparse_direction_NS_24const_host_device_scalarIT0_EES1_PKS1_PKT1_SA_S7_PKT3_PKT4_S5_PT5_21rocsparse_index_base_b ; -- Begin function _ZN9rocsparseL20bsrxmvn_17_32_kernelILj28EillaaiEEvT2_20rocsparse_direction_NS_24const_host_device_scalarIT0_EES1_PKS1_PKT1_SA_S7_PKT3_PKT4_S5_PT5_21rocsparse_index_base_b
	.p2align	8
	.type	_ZN9rocsparseL20bsrxmvn_17_32_kernelILj28EillaaiEEvT2_20rocsparse_direction_NS_24const_host_device_scalarIT0_EES1_PKS1_PKT1_SA_S7_PKT3_PKT4_S5_PT5_21rocsparse_index_base_b,@function
_ZN9rocsparseL20bsrxmvn_17_32_kernelILj28EillaaiEEvT2_20rocsparse_direction_NS_24const_host_device_scalarIT0_EES1_PKS1_PKT1_SA_S7_PKT3_PKT4_S5_PT5_21rocsparse_index_base_b: ; @_ZN9rocsparseL20bsrxmvn_17_32_kernelILj28EillaaiEEvT2_20rocsparse_direction_NS_24const_host_device_scalarIT0_EES1_PKS1_PKT1_SA_S7_PKT3_PKT4_S5_PT5_21rocsparse_index_base_b
; %bb.0:
	s_clause 0x1
	s_load_b64 s[10:11], s[0:1], 0x60
	s_load_b64 s[4:5], s[0:1], 0x10
	s_mov_b32 s8, s15
	s_mov_b32 s7, -1
	s_waitcnt lgkmcnt(0)
	s_bitcmp1_b32 s11, 0
                                        ; implicit-def: $sgpr11
	s_cselect_b32 s2, -1, 0
	s_delay_alu instid0(SALU_CYCLE_1) | instskip(NEXT) | instid1(SALU_CYCLE_1)
	s_xor_b32 s6, s2, -1
	s_and_b32 vcc_lo, exec_lo, s6
	s_cbranch_vccnz .LBB235_4
; %bb.1:
	s_load_b64 s[2:3], s[0:1], 0x50
	s_and_not1_b32 vcc_lo, exec_lo, s7
	s_cbranch_vccz .LBB235_5
.LBB235_2:
	s_and_b32 vcc_lo, exec_lo, s6
	s_cbranch_vccz .LBB235_6
.LBB235_3:
	s_waitcnt lgkmcnt(0)
	s_load_b32 s3, s[2:3], 0x0
	s_cbranch_execz .LBB235_7
	s_branch .LBB235_8
.LBB235_4:
	s_load_b32 s11, s[4:5], 0x0
	s_load_b64 s[2:3], s[0:1], 0x50
	s_cbranch_execnz .LBB235_2
.LBB235_5:
	s_waitcnt lgkmcnt(0)
	s_mov_b32 s11, s4
	s_and_b32 vcc_lo, exec_lo, s6
	s_cbranch_vccnz .LBB235_3
.LBB235_6:
                                        ; implicit-def: $sgpr3
.LBB235_7:
	s_waitcnt lgkmcnt(0)
	s_mov_b32 s3, s2
.LBB235_8:
	s_waitcnt lgkmcnt(0)
	s_cmp_lg_u32 s11, 0
	s_mov_b32 s9, 0
	s_cselect_b32 s2, -1, 0
	s_cmp_lg_u32 s3, 1
	s_cselect_b32 s4, -1, 0
	s_delay_alu instid0(SALU_CYCLE_1) | instskip(NEXT) | instid1(SALU_CYCLE_1)
	s_or_b32 s2, s2, s4
	s_and_not1_b32 vcc_lo, exec_lo, s2
	s_cbranch_vccnz .LBB235_46
; %bb.9:
	s_clause 0x1
	s_load_b128 s[4:7], s[0:1], 0x20
	s_load_b64 s[12:13], s[0:1], 0x30
	s_waitcnt lgkmcnt(0)
	s_cmp_eq_u64 s[4:5], 0
	s_cbranch_scc1 .LBB235_11
; %bb.10:
	s_lshl_b64 s[8:9], s[8:9], 3
	s_delay_alu instid0(SALU_CYCLE_1)
	s_add_u32 s4, s4, s8
	s_addc_u32 s5, s5, s9
	s_load_b64 s[4:5], s[4:5], 0x0
	s_waitcnt lgkmcnt(0)
	s_sub_u32 s8, s4, s10
	s_subb_u32 s9, s5, 0
.LBB235_11:
	s_load_b32 s4, s[0:1], 0x8
	v_mul_u32_u24_e32 v1, 0x925, v0
	v_mov_b32_e32 v7, 0
	s_delay_alu instid0(VALU_DEP_2) | instskip(NEXT) | instid1(VALU_DEP_1)
	v_lshrrev_b32_e32 v1, 16, v1
	v_mul_lo_u16 v2, v1, 28
	s_delay_alu instid0(VALU_DEP_1)
	v_sub_nc_u16 v8, v0, v2
	s_waitcnt lgkmcnt(0)
	s_cmp_eq_u32 s4, 1
	s_cselect_b32 s2, -1, 0
	s_cmp_lg_u32 s4, 1
	s_cselect_b32 s14, -1, 0
	s_lshl_b64 s[4:5], s[8:9], 3
	s_delay_alu instid0(SALU_CYCLE_1)
	s_add_u32 s6, s6, s4
	s_addc_u32 s7, s7, s5
	s_add_u32 s15, s6, 8
	s_addc_u32 s16, s7, 0
	;; [unrolled: 2-line block ×3, first 2 shown]
	s_cmp_eq_u64 s[12:13], 0
	s_cselect_b32 s5, s16, s5
	s_cselect_b32 s4, s15, s4
	s_load_b64 s[12:13], s[6:7], 0x0
	s_load_b64 s[6:7], s[4:5], 0x0
	;; [unrolled: 1-line block ×3, first 2 shown]
	s_waitcnt lgkmcnt(0)
	v_cmp_ge_i64_e64 s15, s[12:13], s[6:7]
	s_delay_alu instid0(VALU_DEP_1)
	s_and_b32 vcc_lo, exec_lo, s15
	s_cbranch_vccnz .LBB235_16
; %bb.12:
	v_and_b32_e32 v1, 0xffff, v1
	v_cmp_gt_u32_e32 vcc_lo, 0x310, v0
	v_and_b32_e32 v3, 0xffff, v8
	s_clause 0x1
	s_load_b64 s[20:21], s[0:1], 0x48
	s_load_b128 s[16:19], s[0:1], 0x38
	v_subrev_nc_u32_e32 v2, 28, v1
	s_sub_u32 s0, s6, s10
	s_subb_u32 s1, s7, 0
	s_sub_u32 s6, s12, s10
	s_subb_u32 s7, s13, 0
	v_cndmask_b32_e32 v1, v2, v1, vcc_lo
	v_cmp_lt_u32_e32 vcc_lo, 0x30f, v0
	v_mov_b32_e32 v7, 0
	s_delay_alu instid0(VALU_DEP_3) | instskip(SKIP_2) | instid1(VALU_DEP_1)
	v_cndmask_b32_e64 v1, v3, v1, s2
	v_cndmask_b32_e64 v9, 0, 1, vcc_lo
	s_mul_i32 s2, s7, 0x310
	v_add_co_u32 v3, s12, s12, v9
	s_delay_alu instid0(VALU_DEP_1) | instskip(SKIP_1) | instid1(VALU_DEP_2)
	v_add_co_ci_u32_e64 v4, null, s13, 0, s12
	s_mul_hi_u32 s12, s6, 0x310
	v_sub_co_u32 v3, vcc_lo, v3, s10
	s_delay_alu instid0(VALU_DEP_2)
	v_subrev_co_ci_u32_e32 v4, vcc_lo, 0, v4, vcc_lo
	s_mul_i32 s13, s6, 0x310
	s_add_i32 s12, s12, s2
	s_waitcnt lgkmcnt(0)
	s_add_u32 s2, s18, s13
	v_lshlrev_b64 v[5:6], 3, v[3:4]
	v_add_co_u32 v1, s15, s20, v1
	s_addc_u32 s12, s19, s12
	v_add_co_u32 v3, s2, s2, v0
	s_delay_alu instid0(VALU_DEP_3)
	v_add_co_u32 v5, vcc_lo, s16, v5
	v_add_co_ci_u32_e64 v2, null, s21, 0, s15
	v_add_co_ci_u32_e64 v4, null, s12, 0, s2
	v_add_co_ci_u32_e32 v6, vcc_lo, s17, v6, vcc_lo
	s_set_inst_prefetch_distance 0x1
	s_branch .LBB235_14
	.p2align	6
.LBB235_13:                             ;   in Loop: Header=BB235_14 Depth=1
	s_or_b32 exec_lo, exec_lo, s2
	s_add_u32 s6, s6, 1
	s_addc_u32 s7, s7, 0
	v_add_co_u32 v5, vcc_lo, v5, 8
	v_cmp_lt_i64_e64 s2, s[6:7], s[0:1]
	v_add_co_ci_u32_e32 v6, vcc_lo, 0, v6, vcc_lo
	s_delay_alu instid0(VALU_DEP_2)
	s_and_b32 vcc_lo, exec_lo, s2
	s_cbranch_vccz .LBB235_16
.LBB235_14:                             ; =>This Inner Loop Header: Depth=1
	v_add_co_u32 v10, s2, v9, s6
	s_delay_alu instid0(VALU_DEP_1) | instskip(SKIP_1) | instid1(VALU_DEP_1)
	v_add_co_ci_u32_e64 v11, null, 0, s7, s2
	s_mov_b32 s2, exec_lo
	v_cmpx_gt_i64_e64 s[0:1], v[10:11]
	s_cbranch_execz .LBB235_13
; %bb.15:                               ;   in Loop: Header=BB235_14 Depth=1
	global_load_b64 v[10:11], v[5:6], off
	s_waitcnt vmcnt(0)
	v_sub_co_u32 v12, vcc_lo, v10, s10
	v_subrev_co_ci_u32_e32 v14, vcc_lo, 0, v11, vcc_lo
	s_delay_alu instid0(VALU_DEP_2) | instskip(NEXT) | instid1(VALU_DEP_1)
	v_mad_u64_u32 v[10:11], null, v12, 28, v[1:2]
	v_mad_u64_u32 v[12:13], null, v14, 28, v[11:12]
	s_delay_alu instid0(VALU_DEP_1)
	v_mov_b32_e32 v11, v12
	global_load_i8 v12, v[3:4], off
	global_load_i8 v10, v[10:11], off
	v_add_co_u32 v3, vcc_lo, 0x310, v3
	v_add_co_ci_u32_e32 v4, vcc_lo, 0, v4, vcc_lo
	s_waitcnt vmcnt(0)
	v_mad_i32_i24 v7, v10, v12, v7
	s_branch .LBB235_13
.LBB235_16:
	s_set_inst_prefetch_distance 0x2
	v_lshlrev_b32_e32 v1, 2, v0
	s_and_b32 vcc_lo, exec_lo, s14
	ds_store_b32 v1, v7
	s_waitcnt lgkmcnt(0)
	s_barrier
	buffer_gl0_inv
	s_cbranch_vccz .LBB235_28
; %bb.17:
	s_mov_b32 s0, exec_lo
	v_cmpx_gt_u16_e32 12, v8
	s_cbranch_execz .LBB235_19
; %bb.18:
	ds_load_2addr_b32 v[2:3], v1 offset1:16
	s_waitcnt lgkmcnt(0)
	v_add_nc_u32_e32 v2, v2, v3
	ds_store_b32 v1, v2
.LBB235_19:
	s_or_b32 exec_lo, exec_lo, s0
	s_delay_alu instid0(SALU_CYCLE_1)
	s_mov_b32 s0, exec_lo
	s_waitcnt lgkmcnt(0)
	s_barrier
	buffer_gl0_inv
	v_cmpx_gt_u16_e32 8, v8
	s_cbranch_execz .LBB235_21
; %bb.20:
	ds_load_2addr_b32 v[2:3], v1 offset1:8
	s_waitcnt lgkmcnt(0)
	v_add_nc_u32_e32 v2, v2, v3
	ds_store_b32 v1, v2
.LBB235_21:
	s_or_b32 exec_lo, exec_lo, s0
	s_delay_alu instid0(SALU_CYCLE_1)
	s_mov_b32 s0, exec_lo
	s_waitcnt lgkmcnt(0)
	s_barrier
	buffer_gl0_inv
	;; [unrolled: 14-line block ×3, first 2 shown]
	v_cmpx_gt_u16_e32 2, v8
	s_cbranch_execz .LBB235_25
; %bb.24:
	ds_load_2addr_b32 v[2:3], v1 offset1:2
	s_waitcnt lgkmcnt(0)
	v_add_nc_u32_e32 v2, v2, v3
	ds_store_b32 v1, v2
.LBB235_25:
	s_or_b32 exec_lo, exec_lo, s0
	s_mov_b32 s1, 0
	s_mov_b32 s0, 0
	s_mov_b32 s2, exec_lo
	s_waitcnt lgkmcnt(0)
	s_barrier
	buffer_gl0_inv
                                        ; implicit-def: $vgpr2
                                        ; implicit-def: $vgpr3
	v_cmpx_gt_u32_e32 28, v0
	s_xor_b32 s2, exec_lo, s2
; %bb.26:
	v_mul_u32_u24_e32 v3, 28, v0
	s_mov_b32 s0, exec_lo
	s_delay_alu instid0(VALU_DEP_1)
	v_or_b32_e32 v2, 1, v3
	v_lshlrev_b32_e32 v3, 2, v3
; %bb.27:
	s_or_b32 exec_lo, exec_lo, s2
	s_delay_alu instid0(SALU_CYCLE_1)
	s_and_b32 vcc_lo, exec_lo, s1
	s_cbranch_vccnz .LBB235_29
	s_branch .LBB235_40
.LBB235_28:
	s_mov_b32 s0, 0
                                        ; implicit-def: $vgpr2
                                        ; implicit-def: $vgpr3
	s_cbranch_execz .LBB235_40
.LBB235_29:
	s_mov_b32 s1, exec_lo
	v_cmpx_gt_u32_e32 0x150, v0
	s_cbranch_execz .LBB235_31
; %bb.30:
	ds_load_2addr_stride64_b32 v[2:3], v1 offset1:7
	s_waitcnt lgkmcnt(0)
	v_add_nc_u32_e32 v2, v2, v3
	ds_store_b32 v1, v2
.LBB235_31:
	s_or_b32 exec_lo, exec_lo, s1
	s_delay_alu instid0(SALU_CYCLE_1)
	s_mov_b32 s1, exec_lo
	s_waitcnt lgkmcnt(0)
	s_barrier
	buffer_gl0_inv
	v_cmpx_gt_u32_e32 0xe0, v0
	s_cbranch_execz .LBB235_33
; %bb.32:
	ds_load_2addr_b32 v[2:3], v1 offset1:224
	s_waitcnt lgkmcnt(0)
	v_add_nc_u32_e32 v2, v2, v3
	ds_store_b32 v1, v2
.LBB235_33:
	s_or_b32 exec_lo, exec_lo, s1
	s_delay_alu instid0(SALU_CYCLE_1)
	s_mov_b32 s1, exec_lo
	s_waitcnt lgkmcnt(0)
	s_barrier
	buffer_gl0_inv
	v_cmpx_gt_u32_e32 0x70, v0
	s_cbranch_execz .LBB235_35
; %bb.34:
	ds_load_2addr_b32 v[2:3], v1 offset1:112
	s_waitcnt lgkmcnt(0)
	v_add_nc_u32_e32 v2, v2, v3
	ds_store_b32 v1, v2
.LBB235_35:
	;; [unrolled: 14-line block ×3, first 2 shown]
	s_or_b32 exec_lo, exec_lo, s1
	s_delay_alu instid0(SALU_CYCLE_1)
	s_mov_b32 s1, exec_lo
	s_waitcnt lgkmcnt(0)
	buffer_gl0_inv
                                        ; implicit-def: $vgpr2
	v_cmpx_gt_u32_e32 28, v0
; %bb.38:
	v_add_nc_u32_e32 v2, 28, v0
	s_or_b32 s0, s0, exec_lo
                                        ; implicit-def: $vgpr7
; %bb.39:
	s_or_b32 exec_lo, exec_lo, s1
	v_mov_b32_e32 v3, v1
.LBB235_40:
	s_and_saveexec_b32 s1, s0
	s_cbranch_execz .LBB235_42
; %bb.41:
	v_lshlrev_b32_e32 v1, 2, v2
	ds_load_b32 v2, v3
	ds_load_b32 v1, v1
	s_waitcnt lgkmcnt(0)
	v_add_nc_u32_e32 v7, v1, v2
.LBB235_42:
	s_or_b32 exec_lo, exec_lo, s1
	s_delay_alu instid0(SALU_CYCLE_1)
	s_mov_b32 s0, exec_lo
	v_cmpx_gt_u32_e32 28, v0
	s_cbranch_execz .LBB235_46
; %bb.43:
	v_mul_lo_u32 v1, v7, s11
	s_mov_b32 s6, 0
	s_cmp_eq_u32 s3, 0
	s_mul_i32 s0, s9, 0x70
	s_mul_hi_u32 s1, s8, 0x70
	s_mul_i32 s2, s8, 0x70
	s_cbranch_scc1 .LBB235_47
; %bb.44:
	v_lshlrev_b32_e32 v4, 2, v0
	s_add_i32 s7, s1, s0
	s_add_u32 s8, s4, s2
	s_addc_u32 s9, s5, s7
	global_load_b32 v5, v4, s[8:9]
	s_waitcnt vmcnt(0)
	v_mad_u64_u32 v[2:3], null, v5, s3, v[1:2]
	global_store_b32 v4, v2, s[8:9]
	s_and_not1_b32 vcc_lo, exec_lo, s6
	s_cbranch_vccnz .LBB235_46
.LBB235_45:
	v_lshlrev_b32_e32 v0, 2, v0
	s_add_i32 s1, s1, s0
	s_add_u32 s0, s4, s2
	s_addc_u32 s1, s5, s1
	global_store_b32 v0, v1, s[0:1]
.LBB235_46:
	s_nop 0
	s_sendmsg sendmsg(MSG_DEALLOC_VGPRS)
	s_endpgm
.LBB235_47:
	s_branch .LBB235_45
	.section	.rodata,"a",@progbits
	.p2align	6, 0x0
	.amdhsa_kernel _ZN9rocsparseL20bsrxmvn_17_32_kernelILj28EillaaiEEvT2_20rocsparse_direction_NS_24const_host_device_scalarIT0_EES1_PKS1_PKT1_SA_S7_PKT3_PKT4_S5_PT5_21rocsparse_index_base_b
		.amdhsa_group_segment_fixed_size 3136
		.amdhsa_private_segment_fixed_size 0
		.amdhsa_kernarg_size 104
		.amdhsa_user_sgpr_count 15
		.amdhsa_user_sgpr_dispatch_ptr 0
		.amdhsa_user_sgpr_queue_ptr 0
		.amdhsa_user_sgpr_kernarg_segment_ptr 1
		.amdhsa_user_sgpr_dispatch_id 0
		.amdhsa_user_sgpr_private_segment_size 0
		.amdhsa_wavefront_size32 1
		.amdhsa_uses_dynamic_stack 0
		.amdhsa_enable_private_segment 0
		.amdhsa_system_sgpr_workgroup_id_x 1
		.amdhsa_system_sgpr_workgroup_id_y 0
		.amdhsa_system_sgpr_workgroup_id_z 0
		.amdhsa_system_sgpr_workgroup_info 0
		.amdhsa_system_vgpr_workitem_id 0
		.amdhsa_next_free_vgpr 15
		.amdhsa_next_free_sgpr 22
		.amdhsa_reserve_vcc 1
		.amdhsa_float_round_mode_32 0
		.amdhsa_float_round_mode_16_64 0
		.amdhsa_float_denorm_mode_32 3
		.amdhsa_float_denorm_mode_16_64 3
		.amdhsa_dx10_clamp 1
		.amdhsa_ieee_mode 1
		.amdhsa_fp16_overflow 0
		.amdhsa_workgroup_processor_mode 1
		.amdhsa_memory_ordered 1
		.amdhsa_forward_progress 0
		.amdhsa_shared_vgpr_count 0
		.amdhsa_exception_fp_ieee_invalid_op 0
		.amdhsa_exception_fp_denorm_src 0
		.amdhsa_exception_fp_ieee_div_zero 0
		.amdhsa_exception_fp_ieee_overflow 0
		.amdhsa_exception_fp_ieee_underflow 0
		.amdhsa_exception_fp_ieee_inexact 0
		.amdhsa_exception_int_div_zero 0
	.end_amdhsa_kernel
	.section	.text._ZN9rocsparseL20bsrxmvn_17_32_kernelILj28EillaaiEEvT2_20rocsparse_direction_NS_24const_host_device_scalarIT0_EES1_PKS1_PKT1_SA_S7_PKT3_PKT4_S5_PT5_21rocsparse_index_base_b,"axG",@progbits,_ZN9rocsparseL20bsrxmvn_17_32_kernelILj28EillaaiEEvT2_20rocsparse_direction_NS_24const_host_device_scalarIT0_EES1_PKS1_PKT1_SA_S7_PKT3_PKT4_S5_PT5_21rocsparse_index_base_b,comdat
.Lfunc_end235:
	.size	_ZN9rocsparseL20bsrxmvn_17_32_kernelILj28EillaaiEEvT2_20rocsparse_direction_NS_24const_host_device_scalarIT0_EES1_PKS1_PKT1_SA_S7_PKT3_PKT4_S5_PT5_21rocsparse_index_base_b, .Lfunc_end235-_ZN9rocsparseL20bsrxmvn_17_32_kernelILj28EillaaiEEvT2_20rocsparse_direction_NS_24const_host_device_scalarIT0_EES1_PKS1_PKT1_SA_S7_PKT3_PKT4_S5_PT5_21rocsparse_index_base_b
                                        ; -- End function
	.section	.AMDGPU.csdata,"",@progbits
; Kernel info:
; codeLenInByte = 1640
; NumSgprs: 24
; NumVgprs: 15
; ScratchSize: 0
; MemoryBound: 0
; FloatMode: 240
; IeeeMode: 1
; LDSByteSize: 3136 bytes/workgroup (compile time only)
; SGPRBlocks: 2
; VGPRBlocks: 1
; NumSGPRsForWavesPerEU: 24
; NumVGPRsForWavesPerEU: 15
; Occupancy: 13
; WaveLimiterHint : 1
; COMPUTE_PGM_RSRC2:SCRATCH_EN: 0
; COMPUTE_PGM_RSRC2:USER_SGPR: 15
; COMPUTE_PGM_RSRC2:TRAP_HANDLER: 0
; COMPUTE_PGM_RSRC2:TGID_X_EN: 1
; COMPUTE_PGM_RSRC2:TGID_Y_EN: 0
; COMPUTE_PGM_RSRC2:TGID_Z_EN: 0
; COMPUTE_PGM_RSRC2:TIDIG_COMP_CNT: 0
	.section	.text._ZN9rocsparseL20bsrxmvn_17_32_kernelILj29EillaaiEEvT2_20rocsparse_direction_NS_24const_host_device_scalarIT0_EES1_PKS1_PKT1_SA_S7_PKT3_PKT4_S5_PT5_21rocsparse_index_base_b,"axG",@progbits,_ZN9rocsparseL20bsrxmvn_17_32_kernelILj29EillaaiEEvT2_20rocsparse_direction_NS_24const_host_device_scalarIT0_EES1_PKS1_PKT1_SA_S7_PKT3_PKT4_S5_PT5_21rocsparse_index_base_b,comdat
	.globl	_ZN9rocsparseL20bsrxmvn_17_32_kernelILj29EillaaiEEvT2_20rocsparse_direction_NS_24const_host_device_scalarIT0_EES1_PKS1_PKT1_SA_S7_PKT3_PKT4_S5_PT5_21rocsparse_index_base_b ; -- Begin function _ZN9rocsparseL20bsrxmvn_17_32_kernelILj29EillaaiEEvT2_20rocsparse_direction_NS_24const_host_device_scalarIT0_EES1_PKS1_PKT1_SA_S7_PKT3_PKT4_S5_PT5_21rocsparse_index_base_b
	.p2align	8
	.type	_ZN9rocsparseL20bsrxmvn_17_32_kernelILj29EillaaiEEvT2_20rocsparse_direction_NS_24const_host_device_scalarIT0_EES1_PKS1_PKT1_SA_S7_PKT3_PKT4_S5_PT5_21rocsparse_index_base_b,@function
_ZN9rocsparseL20bsrxmvn_17_32_kernelILj29EillaaiEEvT2_20rocsparse_direction_NS_24const_host_device_scalarIT0_EES1_PKS1_PKT1_SA_S7_PKT3_PKT4_S5_PT5_21rocsparse_index_base_b: ; @_ZN9rocsparseL20bsrxmvn_17_32_kernelILj29EillaaiEEvT2_20rocsparse_direction_NS_24const_host_device_scalarIT0_EES1_PKS1_PKT1_SA_S7_PKT3_PKT4_S5_PT5_21rocsparse_index_base_b
; %bb.0:
	s_clause 0x1
	s_load_b64 s[10:11], s[0:1], 0x60
	s_load_b64 s[4:5], s[0:1], 0x10
	s_mov_b32 s8, s15
	s_mov_b32 s7, -1
	s_waitcnt lgkmcnt(0)
	s_bitcmp1_b32 s11, 0
                                        ; implicit-def: $sgpr11
	s_cselect_b32 s2, -1, 0
	s_delay_alu instid0(SALU_CYCLE_1) | instskip(NEXT) | instid1(SALU_CYCLE_1)
	s_xor_b32 s6, s2, -1
	s_and_b32 vcc_lo, exec_lo, s6
	s_cbranch_vccnz .LBB236_4
; %bb.1:
	s_load_b64 s[2:3], s[0:1], 0x50
	s_and_not1_b32 vcc_lo, exec_lo, s7
	s_cbranch_vccz .LBB236_5
.LBB236_2:
	s_and_b32 vcc_lo, exec_lo, s6
	s_cbranch_vccz .LBB236_6
.LBB236_3:
	s_waitcnt lgkmcnt(0)
	s_load_b32 s3, s[2:3], 0x0
	s_cbranch_execz .LBB236_7
	s_branch .LBB236_8
.LBB236_4:
	s_load_b32 s11, s[4:5], 0x0
	s_load_b64 s[2:3], s[0:1], 0x50
	s_cbranch_execnz .LBB236_2
.LBB236_5:
	s_waitcnt lgkmcnt(0)
	s_mov_b32 s11, s4
	s_and_b32 vcc_lo, exec_lo, s6
	s_cbranch_vccnz .LBB236_3
.LBB236_6:
                                        ; implicit-def: $sgpr3
.LBB236_7:
	s_waitcnt lgkmcnt(0)
	s_mov_b32 s3, s2
.LBB236_8:
	s_waitcnt lgkmcnt(0)
	s_cmp_lg_u32 s11, 0
	s_mov_b32 s9, 0
	s_cselect_b32 s2, -1, 0
	s_cmp_lg_u32 s3, 1
	s_cselect_b32 s4, -1, 0
	s_delay_alu instid0(SALU_CYCLE_1) | instskip(NEXT) | instid1(SALU_CYCLE_1)
	s_or_b32 s2, s2, s4
	s_and_not1_b32 vcc_lo, exec_lo, s2
	s_cbranch_vccnz .LBB236_46
; %bb.9:
	s_clause 0x1
	s_load_b128 s[4:7], s[0:1], 0x20
	s_load_b64 s[12:13], s[0:1], 0x30
	s_waitcnt lgkmcnt(0)
	s_cmp_eq_u64 s[4:5], 0
	s_cbranch_scc1 .LBB236_11
; %bb.10:
	s_lshl_b64 s[8:9], s[8:9], 3
	s_delay_alu instid0(SALU_CYCLE_1)
	s_add_u32 s4, s4, s8
	s_addc_u32 s5, s5, s9
	s_load_b64 s[4:5], s[4:5], 0x0
	s_waitcnt lgkmcnt(0)
	s_sub_u32 s8, s4, s10
	s_subb_u32 s9, s5, 0
.LBB236_11:
	s_load_b32 s4, s[0:1], 0x8
	v_mul_u32_u24_e32 v1, 0x8d4, v0
	v_mov_b32_e32 v7, 0
	s_delay_alu instid0(VALU_DEP_2) | instskip(NEXT) | instid1(VALU_DEP_1)
	v_lshrrev_b32_e32 v1, 16, v1
	v_mul_lo_u16 v2, v1, 29
	s_delay_alu instid0(VALU_DEP_1)
	v_sub_nc_u16 v8, v0, v2
	s_waitcnt lgkmcnt(0)
	s_cmp_eq_u32 s4, 1
	s_cselect_b32 s2, -1, 0
	s_cmp_lg_u32 s4, 1
	s_cselect_b32 s14, -1, 0
	s_lshl_b64 s[4:5], s[8:9], 3
	s_delay_alu instid0(SALU_CYCLE_1)
	s_add_u32 s6, s6, s4
	s_addc_u32 s7, s7, s5
	s_add_u32 s15, s6, 8
	s_addc_u32 s16, s7, 0
	;; [unrolled: 2-line block ×3, first 2 shown]
	s_cmp_eq_u64 s[12:13], 0
	s_cselect_b32 s5, s16, s5
	s_cselect_b32 s4, s15, s4
	s_load_b64 s[12:13], s[6:7], 0x0
	s_load_b64 s[6:7], s[4:5], 0x0
	;; [unrolled: 1-line block ×3, first 2 shown]
	s_waitcnt lgkmcnt(0)
	v_cmp_ge_i64_e64 s15, s[12:13], s[6:7]
	s_delay_alu instid0(VALU_DEP_1)
	s_and_b32 vcc_lo, exec_lo, s15
	s_cbranch_vccnz .LBB236_16
; %bb.12:
	v_and_b32_e32 v1, 0xffff, v1
	v_cmp_gt_u32_e32 vcc_lo, 0x349, v0
	v_and_b32_e32 v3, 0xffff, v8
	s_clause 0x1
	s_load_b64 s[20:21], s[0:1], 0x48
	s_load_b128 s[16:19], s[0:1], 0x38
	v_subrev_nc_u32_e32 v2, 29, v1
	s_sub_u32 s0, s6, s10
	s_subb_u32 s1, s7, 0
	s_sub_u32 s6, s12, s10
	s_subb_u32 s7, s13, 0
	v_cndmask_b32_e32 v1, v2, v1, vcc_lo
	v_cmp_lt_u32_e32 vcc_lo, 0x348, v0
	v_mov_b32_e32 v7, 0
	s_delay_alu instid0(VALU_DEP_3) | instskip(SKIP_2) | instid1(VALU_DEP_1)
	v_cndmask_b32_e64 v1, v3, v1, s2
	v_cndmask_b32_e64 v9, 0, 1, vcc_lo
	s_mul_i32 s2, s7, 0x349
	v_add_co_u32 v3, s12, s12, v9
	s_delay_alu instid0(VALU_DEP_1) | instskip(SKIP_1) | instid1(VALU_DEP_2)
	v_add_co_ci_u32_e64 v4, null, s13, 0, s12
	s_mul_hi_u32 s12, s6, 0x349
	v_sub_co_u32 v3, vcc_lo, v3, s10
	s_delay_alu instid0(VALU_DEP_2)
	v_subrev_co_ci_u32_e32 v4, vcc_lo, 0, v4, vcc_lo
	s_mul_i32 s13, s6, 0x349
	s_add_i32 s12, s12, s2
	s_waitcnt lgkmcnt(0)
	s_add_u32 s2, s18, s13
	v_lshlrev_b64 v[5:6], 3, v[3:4]
	v_add_co_u32 v1, s15, s20, v1
	s_addc_u32 s12, s19, s12
	v_add_co_u32 v3, s2, s2, v0
	s_delay_alu instid0(VALU_DEP_3)
	v_add_co_u32 v5, vcc_lo, s16, v5
	v_add_co_ci_u32_e64 v2, null, s21, 0, s15
	v_add_co_ci_u32_e64 v4, null, s12, 0, s2
	v_add_co_ci_u32_e32 v6, vcc_lo, s17, v6, vcc_lo
	s_set_inst_prefetch_distance 0x1
	s_branch .LBB236_14
	.p2align	6
.LBB236_13:                             ;   in Loop: Header=BB236_14 Depth=1
	s_or_b32 exec_lo, exec_lo, s2
	s_add_u32 s6, s6, 1
	s_addc_u32 s7, s7, 0
	v_add_co_u32 v5, vcc_lo, v5, 8
	v_cmp_lt_i64_e64 s2, s[6:7], s[0:1]
	v_add_co_ci_u32_e32 v6, vcc_lo, 0, v6, vcc_lo
	s_delay_alu instid0(VALU_DEP_2)
	s_and_b32 vcc_lo, exec_lo, s2
	s_cbranch_vccz .LBB236_16
.LBB236_14:                             ; =>This Inner Loop Header: Depth=1
	v_add_co_u32 v10, s2, v9, s6
	s_delay_alu instid0(VALU_DEP_1) | instskip(SKIP_1) | instid1(VALU_DEP_1)
	v_add_co_ci_u32_e64 v11, null, 0, s7, s2
	s_mov_b32 s2, exec_lo
	v_cmpx_gt_i64_e64 s[0:1], v[10:11]
	s_cbranch_execz .LBB236_13
; %bb.15:                               ;   in Loop: Header=BB236_14 Depth=1
	global_load_b64 v[10:11], v[5:6], off
	s_waitcnt vmcnt(0)
	v_sub_co_u32 v12, vcc_lo, v10, s10
	v_subrev_co_ci_u32_e32 v14, vcc_lo, 0, v11, vcc_lo
	s_delay_alu instid0(VALU_DEP_2) | instskip(NEXT) | instid1(VALU_DEP_1)
	v_mad_u64_u32 v[10:11], null, v12, 29, v[1:2]
	v_mad_u64_u32 v[12:13], null, v14, 29, v[11:12]
	s_delay_alu instid0(VALU_DEP_1)
	v_mov_b32_e32 v11, v12
	global_load_i8 v12, v[3:4], off
	global_load_i8 v10, v[10:11], off
	v_add_co_u32 v3, vcc_lo, 0x349, v3
	v_add_co_ci_u32_e32 v4, vcc_lo, 0, v4, vcc_lo
	s_waitcnt vmcnt(0)
	v_mad_i32_i24 v7, v10, v12, v7
	s_branch .LBB236_13
.LBB236_16:
	s_set_inst_prefetch_distance 0x2
	v_lshlrev_b32_e32 v1, 2, v0
	s_and_b32 vcc_lo, exec_lo, s14
	ds_store_b32 v1, v7
	s_waitcnt lgkmcnt(0)
	s_barrier
	buffer_gl0_inv
	s_cbranch_vccz .LBB236_28
; %bb.17:
	s_mov_b32 s0, exec_lo
	v_cmpx_gt_u16_e32 13, v8
	s_cbranch_execz .LBB236_19
; %bb.18:
	ds_load_2addr_b32 v[2:3], v1 offset1:16
	s_waitcnt lgkmcnt(0)
	v_add_nc_u32_e32 v2, v2, v3
	ds_store_b32 v1, v2
.LBB236_19:
	s_or_b32 exec_lo, exec_lo, s0
	s_delay_alu instid0(SALU_CYCLE_1)
	s_mov_b32 s0, exec_lo
	s_waitcnt lgkmcnt(0)
	s_barrier
	buffer_gl0_inv
	v_cmpx_gt_u16_e32 8, v8
	s_cbranch_execz .LBB236_21
; %bb.20:
	ds_load_2addr_b32 v[2:3], v1 offset1:8
	s_waitcnt lgkmcnt(0)
	v_add_nc_u32_e32 v2, v2, v3
	ds_store_b32 v1, v2
.LBB236_21:
	s_or_b32 exec_lo, exec_lo, s0
	s_delay_alu instid0(SALU_CYCLE_1)
	s_mov_b32 s0, exec_lo
	s_waitcnt lgkmcnt(0)
	s_barrier
	buffer_gl0_inv
	;; [unrolled: 14-line block ×3, first 2 shown]
	v_cmpx_gt_u16_e32 2, v8
	s_cbranch_execz .LBB236_25
; %bb.24:
	ds_load_2addr_b32 v[2:3], v1 offset1:2
	s_waitcnt lgkmcnt(0)
	v_add_nc_u32_e32 v2, v2, v3
	ds_store_b32 v1, v2
.LBB236_25:
	s_or_b32 exec_lo, exec_lo, s0
	s_mov_b32 s1, 0
	s_mov_b32 s0, 0
	s_mov_b32 s2, exec_lo
	s_waitcnt lgkmcnt(0)
	s_barrier
	buffer_gl0_inv
                                        ; implicit-def: $vgpr2
                                        ; implicit-def: $vgpr3
	v_cmpx_gt_u32_e32 29, v0
	s_xor_b32 s2, exec_lo, s2
; %bb.26:
	v_mul_u32_u24_e32 v3, 29, v0
	v_mad_u32_u24 v2, v0, 29, 1
	s_mov_b32 s0, exec_lo
	s_delay_alu instid0(VALU_DEP_2)
	v_lshlrev_b32_e32 v3, 2, v3
; %bb.27:
	s_or_b32 exec_lo, exec_lo, s2
	s_delay_alu instid0(SALU_CYCLE_1)
	s_and_b32 vcc_lo, exec_lo, s1
	s_cbranch_vccnz .LBB236_29
	s_branch .LBB236_40
.LBB236_28:
	s_mov_b32 s0, 0
                                        ; implicit-def: $vgpr2
                                        ; implicit-def: $vgpr3
	s_cbranch_execz .LBB236_40
.LBB236_29:
	s_mov_b32 s1, exec_lo
	v_cmpx_gt_u32_e32 0x179, v0
	s_cbranch_execz .LBB236_31
; %bb.30:
	ds_load_b32 v2, v1 offset:1856
	ds_load_b32 v3, v1
	s_waitcnt lgkmcnt(0)
	v_add_nc_u32_e32 v2, v3, v2
	ds_store_b32 v1, v2
.LBB236_31:
	s_or_b32 exec_lo, exec_lo, s1
	s_delay_alu instid0(SALU_CYCLE_1)
	s_mov_b32 s1, exec_lo
	s_waitcnt lgkmcnt(0)
	s_barrier
	buffer_gl0_inv
	v_cmpx_gt_u32_e32 0xe8, v0
	s_cbranch_execz .LBB236_33
; %bb.32:
	ds_load_2addr_b32 v[2:3], v1 offset1:232
	s_waitcnt lgkmcnt(0)
	v_add_nc_u32_e32 v2, v2, v3
	ds_store_b32 v1, v2
.LBB236_33:
	s_or_b32 exec_lo, exec_lo, s1
	s_delay_alu instid0(SALU_CYCLE_1)
	s_mov_b32 s1, exec_lo
	s_waitcnt lgkmcnt(0)
	s_barrier
	buffer_gl0_inv
	v_cmpx_gt_u32_e32 0x74, v0
	s_cbranch_execz .LBB236_35
; %bb.34:
	ds_load_2addr_b32 v[2:3], v1 offset1:116
	s_waitcnt lgkmcnt(0)
	v_add_nc_u32_e32 v2, v2, v3
	ds_store_b32 v1, v2
.LBB236_35:
	;; [unrolled: 14-line block ×3, first 2 shown]
	s_or_b32 exec_lo, exec_lo, s1
	s_delay_alu instid0(SALU_CYCLE_1)
	s_mov_b32 s1, exec_lo
	s_waitcnt lgkmcnt(0)
	buffer_gl0_inv
                                        ; implicit-def: $vgpr2
	v_cmpx_gt_u32_e32 29, v0
; %bb.38:
	v_add_nc_u32_e32 v2, 29, v0
	s_or_b32 s0, s0, exec_lo
                                        ; implicit-def: $vgpr7
; %bb.39:
	s_or_b32 exec_lo, exec_lo, s1
	v_mov_b32_e32 v3, v1
.LBB236_40:
	s_and_saveexec_b32 s1, s0
	s_cbranch_execz .LBB236_42
; %bb.41:
	v_lshlrev_b32_e32 v1, 2, v2
	ds_load_b32 v2, v3
	ds_load_b32 v1, v1
	s_waitcnt lgkmcnt(0)
	v_add_nc_u32_e32 v7, v1, v2
.LBB236_42:
	s_or_b32 exec_lo, exec_lo, s1
	s_delay_alu instid0(SALU_CYCLE_1)
	s_mov_b32 s0, exec_lo
	v_cmpx_gt_u32_e32 29, v0
	s_cbranch_execz .LBB236_46
; %bb.43:
	v_mul_lo_u32 v1, v7, s11
	s_mov_b32 s6, 0
	s_cmp_eq_u32 s3, 0
	s_mul_i32 s0, s9, 0x74
	s_mul_hi_u32 s1, s8, 0x74
	s_mul_i32 s2, s8, 0x74
	s_cbranch_scc1 .LBB236_47
; %bb.44:
	v_lshlrev_b32_e32 v4, 2, v0
	s_add_i32 s7, s1, s0
	s_add_u32 s8, s4, s2
	s_addc_u32 s9, s5, s7
	global_load_b32 v5, v4, s[8:9]
	s_waitcnt vmcnt(0)
	v_mad_u64_u32 v[2:3], null, v5, s3, v[1:2]
	global_store_b32 v4, v2, s[8:9]
	s_and_not1_b32 vcc_lo, exec_lo, s6
	s_cbranch_vccnz .LBB236_46
.LBB236_45:
	v_lshlrev_b32_e32 v0, 2, v0
	s_add_i32 s1, s1, s0
	s_add_u32 s0, s4, s2
	s_addc_u32 s1, s5, s1
	global_store_b32 v0, v1, s[0:1]
.LBB236_46:
	s_nop 0
	s_sendmsg sendmsg(MSG_DEALLOC_VGPRS)
	s_endpgm
.LBB236_47:
	s_branch .LBB236_45
	.section	.rodata,"a",@progbits
	.p2align	6, 0x0
	.amdhsa_kernel _ZN9rocsparseL20bsrxmvn_17_32_kernelILj29EillaaiEEvT2_20rocsparse_direction_NS_24const_host_device_scalarIT0_EES1_PKS1_PKT1_SA_S7_PKT3_PKT4_S5_PT5_21rocsparse_index_base_b
		.amdhsa_group_segment_fixed_size 3364
		.amdhsa_private_segment_fixed_size 0
		.amdhsa_kernarg_size 104
		.amdhsa_user_sgpr_count 15
		.amdhsa_user_sgpr_dispatch_ptr 0
		.amdhsa_user_sgpr_queue_ptr 0
		.amdhsa_user_sgpr_kernarg_segment_ptr 1
		.amdhsa_user_sgpr_dispatch_id 0
		.amdhsa_user_sgpr_private_segment_size 0
		.amdhsa_wavefront_size32 1
		.amdhsa_uses_dynamic_stack 0
		.amdhsa_enable_private_segment 0
		.amdhsa_system_sgpr_workgroup_id_x 1
		.amdhsa_system_sgpr_workgroup_id_y 0
		.amdhsa_system_sgpr_workgroup_id_z 0
		.amdhsa_system_sgpr_workgroup_info 0
		.amdhsa_system_vgpr_workitem_id 0
		.amdhsa_next_free_vgpr 15
		.amdhsa_next_free_sgpr 22
		.amdhsa_reserve_vcc 1
		.amdhsa_float_round_mode_32 0
		.amdhsa_float_round_mode_16_64 0
		.amdhsa_float_denorm_mode_32 3
		.amdhsa_float_denorm_mode_16_64 3
		.amdhsa_dx10_clamp 1
		.amdhsa_ieee_mode 1
		.amdhsa_fp16_overflow 0
		.amdhsa_workgroup_processor_mode 1
		.amdhsa_memory_ordered 1
		.amdhsa_forward_progress 0
		.amdhsa_shared_vgpr_count 0
		.amdhsa_exception_fp_ieee_invalid_op 0
		.amdhsa_exception_fp_denorm_src 0
		.amdhsa_exception_fp_ieee_div_zero 0
		.amdhsa_exception_fp_ieee_overflow 0
		.amdhsa_exception_fp_ieee_underflow 0
		.amdhsa_exception_fp_ieee_inexact 0
		.amdhsa_exception_int_div_zero 0
	.end_amdhsa_kernel
	.section	.text._ZN9rocsparseL20bsrxmvn_17_32_kernelILj29EillaaiEEvT2_20rocsparse_direction_NS_24const_host_device_scalarIT0_EES1_PKS1_PKT1_SA_S7_PKT3_PKT4_S5_PT5_21rocsparse_index_base_b,"axG",@progbits,_ZN9rocsparseL20bsrxmvn_17_32_kernelILj29EillaaiEEvT2_20rocsparse_direction_NS_24const_host_device_scalarIT0_EES1_PKS1_PKT1_SA_S7_PKT3_PKT4_S5_PT5_21rocsparse_index_base_b,comdat
.Lfunc_end236:
	.size	_ZN9rocsparseL20bsrxmvn_17_32_kernelILj29EillaaiEEvT2_20rocsparse_direction_NS_24const_host_device_scalarIT0_EES1_PKS1_PKT1_SA_S7_PKT3_PKT4_S5_PT5_21rocsparse_index_base_b, .Lfunc_end236-_ZN9rocsparseL20bsrxmvn_17_32_kernelILj29EillaaiEEvT2_20rocsparse_direction_NS_24const_host_device_scalarIT0_EES1_PKS1_PKT1_SA_S7_PKT3_PKT4_S5_PT5_21rocsparse_index_base_b
                                        ; -- End function
	.section	.AMDGPU.csdata,"",@progbits
; Kernel info:
; codeLenInByte = 1652
; NumSgprs: 24
; NumVgprs: 15
; ScratchSize: 0
; MemoryBound: 0
; FloatMode: 240
; IeeeMode: 1
; LDSByteSize: 3364 bytes/workgroup (compile time only)
; SGPRBlocks: 2
; VGPRBlocks: 1
; NumSGPRsForWavesPerEU: 24
; NumVGPRsForWavesPerEU: 15
; Occupancy: 14
; WaveLimiterHint : 1
; COMPUTE_PGM_RSRC2:SCRATCH_EN: 0
; COMPUTE_PGM_RSRC2:USER_SGPR: 15
; COMPUTE_PGM_RSRC2:TRAP_HANDLER: 0
; COMPUTE_PGM_RSRC2:TGID_X_EN: 1
; COMPUTE_PGM_RSRC2:TGID_Y_EN: 0
; COMPUTE_PGM_RSRC2:TGID_Z_EN: 0
; COMPUTE_PGM_RSRC2:TIDIG_COMP_CNT: 0
	.section	.text._ZN9rocsparseL20bsrxmvn_17_32_kernelILj30EillaaiEEvT2_20rocsparse_direction_NS_24const_host_device_scalarIT0_EES1_PKS1_PKT1_SA_S7_PKT3_PKT4_S5_PT5_21rocsparse_index_base_b,"axG",@progbits,_ZN9rocsparseL20bsrxmvn_17_32_kernelILj30EillaaiEEvT2_20rocsparse_direction_NS_24const_host_device_scalarIT0_EES1_PKS1_PKT1_SA_S7_PKT3_PKT4_S5_PT5_21rocsparse_index_base_b,comdat
	.globl	_ZN9rocsparseL20bsrxmvn_17_32_kernelILj30EillaaiEEvT2_20rocsparse_direction_NS_24const_host_device_scalarIT0_EES1_PKS1_PKT1_SA_S7_PKT3_PKT4_S5_PT5_21rocsparse_index_base_b ; -- Begin function _ZN9rocsparseL20bsrxmvn_17_32_kernelILj30EillaaiEEvT2_20rocsparse_direction_NS_24const_host_device_scalarIT0_EES1_PKS1_PKT1_SA_S7_PKT3_PKT4_S5_PT5_21rocsparse_index_base_b
	.p2align	8
	.type	_ZN9rocsparseL20bsrxmvn_17_32_kernelILj30EillaaiEEvT2_20rocsparse_direction_NS_24const_host_device_scalarIT0_EES1_PKS1_PKT1_SA_S7_PKT3_PKT4_S5_PT5_21rocsparse_index_base_b,@function
_ZN9rocsparseL20bsrxmvn_17_32_kernelILj30EillaaiEEvT2_20rocsparse_direction_NS_24const_host_device_scalarIT0_EES1_PKS1_PKT1_SA_S7_PKT3_PKT4_S5_PT5_21rocsparse_index_base_b: ; @_ZN9rocsparseL20bsrxmvn_17_32_kernelILj30EillaaiEEvT2_20rocsparse_direction_NS_24const_host_device_scalarIT0_EES1_PKS1_PKT1_SA_S7_PKT3_PKT4_S5_PT5_21rocsparse_index_base_b
; %bb.0:
	s_clause 0x1
	s_load_b64 s[10:11], s[0:1], 0x60
	s_load_b64 s[4:5], s[0:1], 0x10
	s_mov_b32 s8, s15
	s_mov_b32 s7, -1
	s_waitcnt lgkmcnt(0)
	s_bitcmp1_b32 s11, 0
                                        ; implicit-def: $sgpr11
	s_cselect_b32 s2, -1, 0
	s_delay_alu instid0(SALU_CYCLE_1) | instskip(NEXT) | instid1(SALU_CYCLE_1)
	s_xor_b32 s6, s2, -1
	s_and_b32 vcc_lo, exec_lo, s6
	s_cbranch_vccnz .LBB237_4
; %bb.1:
	s_load_b64 s[2:3], s[0:1], 0x50
	s_and_not1_b32 vcc_lo, exec_lo, s7
	s_cbranch_vccz .LBB237_5
.LBB237_2:
	s_and_b32 vcc_lo, exec_lo, s6
	s_cbranch_vccz .LBB237_6
.LBB237_3:
	s_waitcnt lgkmcnt(0)
	s_load_b32 s3, s[2:3], 0x0
	s_cbranch_execz .LBB237_7
	s_branch .LBB237_8
.LBB237_4:
	s_load_b32 s11, s[4:5], 0x0
	s_load_b64 s[2:3], s[0:1], 0x50
	s_cbranch_execnz .LBB237_2
.LBB237_5:
	s_waitcnt lgkmcnt(0)
	s_mov_b32 s11, s4
	s_and_b32 vcc_lo, exec_lo, s6
	s_cbranch_vccnz .LBB237_3
.LBB237_6:
                                        ; implicit-def: $sgpr3
.LBB237_7:
	s_waitcnt lgkmcnt(0)
	s_mov_b32 s3, s2
.LBB237_8:
	s_waitcnt lgkmcnt(0)
	s_cmp_lg_u32 s11, 0
	s_mov_b32 s9, 0
	s_cselect_b32 s2, -1, 0
	s_cmp_lg_u32 s3, 1
	s_cselect_b32 s4, -1, 0
	s_delay_alu instid0(SALU_CYCLE_1) | instskip(NEXT) | instid1(SALU_CYCLE_1)
	s_or_b32 s2, s2, s4
	s_and_not1_b32 vcc_lo, exec_lo, s2
	s_cbranch_vccnz .LBB237_46
; %bb.9:
	s_clause 0x1
	s_load_b128 s[4:7], s[0:1], 0x20
	s_load_b64 s[12:13], s[0:1], 0x30
	s_waitcnt lgkmcnt(0)
	s_cmp_eq_u64 s[4:5], 0
	s_cbranch_scc1 .LBB237_11
; %bb.10:
	s_lshl_b64 s[8:9], s[8:9], 3
	s_delay_alu instid0(SALU_CYCLE_1)
	s_add_u32 s4, s4, s8
	s_addc_u32 s5, s5, s9
	s_load_b64 s[4:5], s[4:5], 0x0
	s_waitcnt lgkmcnt(0)
	s_sub_u32 s8, s4, s10
	s_subb_u32 s9, s5, 0
.LBB237_11:
	s_load_b32 s4, s[0:1], 0x8
	v_mul_u32_u24_e32 v1, 0x889, v0
	v_mov_b32_e32 v7, 0
	s_delay_alu instid0(VALU_DEP_2) | instskip(NEXT) | instid1(VALU_DEP_1)
	v_lshrrev_b32_e32 v1, 16, v1
	v_mul_lo_u16 v2, v1, 30
	s_delay_alu instid0(VALU_DEP_1)
	v_sub_nc_u16 v8, v0, v2
	s_waitcnt lgkmcnt(0)
	s_cmp_eq_u32 s4, 1
	s_cselect_b32 s2, -1, 0
	s_cmp_lg_u32 s4, 1
	s_cselect_b32 s14, -1, 0
	s_lshl_b64 s[4:5], s[8:9], 3
	s_delay_alu instid0(SALU_CYCLE_1)
	s_add_u32 s6, s6, s4
	s_addc_u32 s7, s7, s5
	s_add_u32 s15, s6, 8
	s_addc_u32 s16, s7, 0
	;; [unrolled: 2-line block ×3, first 2 shown]
	s_cmp_eq_u64 s[12:13], 0
	s_cselect_b32 s5, s16, s5
	s_cselect_b32 s4, s15, s4
	s_load_b64 s[12:13], s[6:7], 0x0
	s_load_b64 s[6:7], s[4:5], 0x0
	;; [unrolled: 1-line block ×3, first 2 shown]
	s_waitcnt lgkmcnt(0)
	v_cmp_ge_i64_e64 s15, s[12:13], s[6:7]
	s_delay_alu instid0(VALU_DEP_1)
	s_and_b32 vcc_lo, exec_lo, s15
	s_cbranch_vccnz .LBB237_16
; %bb.12:
	v_and_b32_e32 v1, 0xffff, v1
	v_cmp_gt_u32_e32 vcc_lo, 0x384, v0
	v_and_b32_e32 v3, 0xffff, v8
	s_clause 0x1
	s_load_b64 s[20:21], s[0:1], 0x48
	s_load_b128 s[16:19], s[0:1], 0x38
	v_subrev_nc_u32_e32 v2, 30, v1
	s_sub_u32 s0, s6, s10
	s_subb_u32 s1, s7, 0
	s_sub_u32 s6, s12, s10
	s_subb_u32 s7, s13, 0
	v_cndmask_b32_e32 v1, v2, v1, vcc_lo
	v_cmp_lt_u32_e32 vcc_lo, 0x383, v0
	v_mov_b32_e32 v7, 0
	s_delay_alu instid0(VALU_DEP_3) | instskip(SKIP_2) | instid1(VALU_DEP_1)
	v_cndmask_b32_e64 v1, v3, v1, s2
	v_cndmask_b32_e64 v9, 0, 1, vcc_lo
	s_mul_i32 s2, s7, 0x384
	v_add_co_u32 v3, s12, s12, v9
	s_delay_alu instid0(VALU_DEP_1) | instskip(SKIP_1) | instid1(VALU_DEP_2)
	v_add_co_ci_u32_e64 v4, null, s13, 0, s12
	s_mul_hi_u32 s12, s6, 0x384
	v_sub_co_u32 v3, vcc_lo, v3, s10
	s_delay_alu instid0(VALU_DEP_2)
	v_subrev_co_ci_u32_e32 v4, vcc_lo, 0, v4, vcc_lo
	s_mul_i32 s13, s6, 0x384
	s_add_i32 s12, s12, s2
	s_waitcnt lgkmcnt(0)
	s_add_u32 s2, s18, s13
	v_lshlrev_b64 v[5:6], 3, v[3:4]
	v_add_co_u32 v1, s15, s20, v1
	s_addc_u32 s12, s19, s12
	v_add_co_u32 v3, s2, s2, v0
	s_delay_alu instid0(VALU_DEP_3)
	v_add_co_u32 v5, vcc_lo, s16, v5
	v_add_co_ci_u32_e64 v2, null, s21, 0, s15
	v_add_co_ci_u32_e64 v4, null, s12, 0, s2
	v_add_co_ci_u32_e32 v6, vcc_lo, s17, v6, vcc_lo
	s_set_inst_prefetch_distance 0x1
	s_branch .LBB237_14
	.p2align	6
.LBB237_13:                             ;   in Loop: Header=BB237_14 Depth=1
	s_or_b32 exec_lo, exec_lo, s2
	s_add_u32 s6, s6, 1
	s_addc_u32 s7, s7, 0
	v_add_co_u32 v5, vcc_lo, v5, 8
	v_cmp_lt_i64_e64 s2, s[6:7], s[0:1]
	v_add_co_ci_u32_e32 v6, vcc_lo, 0, v6, vcc_lo
	s_delay_alu instid0(VALU_DEP_2)
	s_and_b32 vcc_lo, exec_lo, s2
	s_cbranch_vccz .LBB237_16
.LBB237_14:                             ; =>This Inner Loop Header: Depth=1
	v_add_co_u32 v10, s2, v9, s6
	s_delay_alu instid0(VALU_DEP_1) | instskip(SKIP_1) | instid1(VALU_DEP_1)
	v_add_co_ci_u32_e64 v11, null, 0, s7, s2
	s_mov_b32 s2, exec_lo
	v_cmpx_gt_i64_e64 s[0:1], v[10:11]
	s_cbranch_execz .LBB237_13
; %bb.15:                               ;   in Loop: Header=BB237_14 Depth=1
	global_load_b64 v[10:11], v[5:6], off
	s_waitcnt vmcnt(0)
	v_sub_co_u32 v12, vcc_lo, v10, s10
	v_subrev_co_ci_u32_e32 v14, vcc_lo, 0, v11, vcc_lo
	s_delay_alu instid0(VALU_DEP_2) | instskip(NEXT) | instid1(VALU_DEP_1)
	v_mad_u64_u32 v[10:11], null, v12, 30, v[1:2]
	v_mad_u64_u32 v[12:13], null, v14, 30, v[11:12]
	s_delay_alu instid0(VALU_DEP_1)
	v_mov_b32_e32 v11, v12
	global_load_i8 v12, v[3:4], off
	global_load_i8 v10, v[10:11], off
	v_add_co_u32 v3, vcc_lo, 0x384, v3
	v_add_co_ci_u32_e32 v4, vcc_lo, 0, v4, vcc_lo
	s_waitcnt vmcnt(0)
	v_mad_i32_i24 v7, v10, v12, v7
	s_branch .LBB237_13
.LBB237_16:
	s_set_inst_prefetch_distance 0x2
	v_lshlrev_b32_e32 v1, 2, v0
	s_and_b32 vcc_lo, exec_lo, s14
	ds_store_b32 v1, v7
	s_waitcnt lgkmcnt(0)
	s_barrier
	buffer_gl0_inv
	s_cbranch_vccz .LBB237_28
; %bb.17:
	s_mov_b32 s0, exec_lo
	v_cmpx_gt_u16_e32 14, v8
	s_cbranch_execz .LBB237_19
; %bb.18:
	ds_load_2addr_b32 v[2:3], v1 offset1:16
	s_waitcnt lgkmcnt(0)
	v_add_nc_u32_e32 v2, v2, v3
	ds_store_b32 v1, v2
.LBB237_19:
	s_or_b32 exec_lo, exec_lo, s0
	s_delay_alu instid0(SALU_CYCLE_1)
	s_mov_b32 s0, exec_lo
	s_waitcnt lgkmcnt(0)
	s_barrier
	buffer_gl0_inv
	v_cmpx_gt_u16_e32 8, v8
	s_cbranch_execz .LBB237_21
; %bb.20:
	ds_load_2addr_b32 v[2:3], v1 offset1:8
	s_waitcnt lgkmcnt(0)
	v_add_nc_u32_e32 v2, v2, v3
	ds_store_b32 v1, v2
.LBB237_21:
	s_or_b32 exec_lo, exec_lo, s0
	s_delay_alu instid0(SALU_CYCLE_1)
	s_mov_b32 s0, exec_lo
	s_waitcnt lgkmcnt(0)
	s_barrier
	buffer_gl0_inv
	;; [unrolled: 14-line block ×3, first 2 shown]
	v_cmpx_gt_u16_e32 2, v8
	s_cbranch_execz .LBB237_25
; %bb.24:
	ds_load_2addr_b32 v[2:3], v1 offset1:2
	s_waitcnt lgkmcnt(0)
	v_add_nc_u32_e32 v2, v2, v3
	ds_store_b32 v1, v2
.LBB237_25:
	s_or_b32 exec_lo, exec_lo, s0
	s_mov_b32 s1, 0
	s_mov_b32 s0, 0
	s_mov_b32 s2, exec_lo
	s_waitcnt lgkmcnt(0)
	s_barrier
	buffer_gl0_inv
                                        ; implicit-def: $vgpr2
                                        ; implicit-def: $vgpr3
	v_cmpx_gt_u32_e32 30, v0
	s_xor_b32 s2, exec_lo, s2
; %bb.26:
	v_mul_u32_u24_e32 v3, 30, v0
	s_mov_b32 s0, exec_lo
	s_delay_alu instid0(VALU_DEP_1)
	v_or_b32_e32 v2, 1, v3
	v_lshlrev_b32_e32 v3, 2, v3
; %bb.27:
	s_or_b32 exec_lo, exec_lo, s2
	s_delay_alu instid0(SALU_CYCLE_1)
	s_and_b32 vcc_lo, exec_lo, s1
	s_cbranch_vccnz .LBB237_29
	s_branch .LBB237_40
.LBB237_28:
	s_mov_b32 s0, 0
                                        ; implicit-def: $vgpr2
                                        ; implicit-def: $vgpr3
	s_cbranch_execz .LBB237_40
.LBB237_29:
	s_mov_b32 s1, exec_lo
	v_cmpx_gt_u32_e32 0x1a4, v0
	s_cbranch_execz .LBB237_31
; %bb.30:
	ds_load_b32 v2, v1 offset:1920
	ds_load_b32 v3, v1
	s_waitcnt lgkmcnt(0)
	v_add_nc_u32_e32 v2, v3, v2
	ds_store_b32 v1, v2
.LBB237_31:
	s_or_b32 exec_lo, exec_lo, s1
	s_delay_alu instid0(SALU_CYCLE_1)
	s_mov_b32 s1, exec_lo
	s_waitcnt lgkmcnt(0)
	s_barrier
	buffer_gl0_inv
	v_cmpx_gt_u32_e32 0xf0, v0
	s_cbranch_execz .LBB237_33
; %bb.32:
	ds_load_2addr_b32 v[2:3], v1 offset1:240
	s_waitcnt lgkmcnt(0)
	v_add_nc_u32_e32 v2, v2, v3
	ds_store_b32 v1, v2
.LBB237_33:
	s_or_b32 exec_lo, exec_lo, s1
	s_delay_alu instid0(SALU_CYCLE_1)
	s_mov_b32 s1, exec_lo
	s_waitcnt lgkmcnt(0)
	s_barrier
	buffer_gl0_inv
	v_cmpx_gt_u32_e32 0x78, v0
	s_cbranch_execz .LBB237_35
; %bb.34:
	ds_load_2addr_b32 v[2:3], v1 offset1:120
	s_waitcnt lgkmcnt(0)
	v_add_nc_u32_e32 v2, v2, v3
	ds_store_b32 v1, v2
.LBB237_35:
	;; [unrolled: 14-line block ×3, first 2 shown]
	s_or_b32 exec_lo, exec_lo, s1
	s_delay_alu instid0(SALU_CYCLE_1)
	s_mov_b32 s1, exec_lo
	s_waitcnt lgkmcnt(0)
	buffer_gl0_inv
                                        ; implicit-def: $vgpr2
	v_cmpx_gt_u32_e32 30, v0
; %bb.38:
	v_add_nc_u32_e32 v2, 30, v0
	s_or_b32 s0, s0, exec_lo
                                        ; implicit-def: $vgpr7
; %bb.39:
	s_or_b32 exec_lo, exec_lo, s1
	v_mov_b32_e32 v3, v1
.LBB237_40:
	s_and_saveexec_b32 s1, s0
	s_cbranch_execz .LBB237_42
; %bb.41:
	v_lshlrev_b32_e32 v1, 2, v2
	ds_load_b32 v2, v3
	ds_load_b32 v1, v1
	s_waitcnt lgkmcnt(0)
	v_add_nc_u32_e32 v7, v1, v2
.LBB237_42:
	s_or_b32 exec_lo, exec_lo, s1
	s_delay_alu instid0(SALU_CYCLE_1)
	s_mov_b32 s0, exec_lo
	v_cmpx_gt_u32_e32 30, v0
	s_cbranch_execz .LBB237_46
; %bb.43:
	v_mul_lo_u32 v1, v7, s11
	s_mov_b32 s6, 0
	s_cmp_eq_u32 s3, 0
	s_mul_i32 s0, s9, 0x78
	s_mul_hi_u32 s1, s8, 0x78
	s_mul_i32 s2, s8, 0x78
	s_cbranch_scc1 .LBB237_47
; %bb.44:
	v_lshlrev_b32_e32 v4, 2, v0
	s_add_i32 s7, s1, s0
	s_add_u32 s8, s4, s2
	s_addc_u32 s9, s5, s7
	global_load_b32 v5, v4, s[8:9]
	s_waitcnt vmcnt(0)
	v_mad_u64_u32 v[2:3], null, v5, s3, v[1:2]
	global_store_b32 v4, v2, s[8:9]
	s_and_not1_b32 vcc_lo, exec_lo, s6
	s_cbranch_vccnz .LBB237_46
.LBB237_45:
	v_lshlrev_b32_e32 v0, 2, v0
	s_add_i32 s1, s1, s0
	s_add_u32 s0, s4, s2
	s_addc_u32 s1, s5, s1
	global_store_b32 v0, v1, s[0:1]
.LBB237_46:
	s_nop 0
	s_sendmsg sendmsg(MSG_DEALLOC_VGPRS)
	s_endpgm
.LBB237_47:
	s_branch .LBB237_45
	.section	.rodata,"a",@progbits
	.p2align	6, 0x0
	.amdhsa_kernel _ZN9rocsparseL20bsrxmvn_17_32_kernelILj30EillaaiEEvT2_20rocsparse_direction_NS_24const_host_device_scalarIT0_EES1_PKS1_PKT1_SA_S7_PKT3_PKT4_S5_PT5_21rocsparse_index_base_b
		.amdhsa_group_segment_fixed_size 3600
		.amdhsa_private_segment_fixed_size 0
		.amdhsa_kernarg_size 104
		.amdhsa_user_sgpr_count 15
		.amdhsa_user_sgpr_dispatch_ptr 0
		.amdhsa_user_sgpr_queue_ptr 0
		.amdhsa_user_sgpr_kernarg_segment_ptr 1
		.amdhsa_user_sgpr_dispatch_id 0
		.amdhsa_user_sgpr_private_segment_size 0
		.amdhsa_wavefront_size32 1
		.amdhsa_uses_dynamic_stack 0
		.amdhsa_enable_private_segment 0
		.amdhsa_system_sgpr_workgroup_id_x 1
		.amdhsa_system_sgpr_workgroup_id_y 0
		.amdhsa_system_sgpr_workgroup_id_z 0
		.amdhsa_system_sgpr_workgroup_info 0
		.amdhsa_system_vgpr_workitem_id 0
		.amdhsa_next_free_vgpr 15
		.amdhsa_next_free_sgpr 22
		.amdhsa_reserve_vcc 1
		.amdhsa_float_round_mode_32 0
		.amdhsa_float_round_mode_16_64 0
		.amdhsa_float_denorm_mode_32 3
		.amdhsa_float_denorm_mode_16_64 3
		.amdhsa_dx10_clamp 1
		.amdhsa_ieee_mode 1
		.amdhsa_fp16_overflow 0
		.amdhsa_workgroup_processor_mode 1
		.amdhsa_memory_ordered 1
		.amdhsa_forward_progress 0
		.amdhsa_shared_vgpr_count 0
		.amdhsa_exception_fp_ieee_invalid_op 0
		.amdhsa_exception_fp_denorm_src 0
		.amdhsa_exception_fp_ieee_div_zero 0
		.amdhsa_exception_fp_ieee_overflow 0
		.amdhsa_exception_fp_ieee_underflow 0
		.amdhsa_exception_fp_ieee_inexact 0
		.amdhsa_exception_int_div_zero 0
	.end_amdhsa_kernel
	.section	.text._ZN9rocsparseL20bsrxmvn_17_32_kernelILj30EillaaiEEvT2_20rocsparse_direction_NS_24const_host_device_scalarIT0_EES1_PKS1_PKT1_SA_S7_PKT3_PKT4_S5_PT5_21rocsparse_index_base_b,"axG",@progbits,_ZN9rocsparseL20bsrxmvn_17_32_kernelILj30EillaaiEEvT2_20rocsparse_direction_NS_24const_host_device_scalarIT0_EES1_PKS1_PKT1_SA_S7_PKT3_PKT4_S5_PT5_21rocsparse_index_base_b,comdat
.Lfunc_end237:
	.size	_ZN9rocsparseL20bsrxmvn_17_32_kernelILj30EillaaiEEvT2_20rocsparse_direction_NS_24const_host_device_scalarIT0_EES1_PKS1_PKT1_SA_S7_PKT3_PKT4_S5_PT5_21rocsparse_index_base_b, .Lfunc_end237-_ZN9rocsparseL20bsrxmvn_17_32_kernelILj30EillaaiEEvT2_20rocsparse_direction_NS_24const_host_device_scalarIT0_EES1_PKS1_PKT1_SA_S7_PKT3_PKT4_S5_PT5_21rocsparse_index_base_b
                                        ; -- End function
	.section	.AMDGPU.csdata,"",@progbits
; Kernel info:
; codeLenInByte = 1648
; NumSgprs: 24
; NumVgprs: 15
; ScratchSize: 0
; MemoryBound: 0
; FloatMode: 240
; IeeeMode: 1
; LDSByteSize: 3600 bytes/workgroup (compile time only)
; SGPRBlocks: 2
; VGPRBlocks: 1
; NumSGPRsForWavesPerEU: 24
; NumVGPRsForWavesPerEU: 15
; Occupancy: 15
; WaveLimiterHint : 1
; COMPUTE_PGM_RSRC2:SCRATCH_EN: 0
; COMPUTE_PGM_RSRC2:USER_SGPR: 15
; COMPUTE_PGM_RSRC2:TRAP_HANDLER: 0
; COMPUTE_PGM_RSRC2:TGID_X_EN: 1
; COMPUTE_PGM_RSRC2:TGID_Y_EN: 0
; COMPUTE_PGM_RSRC2:TGID_Z_EN: 0
; COMPUTE_PGM_RSRC2:TIDIG_COMP_CNT: 0
	.section	.text._ZN9rocsparseL20bsrxmvn_17_32_kernelILj31EillaaiEEvT2_20rocsparse_direction_NS_24const_host_device_scalarIT0_EES1_PKS1_PKT1_SA_S7_PKT3_PKT4_S5_PT5_21rocsparse_index_base_b,"axG",@progbits,_ZN9rocsparseL20bsrxmvn_17_32_kernelILj31EillaaiEEvT2_20rocsparse_direction_NS_24const_host_device_scalarIT0_EES1_PKS1_PKT1_SA_S7_PKT3_PKT4_S5_PT5_21rocsparse_index_base_b,comdat
	.globl	_ZN9rocsparseL20bsrxmvn_17_32_kernelILj31EillaaiEEvT2_20rocsparse_direction_NS_24const_host_device_scalarIT0_EES1_PKS1_PKT1_SA_S7_PKT3_PKT4_S5_PT5_21rocsparse_index_base_b ; -- Begin function _ZN9rocsparseL20bsrxmvn_17_32_kernelILj31EillaaiEEvT2_20rocsparse_direction_NS_24const_host_device_scalarIT0_EES1_PKS1_PKT1_SA_S7_PKT3_PKT4_S5_PT5_21rocsparse_index_base_b
	.p2align	8
	.type	_ZN9rocsparseL20bsrxmvn_17_32_kernelILj31EillaaiEEvT2_20rocsparse_direction_NS_24const_host_device_scalarIT0_EES1_PKS1_PKT1_SA_S7_PKT3_PKT4_S5_PT5_21rocsparse_index_base_b,@function
_ZN9rocsparseL20bsrxmvn_17_32_kernelILj31EillaaiEEvT2_20rocsparse_direction_NS_24const_host_device_scalarIT0_EES1_PKS1_PKT1_SA_S7_PKT3_PKT4_S5_PT5_21rocsparse_index_base_b: ; @_ZN9rocsparseL20bsrxmvn_17_32_kernelILj31EillaaiEEvT2_20rocsparse_direction_NS_24const_host_device_scalarIT0_EES1_PKS1_PKT1_SA_S7_PKT3_PKT4_S5_PT5_21rocsparse_index_base_b
; %bb.0:
	s_clause 0x1
	s_load_b64 s[10:11], s[0:1], 0x60
	s_load_b64 s[4:5], s[0:1], 0x10
	s_mov_b32 s8, s15
	s_mov_b32 s7, -1
	s_waitcnt lgkmcnt(0)
	s_bitcmp1_b32 s11, 0
                                        ; implicit-def: $sgpr11
	s_cselect_b32 s2, -1, 0
	s_delay_alu instid0(SALU_CYCLE_1) | instskip(NEXT) | instid1(SALU_CYCLE_1)
	s_xor_b32 s6, s2, -1
	s_and_b32 vcc_lo, exec_lo, s6
	s_cbranch_vccnz .LBB238_4
; %bb.1:
	s_load_b64 s[2:3], s[0:1], 0x50
	s_and_not1_b32 vcc_lo, exec_lo, s7
	s_cbranch_vccz .LBB238_5
.LBB238_2:
	s_and_b32 vcc_lo, exec_lo, s6
	s_cbranch_vccz .LBB238_6
.LBB238_3:
	s_waitcnt lgkmcnt(0)
	s_load_b32 s3, s[2:3], 0x0
	s_cbranch_execz .LBB238_7
	s_branch .LBB238_8
.LBB238_4:
	s_load_b32 s11, s[4:5], 0x0
	s_load_b64 s[2:3], s[0:1], 0x50
	s_cbranch_execnz .LBB238_2
.LBB238_5:
	s_waitcnt lgkmcnt(0)
	s_mov_b32 s11, s4
	s_and_b32 vcc_lo, exec_lo, s6
	s_cbranch_vccnz .LBB238_3
.LBB238_6:
                                        ; implicit-def: $sgpr3
.LBB238_7:
	s_waitcnt lgkmcnt(0)
	s_mov_b32 s3, s2
.LBB238_8:
	s_waitcnt lgkmcnt(0)
	s_cmp_lg_u32 s11, 0
	s_mov_b32 s9, 0
	s_cselect_b32 s2, -1, 0
	s_cmp_lg_u32 s3, 1
	s_cselect_b32 s4, -1, 0
	s_delay_alu instid0(SALU_CYCLE_1) | instskip(NEXT) | instid1(SALU_CYCLE_1)
	s_or_b32 s2, s2, s4
	s_and_not1_b32 vcc_lo, exec_lo, s2
	s_cbranch_vccnz .LBB238_46
; %bb.9:
	s_clause 0x1
	s_load_b128 s[4:7], s[0:1], 0x20
	s_load_b64 s[12:13], s[0:1], 0x30
	s_waitcnt lgkmcnt(0)
	s_cmp_eq_u64 s[4:5], 0
	s_cbranch_scc1 .LBB238_11
; %bb.10:
	s_lshl_b64 s[8:9], s[8:9], 3
	s_delay_alu instid0(SALU_CYCLE_1)
	s_add_u32 s4, s4, s8
	s_addc_u32 s5, s5, s9
	s_load_b64 s[4:5], s[4:5], 0x0
	s_waitcnt lgkmcnt(0)
	s_sub_u32 s8, s4, s10
	s_subb_u32 s9, s5, 0
.LBB238_11:
	s_load_b32 s4, s[0:1], 0x8
	v_mul_u32_u24_e32 v1, 0x843, v0
	v_mov_b32_e32 v7, 0
	s_delay_alu instid0(VALU_DEP_2) | instskip(NEXT) | instid1(VALU_DEP_1)
	v_lshrrev_b32_e32 v1, 16, v1
	v_mul_lo_u16 v2, v1, 31
	s_delay_alu instid0(VALU_DEP_1)
	v_sub_nc_u16 v8, v0, v2
	s_waitcnt lgkmcnt(0)
	s_cmp_eq_u32 s4, 1
	s_cselect_b32 s2, -1, 0
	s_cmp_lg_u32 s4, 1
	s_cselect_b32 s14, -1, 0
	s_lshl_b64 s[4:5], s[8:9], 3
	s_delay_alu instid0(SALU_CYCLE_1)
	s_add_u32 s6, s6, s4
	s_addc_u32 s7, s7, s5
	s_add_u32 s15, s6, 8
	s_addc_u32 s16, s7, 0
	;; [unrolled: 2-line block ×3, first 2 shown]
	s_cmp_eq_u64 s[12:13], 0
	s_cselect_b32 s5, s16, s5
	s_cselect_b32 s4, s15, s4
	s_load_b64 s[12:13], s[6:7], 0x0
	s_load_b64 s[6:7], s[4:5], 0x0
	s_load_b64 s[4:5], s[0:1], 0x58
	s_waitcnt lgkmcnt(0)
	v_cmp_ge_i64_e64 s15, s[12:13], s[6:7]
	s_delay_alu instid0(VALU_DEP_1)
	s_and_b32 vcc_lo, exec_lo, s15
	s_cbranch_vccnz .LBB238_16
; %bb.12:
	v_and_b32_e32 v1, 0xffff, v1
	v_cmp_gt_u32_e32 vcc_lo, 0x3c1, v0
	v_and_b32_e32 v3, 0xffff, v8
	s_clause 0x1
	s_load_b64 s[20:21], s[0:1], 0x48
	s_load_b128 s[16:19], s[0:1], 0x38
	v_subrev_nc_u32_e32 v2, 31, v1
	s_sub_u32 s0, s6, s10
	s_subb_u32 s1, s7, 0
	s_sub_u32 s6, s12, s10
	s_subb_u32 s7, s13, 0
	v_cndmask_b32_e32 v1, v2, v1, vcc_lo
	v_cmp_lt_u32_e32 vcc_lo, 0x3c0, v0
	v_mov_b32_e32 v7, 0
	s_delay_alu instid0(VALU_DEP_3) | instskip(SKIP_2) | instid1(VALU_DEP_1)
	v_cndmask_b32_e64 v1, v3, v1, s2
	v_cndmask_b32_e64 v9, 0, 1, vcc_lo
	s_mul_i32 s2, s7, 0x3c1
	v_add_co_u32 v3, s12, s12, v9
	s_delay_alu instid0(VALU_DEP_1) | instskip(SKIP_1) | instid1(VALU_DEP_2)
	v_add_co_ci_u32_e64 v4, null, s13, 0, s12
	s_mul_hi_u32 s12, s6, 0x3c1
	v_sub_co_u32 v3, vcc_lo, v3, s10
	s_delay_alu instid0(VALU_DEP_2)
	v_subrev_co_ci_u32_e32 v4, vcc_lo, 0, v4, vcc_lo
	s_mul_i32 s13, s6, 0x3c1
	s_add_i32 s12, s12, s2
	s_waitcnt lgkmcnt(0)
	s_add_u32 s2, s18, s13
	v_lshlrev_b64 v[5:6], 3, v[3:4]
	v_add_co_u32 v1, s15, s20, v1
	s_addc_u32 s12, s19, s12
	v_add_co_u32 v3, s2, s2, v0
	s_delay_alu instid0(VALU_DEP_3)
	v_add_co_u32 v5, vcc_lo, s16, v5
	v_add_co_ci_u32_e64 v2, null, s21, 0, s15
	v_add_co_ci_u32_e64 v4, null, s12, 0, s2
	v_add_co_ci_u32_e32 v6, vcc_lo, s17, v6, vcc_lo
	s_set_inst_prefetch_distance 0x1
	s_branch .LBB238_14
	.p2align	6
.LBB238_13:                             ;   in Loop: Header=BB238_14 Depth=1
	s_or_b32 exec_lo, exec_lo, s2
	s_add_u32 s6, s6, 1
	s_addc_u32 s7, s7, 0
	v_add_co_u32 v5, vcc_lo, v5, 8
	v_cmp_lt_i64_e64 s2, s[6:7], s[0:1]
	v_add_co_ci_u32_e32 v6, vcc_lo, 0, v6, vcc_lo
	s_delay_alu instid0(VALU_DEP_2)
	s_and_b32 vcc_lo, exec_lo, s2
	s_cbranch_vccz .LBB238_16
.LBB238_14:                             ; =>This Inner Loop Header: Depth=1
	v_add_co_u32 v10, s2, v9, s6
	s_delay_alu instid0(VALU_DEP_1) | instskip(SKIP_1) | instid1(VALU_DEP_1)
	v_add_co_ci_u32_e64 v11, null, 0, s7, s2
	s_mov_b32 s2, exec_lo
	v_cmpx_gt_i64_e64 s[0:1], v[10:11]
	s_cbranch_execz .LBB238_13
; %bb.15:                               ;   in Loop: Header=BB238_14 Depth=1
	global_load_b64 v[10:11], v[5:6], off
	s_waitcnt vmcnt(0)
	v_sub_co_u32 v12, vcc_lo, v10, s10
	v_subrev_co_ci_u32_e32 v14, vcc_lo, 0, v11, vcc_lo
	s_delay_alu instid0(VALU_DEP_2) | instskip(NEXT) | instid1(VALU_DEP_1)
	v_mad_u64_u32 v[10:11], null, v12, 31, v[1:2]
	v_mad_u64_u32 v[12:13], null, v14, 31, v[11:12]
	s_delay_alu instid0(VALU_DEP_1)
	v_mov_b32_e32 v11, v12
	global_load_i8 v12, v[3:4], off
	global_load_i8 v10, v[10:11], off
	v_add_co_u32 v3, vcc_lo, 0x3c1, v3
	v_add_co_ci_u32_e32 v4, vcc_lo, 0, v4, vcc_lo
	s_waitcnt vmcnt(0)
	v_mad_i32_i24 v7, v10, v12, v7
	s_branch .LBB238_13
.LBB238_16:
	s_set_inst_prefetch_distance 0x2
	v_lshlrev_b32_e32 v1, 2, v0
	s_and_b32 vcc_lo, exec_lo, s14
	ds_store_b32 v1, v7
	s_waitcnt lgkmcnt(0)
	s_barrier
	buffer_gl0_inv
	s_cbranch_vccz .LBB238_28
; %bb.17:
	s_mov_b32 s0, exec_lo
	v_cmpx_gt_u16_e32 15, v8
	s_cbranch_execz .LBB238_19
; %bb.18:
	ds_load_2addr_b32 v[2:3], v1 offset1:16
	s_waitcnt lgkmcnt(0)
	v_add_nc_u32_e32 v2, v2, v3
	ds_store_b32 v1, v2
.LBB238_19:
	s_or_b32 exec_lo, exec_lo, s0
	s_delay_alu instid0(SALU_CYCLE_1)
	s_mov_b32 s0, exec_lo
	s_waitcnt lgkmcnt(0)
	s_barrier
	buffer_gl0_inv
	v_cmpx_gt_u16_e32 8, v8
	s_cbranch_execz .LBB238_21
; %bb.20:
	ds_load_2addr_b32 v[2:3], v1 offset1:8
	s_waitcnt lgkmcnt(0)
	v_add_nc_u32_e32 v2, v2, v3
	ds_store_b32 v1, v2
.LBB238_21:
	s_or_b32 exec_lo, exec_lo, s0
	s_delay_alu instid0(SALU_CYCLE_1)
	s_mov_b32 s0, exec_lo
	s_waitcnt lgkmcnt(0)
	s_barrier
	buffer_gl0_inv
	;; [unrolled: 14-line block ×3, first 2 shown]
	v_cmpx_gt_u16_e32 2, v8
	s_cbranch_execz .LBB238_25
; %bb.24:
	ds_load_2addr_b32 v[2:3], v1 offset1:2
	s_waitcnt lgkmcnt(0)
	v_add_nc_u32_e32 v2, v2, v3
	ds_store_b32 v1, v2
.LBB238_25:
	s_or_b32 exec_lo, exec_lo, s0
	s_mov_b32 s1, 0
	s_mov_b32 s0, 0
	s_mov_b32 s2, exec_lo
	s_waitcnt lgkmcnt(0)
	s_barrier
	buffer_gl0_inv
                                        ; implicit-def: $vgpr2
                                        ; implicit-def: $vgpr3
	v_cmpx_gt_u32_e32 31, v0
	s_xor_b32 s2, exec_lo, s2
; %bb.26:
	v_mul_u32_u24_e32 v3, 31, v0
	v_mad_u32_u24 v2, v0, 31, 1
	s_mov_b32 s0, exec_lo
	s_delay_alu instid0(VALU_DEP_2)
	v_lshlrev_b32_e32 v3, 2, v3
; %bb.27:
	s_or_b32 exec_lo, exec_lo, s2
	s_delay_alu instid0(SALU_CYCLE_1)
	s_and_b32 vcc_lo, exec_lo, s1
	s_cbranch_vccnz .LBB238_29
	s_branch .LBB238_40
.LBB238_28:
	s_mov_b32 s0, 0
                                        ; implicit-def: $vgpr2
                                        ; implicit-def: $vgpr3
	s_cbranch_execz .LBB238_40
.LBB238_29:
	s_mov_b32 s1, exec_lo
	v_cmpx_gt_u32_e32 0x1d1, v0
	s_cbranch_execz .LBB238_31
; %bb.30:
	ds_load_b32 v2, v1 offset:1984
	ds_load_b32 v3, v1
	s_waitcnt lgkmcnt(0)
	v_add_nc_u32_e32 v2, v3, v2
	ds_store_b32 v1, v2
.LBB238_31:
	s_or_b32 exec_lo, exec_lo, s1
	s_delay_alu instid0(SALU_CYCLE_1)
	s_mov_b32 s1, exec_lo
	s_waitcnt lgkmcnt(0)
	s_barrier
	buffer_gl0_inv
	v_cmpx_gt_u32_e32 0xf8, v0
	s_cbranch_execz .LBB238_33
; %bb.32:
	ds_load_2addr_b32 v[2:3], v1 offset1:248
	s_waitcnt lgkmcnt(0)
	v_add_nc_u32_e32 v2, v2, v3
	ds_store_b32 v1, v2
.LBB238_33:
	s_or_b32 exec_lo, exec_lo, s1
	s_delay_alu instid0(SALU_CYCLE_1)
	s_mov_b32 s1, exec_lo
	s_waitcnt lgkmcnt(0)
	s_barrier
	buffer_gl0_inv
	v_cmpx_gt_u32_e32 0x7c, v0
	s_cbranch_execz .LBB238_35
; %bb.34:
	ds_load_2addr_b32 v[2:3], v1 offset1:124
	s_waitcnt lgkmcnt(0)
	v_add_nc_u32_e32 v2, v2, v3
	ds_store_b32 v1, v2
.LBB238_35:
	;; [unrolled: 14-line block ×3, first 2 shown]
	s_or_b32 exec_lo, exec_lo, s1
	s_delay_alu instid0(SALU_CYCLE_1)
	s_mov_b32 s1, exec_lo
	s_waitcnt lgkmcnt(0)
	buffer_gl0_inv
                                        ; implicit-def: $vgpr2
	v_cmpx_gt_u32_e32 31, v0
; %bb.38:
	v_add_nc_u32_e32 v2, 31, v0
	s_or_b32 s0, s0, exec_lo
                                        ; implicit-def: $vgpr7
; %bb.39:
	s_or_b32 exec_lo, exec_lo, s1
	v_mov_b32_e32 v3, v1
.LBB238_40:
	s_and_saveexec_b32 s1, s0
	s_cbranch_execz .LBB238_42
; %bb.41:
	v_lshlrev_b32_e32 v1, 2, v2
	ds_load_b32 v2, v3
	ds_load_b32 v1, v1
	s_waitcnt lgkmcnt(0)
	v_add_nc_u32_e32 v7, v1, v2
.LBB238_42:
	s_or_b32 exec_lo, exec_lo, s1
	s_delay_alu instid0(SALU_CYCLE_1)
	s_mov_b32 s0, exec_lo
	v_cmpx_gt_u32_e32 31, v0
	s_cbranch_execz .LBB238_46
; %bb.43:
	v_mul_lo_u32 v1, v7, s11
	s_mov_b32 s6, 0
	s_cmp_eq_u32 s3, 0
	s_mul_i32 s0, s9, 0x7c
	s_mul_hi_u32 s1, s8, 0x7c
	s_mul_i32 s2, s8, 0x7c
	s_cbranch_scc1 .LBB238_47
; %bb.44:
	v_lshlrev_b32_e32 v4, 2, v0
	s_add_i32 s7, s1, s0
	s_add_u32 s8, s4, s2
	s_addc_u32 s9, s5, s7
	global_load_b32 v5, v4, s[8:9]
	s_waitcnt vmcnt(0)
	v_mad_u64_u32 v[2:3], null, v5, s3, v[1:2]
	global_store_b32 v4, v2, s[8:9]
	s_and_not1_b32 vcc_lo, exec_lo, s6
	s_cbranch_vccnz .LBB238_46
.LBB238_45:
	v_lshlrev_b32_e32 v0, 2, v0
	s_add_i32 s1, s1, s0
	s_add_u32 s0, s4, s2
	s_addc_u32 s1, s5, s1
	global_store_b32 v0, v1, s[0:1]
.LBB238_46:
	s_nop 0
	s_sendmsg sendmsg(MSG_DEALLOC_VGPRS)
	s_endpgm
.LBB238_47:
	s_branch .LBB238_45
	.section	.rodata,"a",@progbits
	.p2align	6, 0x0
	.amdhsa_kernel _ZN9rocsparseL20bsrxmvn_17_32_kernelILj31EillaaiEEvT2_20rocsparse_direction_NS_24const_host_device_scalarIT0_EES1_PKS1_PKT1_SA_S7_PKT3_PKT4_S5_PT5_21rocsparse_index_base_b
		.amdhsa_group_segment_fixed_size 3844
		.amdhsa_private_segment_fixed_size 0
		.amdhsa_kernarg_size 104
		.amdhsa_user_sgpr_count 15
		.amdhsa_user_sgpr_dispatch_ptr 0
		.amdhsa_user_sgpr_queue_ptr 0
		.amdhsa_user_sgpr_kernarg_segment_ptr 1
		.amdhsa_user_sgpr_dispatch_id 0
		.amdhsa_user_sgpr_private_segment_size 0
		.amdhsa_wavefront_size32 1
		.amdhsa_uses_dynamic_stack 0
		.amdhsa_enable_private_segment 0
		.amdhsa_system_sgpr_workgroup_id_x 1
		.amdhsa_system_sgpr_workgroup_id_y 0
		.amdhsa_system_sgpr_workgroup_id_z 0
		.amdhsa_system_sgpr_workgroup_info 0
		.amdhsa_system_vgpr_workitem_id 0
		.amdhsa_next_free_vgpr 15
		.amdhsa_next_free_sgpr 22
		.amdhsa_reserve_vcc 1
		.amdhsa_float_round_mode_32 0
		.amdhsa_float_round_mode_16_64 0
		.amdhsa_float_denorm_mode_32 3
		.amdhsa_float_denorm_mode_16_64 3
		.amdhsa_dx10_clamp 1
		.amdhsa_ieee_mode 1
		.amdhsa_fp16_overflow 0
		.amdhsa_workgroup_processor_mode 1
		.amdhsa_memory_ordered 1
		.amdhsa_forward_progress 0
		.amdhsa_shared_vgpr_count 0
		.amdhsa_exception_fp_ieee_invalid_op 0
		.amdhsa_exception_fp_denorm_src 0
		.amdhsa_exception_fp_ieee_div_zero 0
		.amdhsa_exception_fp_ieee_overflow 0
		.amdhsa_exception_fp_ieee_underflow 0
		.amdhsa_exception_fp_ieee_inexact 0
		.amdhsa_exception_int_div_zero 0
	.end_amdhsa_kernel
	.section	.text._ZN9rocsparseL20bsrxmvn_17_32_kernelILj31EillaaiEEvT2_20rocsparse_direction_NS_24const_host_device_scalarIT0_EES1_PKS1_PKT1_SA_S7_PKT3_PKT4_S5_PT5_21rocsparse_index_base_b,"axG",@progbits,_ZN9rocsparseL20bsrxmvn_17_32_kernelILj31EillaaiEEvT2_20rocsparse_direction_NS_24const_host_device_scalarIT0_EES1_PKS1_PKT1_SA_S7_PKT3_PKT4_S5_PT5_21rocsparse_index_base_b,comdat
.Lfunc_end238:
	.size	_ZN9rocsparseL20bsrxmvn_17_32_kernelILj31EillaaiEEvT2_20rocsparse_direction_NS_24const_host_device_scalarIT0_EES1_PKS1_PKT1_SA_S7_PKT3_PKT4_S5_PT5_21rocsparse_index_base_b, .Lfunc_end238-_ZN9rocsparseL20bsrxmvn_17_32_kernelILj31EillaaiEEvT2_20rocsparse_direction_NS_24const_host_device_scalarIT0_EES1_PKS1_PKT1_SA_S7_PKT3_PKT4_S5_PT5_21rocsparse_index_base_b
                                        ; -- End function
	.section	.AMDGPU.csdata,"",@progbits
; Kernel info:
; codeLenInByte = 1652
; NumSgprs: 24
; NumVgprs: 15
; ScratchSize: 0
; MemoryBound: 0
; FloatMode: 240
; IeeeMode: 1
; LDSByteSize: 3844 bytes/workgroup (compile time only)
; SGPRBlocks: 2
; VGPRBlocks: 1
; NumSGPRsForWavesPerEU: 24
; NumVGPRsForWavesPerEU: 15
; Occupancy: 16
; WaveLimiterHint : 1
; COMPUTE_PGM_RSRC2:SCRATCH_EN: 0
; COMPUTE_PGM_RSRC2:USER_SGPR: 15
; COMPUTE_PGM_RSRC2:TRAP_HANDLER: 0
; COMPUTE_PGM_RSRC2:TGID_X_EN: 1
; COMPUTE_PGM_RSRC2:TGID_Y_EN: 0
; COMPUTE_PGM_RSRC2:TGID_Z_EN: 0
; COMPUTE_PGM_RSRC2:TIDIG_COMP_CNT: 0
	.section	.text._ZN9rocsparseL20bsrxmvn_17_32_kernelILj32EillaaiEEvT2_20rocsparse_direction_NS_24const_host_device_scalarIT0_EES1_PKS1_PKT1_SA_S7_PKT3_PKT4_S5_PT5_21rocsparse_index_base_b,"axG",@progbits,_ZN9rocsparseL20bsrxmvn_17_32_kernelILj32EillaaiEEvT2_20rocsparse_direction_NS_24const_host_device_scalarIT0_EES1_PKS1_PKT1_SA_S7_PKT3_PKT4_S5_PT5_21rocsparse_index_base_b,comdat
	.globl	_ZN9rocsparseL20bsrxmvn_17_32_kernelILj32EillaaiEEvT2_20rocsparse_direction_NS_24const_host_device_scalarIT0_EES1_PKS1_PKT1_SA_S7_PKT3_PKT4_S5_PT5_21rocsparse_index_base_b ; -- Begin function _ZN9rocsparseL20bsrxmvn_17_32_kernelILj32EillaaiEEvT2_20rocsparse_direction_NS_24const_host_device_scalarIT0_EES1_PKS1_PKT1_SA_S7_PKT3_PKT4_S5_PT5_21rocsparse_index_base_b
	.p2align	8
	.type	_ZN9rocsparseL20bsrxmvn_17_32_kernelILj32EillaaiEEvT2_20rocsparse_direction_NS_24const_host_device_scalarIT0_EES1_PKS1_PKT1_SA_S7_PKT3_PKT4_S5_PT5_21rocsparse_index_base_b,@function
_ZN9rocsparseL20bsrxmvn_17_32_kernelILj32EillaaiEEvT2_20rocsparse_direction_NS_24const_host_device_scalarIT0_EES1_PKS1_PKT1_SA_S7_PKT3_PKT4_S5_PT5_21rocsparse_index_base_b: ; @_ZN9rocsparseL20bsrxmvn_17_32_kernelILj32EillaaiEEvT2_20rocsparse_direction_NS_24const_host_device_scalarIT0_EES1_PKS1_PKT1_SA_S7_PKT3_PKT4_S5_PT5_21rocsparse_index_base_b
; %bb.0:
	s_clause 0x1
	s_load_b64 s[10:11], s[0:1], 0x60
	s_load_b64 s[4:5], s[0:1], 0x10
	s_mov_b32 s8, s15
	s_mov_b32 s7, -1
                                        ; implicit-def: $sgpr14
	s_waitcnt lgkmcnt(0)
	s_bitcmp1_b32 s11, 0
	s_cselect_b32 s2, -1, 0
	s_delay_alu instid0(SALU_CYCLE_1) | instskip(NEXT) | instid1(SALU_CYCLE_1)
	s_xor_b32 s6, s2, -1
	s_and_b32 vcc_lo, exec_lo, s6
	s_cbranch_vccnz .LBB239_4
; %bb.1:
	s_load_b64 s[2:3], s[0:1], 0x50
	s_and_not1_b32 vcc_lo, exec_lo, s7
	s_cbranch_vccz .LBB239_5
.LBB239_2:
	s_and_b32 vcc_lo, exec_lo, s6
	s_cbranch_vccz .LBB239_6
.LBB239_3:
	s_waitcnt lgkmcnt(0)
	s_load_b32 s15, s[2:3], 0x0
	s_cbranch_execz .LBB239_7
	s_branch .LBB239_8
.LBB239_4:
	s_load_b32 s14, s[4:5], 0x0
	s_load_b64 s[2:3], s[0:1], 0x50
	s_cbranch_execnz .LBB239_2
.LBB239_5:
	s_waitcnt lgkmcnt(0)
	s_mov_b32 s14, s4
	s_and_b32 vcc_lo, exec_lo, s6
	s_cbranch_vccnz .LBB239_3
.LBB239_6:
	s_waitcnt lgkmcnt(0)
                                        ; implicit-def: $sgpr15
.LBB239_7:
	s_waitcnt lgkmcnt(0)
	s_mov_b32 s15, s2
.LBB239_8:
	s_cmp_lg_u32 s14, 0
	s_mov_b32 s9, 0
	s_cselect_b32 s2, -1, 0
	s_waitcnt lgkmcnt(0)
	s_cmp_lg_u32 s15, 1
	s_cselect_b32 s3, -1, 0
	s_delay_alu instid0(SALU_CYCLE_1) | instskip(NEXT) | instid1(SALU_CYCLE_1)
	s_or_b32 s2, s2, s3
	s_and_not1_b32 vcc_lo, exec_lo, s2
	s_cbranch_vccnz .LBB239_44
; %bb.9:
	s_clause 0x1
	s_load_b128 s[4:7], s[0:1], 0x20
	s_load_b64 s[12:13], s[0:1], 0x30
	s_mov_b32 s11, s9
	s_waitcnt lgkmcnt(0)
	s_cmp_eq_u64 s[4:5], 0
	s_cbranch_scc1 .LBB239_11
; %bb.10:
	s_lshl_b64 s[2:3], s[8:9], 3
	s_delay_alu instid0(SALU_CYCLE_1)
	s_add_u32 s2, s4, s2
	s_addc_u32 s3, s5, s3
	s_load_b64 s[2:3], s[2:3], 0x0
	s_waitcnt lgkmcnt(0)
	s_sub_u32 s8, s2, s10
	s_subb_u32 s9, s3, 0
.LBB239_11:
	s_load_b32 s3, s[0:1], 0x8
	v_dual_mov_b32 v3, 0 :: v_dual_and_b32 v4, 31, v0
	s_waitcnt lgkmcnt(0)
	s_cmp_eq_u32 s3, 1
	s_cselect_b32 s2, -1, 0
	s_cmp_lg_u32 s3, 1
	s_cselect_b32 s16, -1, 0
	s_lshl_b64 s[4:5], s[8:9], 3
	s_delay_alu instid0(SALU_CYCLE_1)
	s_add_u32 s6, s6, s4
	s_addc_u32 s7, s7, s5
	s_add_u32 s3, s6, 8
	s_addc_u32 s17, s7, 0
	;; [unrolled: 2-line block ×3, first 2 shown]
	s_cmp_eq_u64 s[12:13], 0
	s_cselect_b32 s5, s17, s5
	s_cselect_b32 s4, s3, s4
	s_load_b64 s[12:13], s[6:7], 0x0
	s_load_b64 s[6:7], s[4:5], 0x0
	;; [unrolled: 1-line block ×3, first 2 shown]
	s_waitcnt lgkmcnt(0)
	v_cmp_ge_i64_e64 s3, s[12:13], s[6:7]
	s_delay_alu instid0(VALU_DEP_1)
	s_and_b32 vcc_lo, exec_lo, s3
	s_cbranch_vccnz .LBB239_14
; %bb.12:
	s_clause 0x1
	s_load_b64 s[18:19], s[0:1], 0x48
	s_load_b128 s[20:23], s[0:1], 0x38
	v_lshrrev_b32_e32 v1, 5, v0
	s_sub_u32 s0, s6, s10
	s_subb_u32 s1, s7, 0
	s_sub_u32 s6, s12, s10
	s_subb_u32 s7, s13, 0
	v_cndmask_b32_e64 v1, v4, v1, s2
	s_lshl_b64 s[2:3], s[6:7], 10
	s_lshl_b64 s[12:13], s[12:13], 3
	v_or_b32_e32 v2, s2, v0
	v_mov_b32_e32 v7, s3
	s_lshl_b64 s[24:25], s[10:11], 3
	v_mov_b32_e32 v3, 0
	s_waitcnt lgkmcnt(0)
	v_add_co_u32 v5, s2, s18, v1
	v_add_co_u32 v1, vcc_lo, s22, v2
	v_add_co_ci_u32_e64 v6, null, s19, 0, s2
	v_add_co_ci_u32_e32 v2, vcc_lo, s23, v7, vcc_lo
	s_sub_u32 s2, s12, s24
	s_subb_u32 s3, s13, s25
	s_add_u32 s2, s20, s2
	s_addc_u32 s3, s21, s3
	.p2align	6
.LBB239_13:                             ; =>This Inner Loop Header: Depth=1
	s_load_b64 s[12:13], s[2:3], 0x0
	s_waitcnt lgkmcnt(0)
	s_sub_u32 s12, s12, s10
	s_subb_u32 s13, s13, 0
	s_delay_alu instid0(SALU_CYCLE_1)
	s_lshl_b64 s[12:13], s[12:13], 5
	s_add_u32 s6, s6, 1
	v_add_co_u32 v7, vcc_lo, v5, s12
	v_add_co_ci_u32_e32 v8, vcc_lo, s13, v6, vcc_lo
	s_addc_u32 s7, s7, 0
	s_add_u32 s2, s2, 8
	global_load_i8 v9, v[1:2], off
	global_load_i8 v7, v[7:8], off
	v_cmp_lt_i64_e64 s11, s[6:7], s[0:1]
	v_add_co_u32 v1, vcc_lo, 0x400, v1
	v_add_co_ci_u32_e32 v2, vcc_lo, 0, v2, vcc_lo
	s_addc_u32 s3, s3, 0
	s_delay_alu instid0(VALU_DEP_3)
	s_and_b32 vcc_lo, exec_lo, s11
	s_waitcnt vmcnt(0)
	v_mad_i32_i24 v3, v7, v9, v3
	s_cbranch_vccnz .LBB239_13
.LBB239_14:
	v_lshlrev_b32_e32 v1, 2, v0
	s_and_b32 vcc_lo, exec_lo, s16
	ds_store_b32 v1, v3
	s_waitcnt lgkmcnt(0)
	s_barrier
	buffer_gl0_inv
	s_cbranch_vccz .LBB239_26
; %bb.15:
	s_mov_b32 s0, exec_lo
	v_cmpx_gt_u32_e32 16, v4
	s_cbranch_execz .LBB239_17
; %bb.16:
	ds_load_2addr_b32 v[5:6], v1 offset1:16
	s_waitcnt lgkmcnt(0)
	v_add_nc_u32_e32 v2, v5, v6
	ds_store_b32 v1, v2
.LBB239_17:
	s_or_b32 exec_lo, exec_lo, s0
	s_delay_alu instid0(SALU_CYCLE_1)
	s_mov_b32 s0, exec_lo
	s_waitcnt lgkmcnt(0)
	s_barrier
	buffer_gl0_inv
	v_cmpx_gt_u32_e32 8, v4
	s_cbranch_execz .LBB239_19
; %bb.18:
	ds_load_2addr_b32 v[5:6], v1 offset1:8
	s_waitcnt lgkmcnt(0)
	v_add_nc_u32_e32 v2, v5, v6
	ds_store_b32 v1, v2
.LBB239_19:
	s_or_b32 exec_lo, exec_lo, s0
	s_delay_alu instid0(SALU_CYCLE_1)
	s_mov_b32 s0, exec_lo
	s_waitcnt lgkmcnt(0)
	s_barrier
	buffer_gl0_inv
	;; [unrolled: 14-line block ×3, first 2 shown]
	v_cmpx_gt_u32_e32 2, v4
	s_cbranch_execz .LBB239_23
; %bb.22:
	ds_load_2addr_b32 v[4:5], v1 offset1:2
	s_waitcnt lgkmcnt(0)
	v_add_nc_u32_e32 v2, v4, v5
	ds_store_b32 v1, v2
.LBB239_23:
	s_or_b32 exec_lo, exec_lo, s0
	s_mov_b32 s1, 0
	s_mov_b32 s0, 0
	s_mov_b32 s2, exec_lo
	s_waitcnt lgkmcnt(0)
	s_barrier
	buffer_gl0_inv
                                        ; implicit-def: $vgpr2
                                        ; implicit-def: $vgpr4
	v_cmpx_gt_u32_e32 32, v0
	s_xor_b32 s2, exec_lo, s2
; %bb.24:
	v_lshl_or_b32 v2, v0, 5, 1
	v_lshlrev_b32_e32 v4, 7, v0
	s_mov_b32 s0, exec_lo
; %bb.25:
	s_or_b32 exec_lo, exec_lo, s2
	s_delay_alu instid0(SALU_CYCLE_1)
	s_and_b32 vcc_lo, exec_lo, s1
	s_cbranch_vccnz .LBB239_27
	s_branch .LBB239_38
.LBB239_26:
	s_mov_b32 s0, 0
                                        ; implicit-def: $vgpr2
                                        ; implicit-def: $vgpr4
	s_cbranch_execz .LBB239_38
.LBB239_27:
	s_mov_b32 s1, exec_lo
	v_cmpx_gt_u32_e32 0x200, v0
	s_cbranch_execz .LBB239_29
; %bb.28:
	ds_load_2addr_stride64_b32 v[4:5], v1 offset1:8
	s_waitcnt lgkmcnt(0)
	v_add_nc_u32_e32 v2, v4, v5
	ds_store_b32 v1, v2
.LBB239_29:
	s_or_b32 exec_lo, exec_lo, s1
	s_delay_alu instid0(SALU_CYCLE_1)
	s_mov_b32 s1, exec_lo
	s_waitcnt lgkmcnt(0)
	s_barrier
	buffer_gl0_inv
	v_cmpx_gt_u32_e32 0x100, v0
	s_cbranch_execz .LBB239_31
; %bb.30:
	ds_load_2addr_stride64_b32 v[4:5], v1 offset1:4
	s_waitcnt lgkmcnt(0)
	v_add_nc_u32_e32 v2, v4, v5
	ds_store_b32 v1, v2
.LBB239_31:
	s_or_b32 exec_lo, exec_lo, s1
	s_delay_alu instid0(SALU_CYCLE_1)
	s_mov_b32 s1, exec_lo
	s_waitcnt lgkmcnt(0)
	s_barrier
	buffer_gl0_inv
	;; [unrolled: 14-line block ×3, first 2 shown]
	v_cmpx_gt_u32_e32 64, v0
	s_cbranch_execz .LBB239_35
; %bb.34:
	ds_load_2addr_stride64_b32 v[4:5], v1 offset1:1
	s_waitcnt lgkmcnt(0)
	v_add_nc_u32_e32 v2, v4, v5
	ds_store_b32 v1, v2
.LBB239_35:
	s_or_b32 exec_lo, exec_lo, s1
	s_delay_alu instid0(SALU_CYCLE_1)
	s_mov_b32 s1, exec_lo
	s_waitcnt lgkmcnt(0)
	buffer_gl0_inv
                                        ; implicit-def: $vgpr2
	v_cmpx_gt_u32_e32 32, v0
; %bb.36:
	v_or_b32_e32 v2, 32, v0
	s_or_b32 s0, s0, exec_lo
                                        ; implicit-def: $vgpr3
; %bb.37:
	s_or_b32 exec_lo, exec_lo, s1
	v_mov_b32_e32 v4, v1
.LBB239_38:
	s_and_saveexec_b32 s1, s0
	s_cbranch_execz .LBB239_40
; %bb.39:
	v_lshlrev_b32_e32 v1, 2, v2
	ds_load_b32 v2, v4
	ds_load_b32 v1, v1
	s_waitcnt lgkmcnt(0)
	v_add_nc_u32_e32 v3, v1, v2
.LBB239_40:
	s_or_b32 exec_lo, exec_lo, s1
	s_delay_alu instid0(SALU_CYCLE_1)
	s_mov_b32 s0, exec_lo
	v_cmpx_gt_u32_e32 32, v0
	s_cbranch_execz .LBB239_44
; %bb.41:
	v_mul_lo_u32 v1, v3, s14
	s_cmp_eq_u32 s15, 0
	s_mov_b32 s0, 0
	s_cbranch_scc1 .LBB239_45
; %bb.42:
	s_lshl_b64 s[2:3], s[8:9], 7
	v_lshlrev_b32_e32 v4, 2, v0
	s_add_u32 s2, s4, s2
	s_addc_u32 s3, s5, s3
	global_load_b32 v5, v4, s[2:3]
	s_waitcnt vmcnt(0)
	v_mad_u64_u32 v[2:3], null, v5, s15, v[1:2]
	global_store_b32 v4, v2, s[2:3]
	s_and_not1_b32 vcc_lo, exec_lo, s0
	s_cbranch_vccnz .LBB239_44
.LBB239_43:
	s_lshl_b64 s[0:1], s[8:9], 7
	v_lshlrev_b32_e32 v0, 2, v0
	s_add_u32 s0, s4, s0
	s_addc_u32 s1, s5, s1
	global_store_b32 v0, v1, s[0:1]
.LBB239_44:
	s_nop 0
	s_sendmsg sendmsg(MSG_DEALLOC_VGPRS)
	s_endpgm
.LBB239_45:
	s_branch .LBB239_43
	.section	.rodata,"a",@progbits
	.p2align	6, 0x0
	.amdhsa_kernel _ZN9rocsparseL20bsrxmvn_17_32_kernelILj32EillaaiEEvT2_20rocsparse_direction_NS_24const_host_device_scalarIT0_EES1_PKS1_PKT1_SA_S7_PKT3_PKT4_S5_PT5_21rocsparse_index_base_b
		.amdhsa_group_segment_fixed_size 4096
		.amdhsa_private_segment_fixed_size 0
		.amdhsa_kernarg_size 104
		.amdhsa_user_sgpr_count 15
		.amdhsa_user_sgpr_dispatch_ptr 0
		.amdhsa_user_sgpr_queue_ptr 0
		.amdhsa_user_sgpr_kernarg_segment_ptr 1
		.amdhsa_user_sgpr_dispatch_id 0
		.amdhsa_user_sgpr_private_segment_size 0
		.amdhsa_wavefront_size32 1
		.amdhsa_uses_dynamic_stack 0
		.amdhsa_enable_private_segment 0
		.amdhsa_system_sgpr_workgroup_id_x 1
		.amdhsa_system_sgpr_workgroup_id_y 0
		.amdhsa_system_sgpr_workgroup_id_z 0
		.amdhsa_system_sgpr_workgroup_info 0
		.amdhsa_system_vgpr_workitem_id 0
		.amdhsa_next_free_vgpr 10
		.amdhsa_next_free_sgpr 26
		.amdhsa_reserve_vcc 1
		.amdhsa_float_round_mode_32 0
		.amdhsa_float_round_mode_16_64 0
		.amdhsa_float_denorm_mode_32 3
		.amdhsa_float_denorm_mode_16_64 3
		.amdhsa_dx10_clamp 1
		.amdhsa_ieee_mode 1
		.amdhsa_fp16_overflow 0
		.amdhsa_workgroup_processor_mode 1
		.amdhsa_memory_ordered 1
		.amdhsa_forward_progress 0
		.amdhsa_shared_vgpr_count 0
		.amdhsa_exception_fp_ieee_invalid_op 0
		.amdhsa_exception_fp_denorm_src 0
		.amdhsa_exception_fp_ieee_div_zero 0
		.amdhsa_exception_fp_ieee_overflow 0
		.amdhsa_exception_fp_ieee_underflow 0
		.amdhsa_exception_fp_ieee_inexact 0
		.amdhsa_exception_int_div_zero 0
	.end_amdhsa_kernel
	.section	.text._ZN9rocsparseL20bsrxmvn_17_32_kernelILj32EillaaiEEvT2_20rocsparse_direction_NS_24const_host_device_scalarIT0_EES1_PKS1_PKT1_SA_S7_PKT3_PKT4_S5_PT5_21rocsparse_index_base_b,"axG",@progbits,_ZN9rocsparseL20bsrxmvn_17_32_kernelILj32EillaaiEEvT2_20rocsparse_direction_NS_24const_host_device_scalarIT0_EES1_PKS1_PKT1_SA_S7_PKT3_PKT4_S5_PT5_21rocsparse_index_base_b,comdat
.Lfunc_end239:
	.size	_ZN9rocsparseL20bsrxmvn_17_32_kernelILj32EillaaiEEvT2_20rocsparse_direction_NS_24const_host_device_scalarIT0_EES1_PKS1_PKT1_SA_S7_PKT3_PKT4_S5_PT5_21rocsparse_index_base_b, .Lfunc_end239-_ZN9rocsparseL20bsrxmvn_17_32_kernelILj32EillaaiEEvT2_20rocsparse_direction_NS_24const_host_device_scalarIT0_EES1_PKS1_PKT1_SA_S7_PKT3_PKT4_S5_PT5_21rocsparse_index_base_b
                                        ; -- End function
	.section	.AMDGPU.csdata,"",@progbits
; Kernel info:
; codeLenInByte = 1404
; NumSgprs: 28
; NumVgprs: 10
; ScratchSize: 0
; MemoryBound: 0
; FloatMode: 240
; IeeeMode: 1
; LDSByteSize: 4096 bytes/workgroup (compile time only)
; SGPRBlocks: 3
; VGPRBlocks: 1
; NumSGPRsForWavesPerEU: 28
; NumVGPRsForWavesPerEU: 10
; Occupancy: 16
; WaveLimiterHint : 1
; COMPUTE_PGM_RSRC2:SCRATCH_EN: 0
; COMPUTE_PGM_RSRC2:USER_SGPR: 15
; COMPUTE_PGM_RSRC2:TRAP_HANDLER: 0
; COMPUTE_PGM_RSRC2:TGID_X_EN: 1
; COMPUTE_PGM_RSRC2:TGID_Y_EN: 0
; COMPUTE_PGM_RSRC2:TGID_Z_EN: 0
; COMPUTE_PGM_RSRC2:TIDIG_COMP_CNT: 0
	.section	.text._ZN9rocsparseL20bsrxmvn_17_32_kernelILj17EfiiaafEEvT2_20rocsparse_direction_NS_24const_host_device_scalarIT0_EES1_PKS1_PKT1_SA_S7_PKT3_PKT4_S5_PT5_21rocsparse_index_base_b,"axG",@progbits,_ZN9rocsparseL20bsrxmvn_17_32_kernelILj17EfiiaafEEvT2_20rocsparse_direction_NS_24const_host_device_scalarIT0_EES1_PKS1_PKT1_SA_S7_PKT3_PKT4_S5_PT5_21rocsparse_index_base_b,comdat
	.globl	_ZN9rocsparseL20bsrxmvn_17_32_kernelILj17EfiiaafEEvT2_20rocsparse_direction_NS_24const_host_device_scalarIT0_EES1_PKS1_PKT1_SA_S7_PKT3_PKT4_S5_PT5_21rocsparse_index_base_b ; -- Begin function _ZN9rocsparseL20bsrxmvn_17_32_kernelILj17EfiiaafEEvT2_20rocsparse_direction_NS_24const_host_device_scalarIT0_EES1_PKS1_PKT1_SA_S7_PKT3_PKT4_S5_PT5_21rocsparse_index_base_b
	.p2align	8
	.type	_ZN9rocsparseL20bsrxmvn_17_32_kernelILj17EfiiaafEEvT2_20rocsparse_direction_NS_24const_host_device_scalarIT0_EES1_PKS1_PKT1_SA_S7_PKT3_PKT4_S5_PT5_21rocsparse_index_base_b,@function
_ZN9rocsparseL20bsrxmvn_17_32_kernelILj17EfiiaafEEvT2_20rocsparse_direction_NS_24const_host_device_scalarIT0_EES1_PKS1_PKT1_SA_S7_PKT3_PKT4_S5_PT5_21rocsparse_index_base_b: ; @_ZN9rocsparseL20bsrxmvn_17_32_kernelILj17EfiiaafEEvT2_20rocsparse_direction_NS_24const_host_device_scalarIT0_EES1_PKS1_PKT1_SA_S7_PKT3_PKT4_S5_PT5_21rocsparse_index_base_b
; %bb.0:
	s_mov_b32 s8, s15
	s_clause 0x2
	s_load_b64 s[14:15], s[0:1], 0x58
	s_load_b64 s[10:11], s[0:1], 0x8
	;; [unrolled: 1-line block ×3, first 2 shown]
	s_waitcnt lgkmcnt(0)
	s_bitcmp1_b32 s15, 0
	s_cselect_b32 s4, -1, 0
	s_delay_alu instid0(SALU_CYCLE_1)
	s_and_b32 vcc_lo, exec_lo, s4
	s_xor_b32 s4, s4, -1
	s_cbranch_vccnz .LBB240_2
; %bb.1:
	s_load_b32 s10, s[10:11], 0x0
.LBB240_2:
	s_and_not1_b32 vcc_lo, exec_lo, s4
	s_cbranch_vccnz .LBB240_4
; %bb.3:
	s_load_b32 s2, s[2:3], 0x0
.LBB240_4:
	s_waitcnt lgkmcnt(0)
	v_cmp_neq_f32_e64 s3, s10, 0
	v_cmp_neq_f32_e64 s4, s2, 1.0
	s_delay_alu instid0(VALU_DEP_1) | instskip(NEXT) | instid1(SALU_CYCLE_1)
	s_or_b32 s3, s3, s4
	s_and_not1_b32 vcc_lo, exec_lo, s3
	s_cbranch_vccnz .LBB240_42
; %bb.5:
	s_clause 0x1
	s_load_b128 s[4:7], s[0:1], 0x18
	s_load_b64 s[12:13], s[0:1], 0x28
	s_waitcnt lgkmcnt(0)
	s_cmp_eq_u64 s[4:5], 0
	s_cbranch_scc1 .LBB240_7
; %bb.6:
	s_ashr_i32 s9, s8, 31
	s_delay_alu instid0(SALU_CYCLE_1) | instskip(NEXT) | instid1(SALU_CYCLE_1)
	s_lshl_b64 s[8:9], s[8:9], 2
	s_add_u32 s4, s4, s8
	s_addc_u32 s5, s5, s9
	s_load_b32 s3, s[4:5], 0x0
	s_waitcnt lgkmcnt(0)
	s_sub_i32 s8, s3, s14
.LBB240_7:
	s_load_b32 s3, s[0:1], 0x4
	v_mul_u32_u24_e32 v1, 0xf10, v0
	v_mov_b32_e32 v6, 0
	s_delay_alu instid0(VALU_DEP_2) | instskip(NEXT) | instid1(VALU_DEP_1)
	v_lshrrev_b32_e32 v1, 16, v1
	v_mul_lo_u16 v2, v1, 17
	s_delay_alu instid0(VALU_DEP_1)
	v_sub_nc_u16 v7, v0, v2
	s_waitcnt lgkmcnt(0)
	s_cmp_eq_u32 s3, 1
	s_cselect_b32 vcc_lo, -1, 0
	s_cmp_lg_u32 s3, 1
	s_cselect_b32 s3, -1, 0
	s_ashr_i32 s9, s8, 31
	s_delay_alu instid0(SALU_CYCLE_1) | instskip(NEXT) | instid1(SALU_CYCLE_1)
	s_lshl_b64 s[4:5], s[8:9], 2
	s_add_u32 s6, s6, s4
	s_addc_u32 s7, s7, s5
	s_add_u32 s9, s6, 4
	s_addc_u32 s11, s7, 0
	;; [unrolled: 2-line block ×3, first 2 shown]
	s_cmp_eq_u64 s[12:13], 0
	s_load_b64 s[12:13], s[0:1], 0x50
	s_cselect_b32 s5, s11, s5
	s_cselect_b32 s4, s9, s4
	s_load_b32 s11, s[6:7], 0x0
	s_load_b32 s9, s[4:5], 0x0
	s_waitcnt lgkmcnt(0)
	s_cmp_ge_i32 s11, s9
	s_cbranch_scc1 .LBB240_12
; %bb.8:
	v_mul_lo_u16 v2, v1, 31
	s_clause 0x1
	s_load_b128 s[4:7], s[0:1], 0x30
	s_load_b64 s[0:1], s[0:1], 0x40
	v_dual_mov_b32 v6, 0 :: v_dual_and_b32 v3, 0xffff, v7
	v_lshrrev_b16 v2, 9, v2
	s_sub_i32 s11, s11, s14
	s_sub_i32 s9, s9, s14
	s_mul_i32 s16, s11, 0x121
	s_mul_hi_i32 s15, s11, 0x121
	v_mul_lo_u16 v2, v2, 17
	s_delay_alu instid0(VALU_DEP_1) | instskip(NEXT) | instid1(VALU_DEP_1)
	v_sub_nc_u16 v1, v1, v2
	v_and_b32_e32 v5, 0xff, v1
	v_and_b32_e32 v4, 0xffff, v0
	s_waitcnt lgkmcnt(0)
	s_add_u32 s6, s6, s16
	s_addc_u32 s7, s7, s15
	v_add_co_u32 v1, s6, s6, v0
	v_cndmask_b32_e32 v3, v3, v5, vcc_lo
	v_mul_u32_u24_e32 v4, 0xe3, v4
	v_add_co_ci_u32_e64 v2, null, s7, 0, s6
	s_delay_alu instid0(VALU_DEP_2)
	v_lshrrev_b32_e32 v8, 16, v4
	s_set_inst_prefetch_distance 0x1
	s_branch .LBB240_10
	.p2align	6
.LBB240_9:                              ;   in Loop: Header=BB240_10 Depth=1
	s_or_b32 exec_lo, exec_lo, s6
	s_add_i32 s11, s11, 1
	s_delay_alu instid0(SALU_CYCLE_1)
	s_cmp_lt_i32 s11, s9
	s_cbranch_scc0 .LBB240_12
.LBB240_10:                             ; =>This Inner Loop Header: Depth=1
	s_delay_alu instid0(VALU_DEP_1) | instskip(SKIP_1) | instid1(VALU_DEP_1)
	v_add_nc_u32_e32 v4, s11, v8
	s_mov_b32 s6, exec_lo
	v_cmpx_gt_i32_e64 s9, v4
	s_cbranch_execz .LBB240_9
; %bb.11:                               ;   in Loop: Header=BB240_10 Depth=1
	v_ashrrev_i32_e32 v5, 31, v4
	s_delay_alu instid0(VALU_DEP_1) | instskip(NEXT) | instid1(VALU_DEP_1)
	v_lshlrev_b64 v[4:5], 2, v[4:5]
	v_add_co_u32 v4, vcc_lo, s4, v4
	s_delay_alu instid0(VALU_DEP_2) | instskip(SKIP_3) | instid1(VALU_DEP_1)
	v_add_co_ci_u32_e32 v5, vcc_lo, s5, v5, vcc_lo
	global_load_b32 v4, v[4:5], off
	s_waitcnt vmcnt(0)
	v_subrev_nc_u32_e32 v9, s14, v4
	v_mad_u64_u32 v[4:5], null, v9, 17, v[3:4]
	s_delay_alu instid0(VALU_DEP_1) | instskip(SKIP_1) | instid1(VALU_DEP_2)
	v_ashrrev_i32_e32 v5, 31, v4
	v_add_co_u32 v4, vcc_lo, s0, v4
	v_add_co_ci_u32_e32 v5, vcc_lo, s1, v5, vcc_lo
	global_load_i8 v9, v[1:2], off
	global_load_i8 v4, v[4:5], off
	v_add_co_u32 v1, vcc_lo, 0x121, v1
	v_add_co_ci_u32_e32 v2, vcc_lo, 0, v2, vcc_lo
	s_waitcnt vmcnt(1)
	v_cvt_f32_i32_e32 v5, v9
	s_waitcnt vmcnt(0)
	v_cvt_f32_i32_e32 v4, v4
	s_delay_alu instid0(VALU_DEP_1)
	v_fmac_f32_e32 v6, v5, v4
	s_branch .LBB240_9
.LBB240_12:
	s_set_inst_prefetch_distance 0x2
	v_lshlrev_b32_e32 v1, 2, v0
	s_and_b32 vcc_lo, exec_lo, s3
	ds_store_b32 v1, v6
	s_waitcnt lgkmcnt(0)
	s_barrier
	buffer_gl0_inv
	s_cbranch_vccz .LBB240_24
; %bb.13:
	s_mov_b32 s0, exec_lo
	v_cmpx_eq_u16_e32 0, v7
	s_cbranch_execz .LBB240_15
; %bb.14:
	ds_load_2addr_b32 v[2:3], v1 offset1:16
	s_waitcnt lgkmcnt(0)
	v_add_f32_e32 v2, v3, v2
	ds_store_b32 v1, v2
.LBB240_15:
	s_or_b32 exec_lo, exec_lo, s0
	s_delay_alu instid0(SALU_CYCLE_1)
	s_mov_b32 s0, exec_lo
	s_waitcnt lgkmcnt(0)
	s_barrier
	buffer_gl0_inv
	v_cmpx_gt_u16_e32 8, v7
	s_cbranch_execz .LBB240_17
; %bb.16:
	ds_load_2addr_b32 v[2:3], v1 offset1:8
	s_waitcnt lgkmcnt(0)
	v_add_f32_e32 v2, v3, v2
	ds_store_b32 v1, v2
.LBB240_17:
	s_or_b32 exec_lo, exec_lo, s0
	s_delay_alu instid0(SALU_CYCLE_1)
	s_mov_b32 s0, exec_lo
	s_waitcnt lgkmcnt(0)
	s_barrier
	buffer_gl0_inv
	v_cmpx_gt_u16_e32 4, v7
	;; [unrolled: 14-line block ×3, first 2 shown]
	s_cbranch_execz .LBB240_21
; %bb.20:
	ds_load_2addr_b32 v[2:3], v1 offset1:2
	s_waitcnt lgkmcnt(0)
	v_add_f32_e32 v2, v3, v2
	ds_store_b32 v1, v2
.LBB240_21:
	s_or_b32 exec_lo, exec_lo, s0
	s_mov_b32 s0, 0
	s_mov_b32 s1, 0
	s_mov_b32 s3, exec_lo
	s_waitcnt lgkmcnt(0)
	s_barrier
	buffer_gl0_inv
                                        ; implicit-def: $vgpr2
                                        ; implicit-def: $vgpr3
	v_cmpx_gt_u32_e32 17, v0
	s_xor_b32 s3, exec_lo, s3
; %bb.22:
	v_mad_u32_u24 v2, v0, 17, 1
	v_lshl_add_u32 v3, v0, 6, v1
	s_mov_b32 s1, exec_lo
; %bb.23:
	s_or_b32 exec_lo, exec_lo, s3
	s_delay_alu instid0(SALU_CYCLE_1)
	s_and_b32 vcc_lo, exec_lo, s0
	v_cmp_gt_u32_e64 s0, 17, v0
	s_cbranch_vccnz .LBB240_25
	s_branch .LBB240_36
.LBB240_24:
	s_mov_b32 s1, 0
                                        ; implicit-def: $vgpr2
                                        ; implicit-def: $vgpr3
	v_cmp_gt_u32_e64 s0, 17, v0
	s_cbranch_execz .LBB240_36
.LBB240_25:
	s_delay_alu instid0(VALU_DEP_1)
	s_and_saveexec_b32 s3, s0
	s_cbranch_execz .LBB240_27
; %bb.26:
	ds_load_b32 v2, v1 offset:1088
	ds_load_b32 v3, v1
	s_waitcnt lgkmcnt(0)
	v_add_f32_e32 v2, v2, v3
	ds_store_b32 v1, v2
.LBB240_27:
	s_or_b32 exec_lo, exec_lo, s3
	s_delay_alu instid0(SALU_CYCLE_1)
	s_mov_b32 s3, exec_lo
	s_waitcnt lgkmcnt(0)
	s_barrier
	buffer_gl0_inv
	v_cmpx_gt_u32_e32 0x88, v0
	s_cbranch_execz .LBB240_29
; %bb.28:
	ds_load_2addr_b32 v[2:3], v1 offset1:136
	s_waitcnt lgkmcnt(0)
	v_add_f32_e32 v2, v3, v2
	ds_store_b32 v1, v2
.LBB240_29:
	s_or_b32 exec_lo, exec_lo, s3
	s_delay_alu instid0(SALU_CYCLE_1)
	s_mov_b32 s3, exec_lo
	s_waitcnt lgkmcnt(0)
	s_barrier
	buffer_gl0_inv
	v_cmpx_gt_u32_e32 0x44, v0
	s_cbranch_execz .LBB240_31
; %bb.30:
	ds_load_2addr_b32 v[2:3], v1 offset1:68
	s_waitcnt lgkmcnt(0)
	v_add_f32_e32 v2, v3, v2
	ds_store_b32 v1, v2
.LBB240_31:
	;; [unrolled: 14-line block ×3, first 2 shown]
	s_or_b32 exec_lo, exec_lo, s3
	s_waitcnt lgkmcnt(0)
	buffer_gl0_inv
                                        ; implicit-def: $vgpr2
	s_and_saveexec_b32 s3, s0
; %bb.34:
	v_add_nc_u32_e32 v2, 17, v0
	s_or_b32 s1, s1, exec_lo
                                        ; implicit-def: $vgpr6
; %bb.35:
	s_or_b32 exec_lo, exec_lo, s3
	v_mov_b32_e32 v3, v1
.LBB240_36:
	s_and_saveexec_b32 s0, s1
	s_cbranch_execz .LBB240_38
; %bb.37:
	v_lshlrev_b32_e32 v1, 2, v2
	ds_load_b32 v2, v3
	ds_load_b32 v1, v1
	s_waitcnt lgkmcnt(0)
	v_add_f32_e32 v6, v2, v1
.LBB240_38:
	s_or_b32 exec_lo, exec_lo, s0
	s_delay_alu instid0(SALU_CYCLE_1)
	s_mov_b32 s0, exec_lo
	v_cmpx_gt_u32_e32 17, v0
	s_cbranch_execz .LBB240_42
; %bb.39:
	v_cmp_eq_f32_e64 s0, s2, 0
	v_mul_f32_e32 v1, s10, v6
	s_delay_alu instid0(VALU_DEP_2)
	s_and_b32 vcc_lo, exec_lo, s0
	s_mov_b32 s0, 0
	s_cbranch_vccz .LBB240_43
; %bb.40:
	s_delay_alu instid0(VALU_DEP_1) | instskip(SKIP_1) | instid1(VALU_DEP_1)
	v_mad_u64_u32 v[2:3], null, s8, 17, v[0:1]
	v_mov_b32_e32 v3, 0
	v_lshlrev_b64 v[2:3], 2, v[2:3]
	s_delay_alu instid0(VALU_DEP_1) | instskip(NEXT) | instid1(VALU_DEP_2)
	v_add_co_u32 v2, vcc_lo, s12, v2
	v_add_co_ci_u32_e32 v3, vcc_lo, s13, v3, vcc_lo
	global_store_b32 v[2:3], v1, off
	s_and_not1_b32 vcc_lo, exec_lo, s0
	s_cbranch_vccnz .LBB240_42
.LBB240_41:
	v_mad_u64_u32 v[2:3], null, s8, 17, v[0:1]
	v_mov_b32_e32 v3, 0
	s_delay_alu instid0(VALU_DEP_1) | instskip(NEXT) | instid1(VALU_DEP_1)
	v_lshlrev_b64 v[2:3], 2, v[2:3]
	v_add_co_u32 v2, vcc_lo, s12, v2
	s_delay_alu instid0(VALU_DEP_2)
	v_add_co_ci_u32_e32 v3, vcc_lo, s13, v3, vcc_lo
	global_load_b32 v0, v[2:3], off
	s_waitcnt vmcnt(0)
	v_fmac_f32_e32 v1, s2, v0
	global_store_b32 v[2:3], v1, off
.LBB240_42:
	s_nop 0
	s_sendmsg sendmsg(MSG_DEALLOC_VGPRS)
	s_endpgm
.LBB240_43:
	s_branch .LBB240_41
	.section	.rodata,"a",@progbits
	.p2align	6, 0x0
	.amdhsa_kernel _ZN9rocsparseL20bsrxmvn_17_32_kernelILj17EfiiaafEEvT2_20rocsparse_direction_NS_24const_host_device_scalarIT0_EES1_PKS1_PKT1_SA_S7_PKT3_PKT4_S5_PT5_21rocsparse_index_base_b
		.amdhsa_group_segment_fixed_size 1156
		.amdhsa_private_segment_fixed_size 0
		.amdhsa_kernarg_size 96
		.amdhsa_user_sgpr_count 15
		.amdhsa_user_sgpr_dispatch_ptr 0
		.amdhsa_user_sgpr_queue_ptr 0
		.amdhsa_user_sgpr_kernarg_segment_ptr 1
		.amdhsa_user_sgpr_dispatch_id 0
		.amdhsa_user_sgpr_private_segment_size 0
		.amdhsa_wavefront_size32 1
		.amdhsa_uses_dynamic_stack 0
		.amdhsa_enable_private_segment 0
		.amdhsa_system_sgpr_workgroup_id_x 1
		.amdhsa_system_sgpr_workgroup_id_y 0
		.amdhsa_system_sgpr_workgroup_id_z 0
		.amdhsa_system_sgpr_workgroup_info 0
		.amdhsa_system_vgpr_workitem_id 0
		.amdhsa_next_free_vgpr 10
		.amdhsa_next_free_sgpr 17
		.amdhsa_reserve_vcc 1
		.amdhsa_float_round_mode_32 0
		.amdhsa_float_round_mode_16_64 0
		.amdhsa_float_denorm_mode_32 3
		.amdhsa_float_denorm_mode_16_64 3
		.amdhsa_dx10_clamp 1
		.amdhsa_ieee_mode 1
		.amdhsa_fp16_overflow 0
		.amdhsa_workgroup_processor_mode 1
		.amdhsa_memory_ordered 1
		.amdhsa_forward_progress 0
		.amdhsa_shared_vgpr_count 0
		.amdhsa_exception_fp_ieee_invalid_op 0
		.amdhsa_exception_fp_denorm_src 0
		.amdhsa_exception_fp_ieee_div_zero 0
		.amdhsa_exception_fp_ieee_overflow 0
		.amdhsa_exception_fp_ieee_underflow 0
		.amdhsa_exception_fp_ieee_inexact 0
		.amdhsa_exception_int_div_zero 0
	.end_amdhsa_kernel
	.section	.text._ZN9rocsparseL20bsrxmvn_17_32_kernelILj17EfiiaafEEvT2_20rocsparse_direction_NS_24const_host_device_scalarIT0_EES1_PKS1_PKT1_SA_S7_PKT3_PKT4_S5_PT5_21rocsparse_index_base_b,"axG",@progbits,_ZN9rocsparseL20bsrxmvn_17_32_kernelILj17EfiiaafEEvT2_20rocsparse_direction_NS_24const_host_device_scalarIT0_EES1_PKS1_PKT1_SA_S7_PKT3_PKT4_S5_PT5_21rocsparse_index_base_b,comdat
.Lfunc_end240:
	.size	_ZN9rocsparseL20bsrxmvn_17_32_kernelILj17EfiiaafEEvT2_20rocsparse_direction_NS_24const_host_device_scalarIT0_EES1_PKS1_PKT1_SA_S7_PKT3_PKT4_S5_PT5_21rocsparse_index_base_b, .Lfunc_end240-_ZN9rocsparseL20bsrxmvn_17_32_kernelILj17EfiiaafEEvT2_20rocsparse_direction_NS_24const_host_device_scalarIT0_EES1_PKS1_PKT1_SA_S7_PKT3_PKT4_S5_PT5_21rocsparse_index_base_b
                                        ; -- End function
	.section	.AMDGPU.csdata,"",@progbits
; Kernel info:
; codeLenInByte = 1532
; NumSgprs: 19
; NumVgprs: 10
; ScratchSize: 0
; MemoryBound: 0
; FloatMode: 240
; IeeeMode: 1
; LDSByteSize: 1156 bytes/workgroup (compile time only)
; SGPRBlocks: 2
; VGPRBlocks: 1
; NumSGPRsForWavesPerEU: 19
; NumVGPRsForWavesPerEU: 10
; Occupancy: 15
; WaveLimiterHint : 1
; COMPUTE_PGM_RSRC2:SCRATCH_EN: 0
; COMPUTE_PGM_RSRC2:USER_SGPR: 15
; COMPUTE_PGM_RSRC2:TRAP_HANDLER: 0
; COMPUTE_PGM_RSRC2:TGID_X_EN: 1
; COMPUTE_PGM_RSRC2:TGID_Y_EN: 0
; COMPUTE_PGM_RSRC2:TGID_Z_EN: 0
; COMPUTE_PGM_RSRC2:TIDIG_COMP_CNT: 0
	.section	.text._ZN9rocsparseL20bsrxmvn_17_32_kernelILj18EfiiaafEEvT2_20rocsparse_direction_NS_24const_host_device_scalarIT0_EES1_PKS1_PKT1_SA_S7_PKT3_PKT4_S5_PT5_21rocsparse_index_base_b,"axG",@progbits,_ZN9rocsparseL20bsrxmvn_17_32_kernelILj18EfiiaafEEvT2_20rocsparse_direction_NS_24const_host_device_scalarIT0_EES1_PKS1_PKT1_SA_S7_PKT3_PKT4_S5_PT5_21rocsparse_index_base_b,comdat
	.globl	_ZN9rocsparseL20bsrxmvn_17_32_kernelILj18EfiiaafEEvT2_20rocsparse_direction_NS_24const_host_device_scalarIT0_EES1_PKS1_PKT1_SA_S7_PKT3_PKT4_S5_PT5_21rocsparse_index_base_b ; -- Begin function _ZN9rocsparseL20bsrxmvn_17_32_kernelILj18EfiiaafEEvT2_20rocsparse_direction_NS_24const_host_device_scalarIT0_EES1_PKS1_PKT1_SA_S7_PKT3_PKT4_S5_PT5_21rocsparse_index_base_b
	.p2align	8
	.type	_ZN9rocsparseL20bsrxmvn_17_32_kernelILj18EfiiaafEEvT2_20rocsparse_direction_NS_24const_host_device_scalarIT0_EES1_PKS1_PKT1_SA_S7_PKT3_PKT4_S5_PT5_21rocsparse_index_base_b,@function
_ZN9rocsparseL20bsrxmvn_17_32_kernelILj18EfiiaafEEvT2_20rocsparse_direction_NS_24const_host_device_scalarIT0_EES1_PKS1_PKT1_SA_S7_PKT3_PKT4_S5_PT5_21rocsparse_index_base_b: ; @_ZN9rocsparseL20bsrxmvn_17_32_kernelILj18EfiiaafEEvT2_20rocsparse_direction_NS_24const_host_device_scalarIT0_EES1_PKS1_PKT1_SA_S7_PKT3_PKT4_S5_PT5_21rocsparse_index_base_b
; %bb.0:
	s_mov_b32 s8, s15
	s_clause 0x2
	s_load_b64 s[14:15], s[0:1], 0x58
	s_load_b64 s[10:11], s[0:1], 0x8
	;; [unrolled: 1-line block ×3, first 2 shown]
	s_waitcnt lgkmcnt(0)
	s_bitcmp1_b32 s15, 0
	s_cselect_b32 s4, -1, 0
	s_delay_alu instid0(SALU_CYCLE_1)
	s_and_b32 vcc_lo, exec_lo, s4
	s_xor_b32 s4, s4, -1
	s_cbranch_vccnz .LBB241_2
; %bb.1:
	s_load_b32 s10, s[10:11], 0x0
.LBB241_2:
	s_and_not1_b32 vcc_lo, exec_lo, s4
	s_cbranch_vccnz .LBB241_4
; %bb.3:
	s_load_b32 s2, s[2:3], 0x0
.LBB241_4:
	s_waitcnt lgkmcnt(0)
	v_cmp_neq_f32_e64 s3, s10, 0
	v_cmp_neq_f32_e64 s4, s2, 1.0
	s_delay_alu instid0(VALU_DEP_1) | instskip(NEXT) | instid1(SALU_CYCLE_1)
	s_or_b32 s3, s3, s4
	s_and_not1_b32 vcc_lo, exec_lo, s3
	s_cbranch_vccnz .LBB241_42
; %bb.5:
	s_clause 0x1
	s_load_b128 s[4:7], s[0:1], 0x18
	s_load_b64 s[12:13], s[0:1], 0x28
	s_waitcnt lgkmcnt(0)
	s_cmp_eq_u64 s[4:5], 0
	s_cbranch_scc1 .LBB241_7
; %bb.6:
	s_ashr_i32 s9, s8, 31
	s_delay_alu instid0(SALU_CYCLE_1) | instskip(NEXT) | instid1(SALU_CYCLE_1)
	s_lshl_b64 s[8:9], s[8:9], 2
	s_add_u32 s4, s4, s8
	s_addc_u32 s5, s5, s9
	s_load_b32 s3, s[4:5], 0x0
	s_waitcnt lgkmcnt(0)
	s_sub_i32 s8, s3, s14
.LBB241_7:
	s_load_b32 s3, s[0:1], 0x4
	v_mul_u32_u24_e32 v1, 0xe39, v0
	v_mov_b32_e32 v6, 0
	s_delay_alu instid0(VALU_DEP_2) | instskip(NEXT) | instid1(VALU_DEP_1)
	v_lshrrev_b32_e32 v1, 16, v1
	v_mul_lo_u16 v2, v1, 18
	s_delay_alu instid0(VALU_DEP_1)
	v_sub_nc_u16 v7, v0, v2
	s_waitcnt lgkmcnt(0)
	s_cmp_eq_u32 s3, 1
	s_cselect_b32 vcc_lo, -1, 0
	s_cmp_lg_u32 s3, 1
	s_cselect_b32 s3, -1, 0
	s_ashr_i32 s9, s8, 31
	s_delay_alu instid0(SALU_CYCLE_1) | instskip(NEXT) | instid1(SALU_CYCLE_1)
	s_lshl_b64 s[4:5], s[8:9], 2
	s_add_u32 s6, s6, s4
	s_addc_u32 s7, s7, s5
	s_add_u32 s9, s6, 4
	s_addc_u32 s11, s7, 0
	;; [unrolled: 2-line block ×3, first 2 shown]
	s_cmp_eq_u64 s[12:13], 0
	s_load_b64 s[12:13], s[0:1], 0x50
	s_cselect_b32 s5, s11, s5
	s_cselect_b32 s4, s9, s4
	s_load_b32 s11, s[6:7], 0x0
	s_load_b32 s9, s[4:5], 0x0
	s_waitcnt lgkmcnt(0)
	s_cmp_ge_i32 s11, s9
	s_cbranch_scc1 .LBB241_12
; %bb.8:
	v_mul_lo_u16 v2, v1, 15
	s_clause 0x1
	s_load_b128 s[4:7], s[0:1], 0x30
	s_load_b64 s[0:1], s[0:1], 0x40
	v_dual_mov_b32 v6, 0 :: v_dual_and_b32 v3, 0xffff, v7
	v_lshrrev_b16 v2, 8, v2
	s_sub_i32 s11, s11, s14
	s_sub_i32 s9, s9, s14
	s_mul_i32 s16, s11, 0x144
	s_mul_hi_i32 s15, s11, 0x144
	v_mul_lo_u16 v2, v2, 18
	s_delay_alu instid0(VALU_DEP_1) | instskip(NEXT) | instid1(VALU_DEP_1)
	v_sub_nc_u16 v1, v1, v2
	v_and_b32_e32 v5, 0xff, v1
	v_and_b32_e32 v4, 0xffff, v0
	s_waitcnt lgkmcnt(0)
	s_add_u32 s6, s6, s16
	s_addc_u32 s7, s7, s15
	v_add_co_u32 v1, s6, s6, v0
	v_cndmask_b32_e32 v3, v3, v5, vcc_lo
	v_mul_u32_u24_e32 v4, 0x195, v4
	v_add_co_ci_u32_e64 v2, null, s7, 0, s6
	s_delay_alu instid0(VALU_DEP_2)
	v_lshrrev_b32_e32 v8, 17, v4
	s_set_inst_prefetch_distance 0x1
	s_branch .LBB241_10
	.p2align	6
.LBB241_9:                              ;   in Loop: Header=BB241_10 Depth=1
	s_or_b32 exec_lo, exec_lo, s6
	s_add_i32 s11, s11, 1
	s_delay_alu instid0(SALU_CYCLE_1)
	s_cmp_lt_i32 s11, s9
	s_cbranch_scc0 .LBB241_12
.LBB241_10:                             ; =>This Inner Loop Header: Depth=1
	s_delay_alu instid0(VALU_DEP_1) | instskip(SKIP_1) | instid1(VALU_DEP_1)
	v_add_nc_u32_e32 v4, s11, v8
	s_mov_b32 s6, exec_lo
	v_cmpx_gt_i32_e64 s9, v4
	s_cbranch_execz .LBB241_9
; %bb.11:                               ;   in Loop: Header=BB241_10 Depth=1
	v_ashrrev_i32_e32 v5, 31, v4
	s_delay_alu instid0(VALU_DEP_1) | instskip(NEXT) | instid1(VALU_DEP_1)
	v_lshlrev_b64 v[4:5], 2, v[4:5]
	v_add_co_u32 v4, vcc_lo, s4, v4
	s_delay_alu instid0(VALU_DEP_2) | instskip(SKIP_3) | instid1(VALU_DEP_1)
	v_add_co_ci_u32_e32 v5, vcc_lo, s5, v5, vcc_lo
	global_load_b32 v4, v[4:5], off
	s_waitcnt vmcnt(0)
	v_subrev_nc_u32_e32 v9, s14, v4
	v_mad_u64_u32 v[4:5], null, v9, 18, v[3:4]
	s_delay_alu instid0(VALU_DEP_1) | instskip(SKIP_1) | instid1(VALU_DEP_2)
	v_ashrrev_i32_e32 v5, 31, v4
	v_add_co_u32 v4, vcc_lo, s0, v4
	v_add_co_ci_u32_e32 v5, vcc_lo, s1, v5, vcc_lo
	global_load_i8 v9, v[1:2], off
	global_load_i8 v4, v[4:5], off
	v_add_co_u32 v1, vcc_lo, 0x144, v1
	v_add_co_ci_u32_e32 v2, vcc_lo, 0, v2, vcc_lo
	s_waitcnt vmcnt(1)
	v_cvt_f32_i32_e32 v5, v9
	s_waitcnt vmcnt(0)
	v_cvt_f32_i32_e32 v4, v4
	s_delay_alu instid0(VALU_DEP_1)
	v_fmac_f32_e32 v6, v5, v4
	s_branch .LBB241_9
.LBB241_12:
	s_set_inst_prefetch_distance 0x2
	v_lshlrev_b32_e32 v1, 2, v0
	s_and_b32 vcc_lo, exec_lo, s3
	ds_store_b32 v1, v6
	s_waitcnt lgkmcnt(0)
	s_barrier
	buffer_gl0_inv
	s_cbranch_vccz .LBB241_24
; %bb.13:
	v_cmp_gt_u16_e32 vcc_lo, 2, v7
	s_and_saveexec_b32 s0, vcc_lo
	s_cbranch_execz .LBB241_15
; %bb.14:
	ds_load_2addr_b32 v[2:3], v1 offset1:16
	s_waitcnt lgkmcnt(0)
	v_add_f32_e32 v2, v3, v2
	ds_store_b32 v1, v2
.LBB241_15:
	s_or_b32 exec_lo, exec_lo, s0
	s_delay_alu instid0(SALU_CYCLE_1)
	s_mov_b32 s1, exec_lo
	s_waitcnt lgkmcnt(0)
	s_barrier
	buffer_gl0_inv
	v_cmpx_gt_u16_e32 8, v7
	s_cbranch_execz .LBB241_17
; %bb.16:
	ds_load_2addr_b32 v[2:3], v1 offset1:8
	s_waitcnt lgkmcnt(0)
	v_add_f32_e32 v2, v3, v2
	ds_store_b32 v1, v2
.LBB241_17:
	s_or_b32 exec_lo, exec_lo, s1
	s_delay_alu instid0(SALU_CYCLE_1)
	s_mov_b32 s1, exec_lo
	s_waitcnt lgkmcnt(0)
	s_barrier
	buffer_gl0_inv
	v_cmpx_gt_u16_e32 4, v7
	s_cbranch_execz .LBB241_19
; %bb.18:
	ds_load_2addr_b32 v[2:3], v1 offset1:4
	s_waitcnt lgkmcnt(0)
	v_add_f32_e32 v2, v3, v2
	ds_store_b32 v1, v2
.LBB241_19:
	s_or_b32 exec_lo, exec_lo, s1
	s_waitcnt lgkmcnt(0)
	s_barrier
	buffer_gl0_inv
	s_and_saveexec_b32 s0, vcc_lo
	s_cbranch_execz .LBB241_21
; %bb.20:
	ds_load_2addr_b32 v[2:3], v1 offset1:2
	s_waitcnt lgkmcnt(0)
	v_add_f32_e32 v2, v3, v2
	ds_store_b32 v1, v2
.LBB241_21:
	s_or_b32 exec_lo, exec_lo, s0
	s_mov_b32 s0, 0
	s_mov_b32 s1, 0
	s_mov_b32 s3, exec_lo
	s_waitcnt lgkmcnt(0)
	s_barrier
	buffer_gl0_inv
                                        ; implicit-def: $vgpr2
                                        ; implicit-def: $vgpr3
	v_cmpx_gt_u32_e32 18, v0
	s_xor_b32 s3, exec_lo, s3
; %bb.22:
	v_mul_u32_u24_e32 v2, 18, v0
	v_mad_u32_u24 v3, 0x44, v0, v1
	s_mov_b32 s1, exec_lo
	s_delay_alu instid0(VALU_DEP_2)
	v_or_b32_e32 v2, 1, v2
; %bb.23:
	s_or_b32 exec_lo, exec_lo, s3
	s_delay_alu instid0(SALU_CYCLE_1)
	s_and_b32 vcc_lo, exec_lo, s0
	s_cbranch_vccnz .LBB241_25
	s_branch .LBB241_36
.LBB241_24:
	s_mov_b32 s1, 0
                                        ; implicit-def: $vgpr2
                                        ; implicit-def: $vgpr3
	s_cbranch_execz .LBB241_36
.LBB241_25:
	v_cmp_gt_u32_e32 vcc_lo, 36, v0
	s_and_saveexec_b32 s0, vcc_lo
	s_cbranch_execz .LBB241_27
; %bb.26:
	ds_load_b32 v2, v1 offset:1152
	ds_load_b32 v3, v1
	s_waitcnt lgkmcnt(0)
	v_add_f32_e32 v2, v2, v3
	ds_store_b32 v1, v2
.LBB241_27:
	s_or_b32 exec_lo, exec_lo, s0
	s_delay_alu instid0(SALU_CYCLE_1)
	s_mov_b32 s3, exec_lo
	s_waitcnt lgkmcnt(0)
	s_barrier
	buffer_gl0_inv
	v_cmpx_gt_u32_e32 0x90, v0
	s_cbranch_execz .LBB241_29
; %bb.28:
	ds_load_2addr_b32 v[2:3], v1 offset1:144
	s_waitcnt lgkmcnt(0)
	v_add_f32_e32 v2, v3, v2
	ds_store_b32 v1, v2
.LBB241_29:
	s_or_b32 exec_lo, exec_lo, s3
	s_delay_alu instid0(SALU_CYCLE_1)
	s_mov_b32 s3, exec_lo
	s_waitcnt lgkmcnt(0)
	s_barrier
	buffer_gl0_inv
	v_cmpx_gt_u32_e32 0x48, v0
	s_cbranch_execz .LBB241_31
; %bb.30:
	ds_load_2addr_b32 v[2:3], v1 offset1:72
	s_waitcnt lgkmcnt(0)
	v_add_f32_e32 v2, v3, v2
	ds_store_b32 v1, v2
.LBB241_31:
	s_or_b32 exec_lo, exec_lo, s3
	s_waitcnt lgkmcnt(0)
	s_barrier
	buffer_gl0_inv
	s_and_saveexec_b32 s0, vcc_lo
	s_cbranch_execz .LBB241_33
; %bb.32:
	ds_load_2addr_b32 v[2:3], v1 offset1:36
	s_waitcnt lgkmcnt(0)
	v_add_f32_e32 v2, v3, v2
	ds_store_b32 v1, v2
.LBB241_33:
	s_or_b32 exec_lo, exec_lo, s0
	s_delay_alu instid0(SALU_CYCLE_1)
	s_mov_b32 s0, exec_lo
	s_waitcnt lgkmcnt(0)
	buffer_gl0_inv
                                        ; implicit-def: $vgpr2
	v_cmpx_gt_u32_e32 18, v0
; %bb.34:
	v_add_nc_u32_e32 v2, 18, v0
	s_or_b32 s1, s1, exec_lo
                                        ; implicit-def: $vgpr6
; %bb.35:
	s_or_b32 exec_lo, exec_lo, s0
	v_mov_b32_e32 v3, v1
.LBB241_36:
	s_and_saveexec_b32 s0, s1
	s_cbranch_execz .LBB241_38
; %bb.37:
	v_lshlrev_b32_e32 v1, 2, v2
	ds_load_b32 v2, v3
	ds_load_b32 v1, v1
	s_waitcnt lgkmcnt(0)
	v_add_f32_e32 v6, v2, v1
.LBB241_38:
	s_or_b32 exec_lo, exec_lo, s0
	s_delay_alu instid0(SALU_CYCLE_1)
	s_mov_b32 s0, exec_lo
	v_cmpx_gt_u32_e32 18, v0
	s_cbranch_execz .LBB241_42
; %bb.39:
	v_cmp_eq_f32_e64 s0, s2, 0
	v_mul_f32_e32 v1, s10, v6
	s_delay_alu instid0(VALU_DEP_2)
	s_and_b32 vcc_lo, exec_lo, s0
	s_mov_b32 s0, 0
	s_cbranch_vccz .LBB241_43
; %bb.40:
	s_delay_alu instid0(VALU_DEP_1) | instskip(SKIP_1) | instid1(VALU_DEP_1)
	v_mad_u64_u32 v[2:3], null, s8, 18, v[0:1]
	v_mov_b32_e32 v3, 0
	v_lshlrev_b64 v[2:3], 2, v[2:3]
	s_delay_alu instid0(VALU_DEP_1) | instskip(NEXT) | instid1(VALU_DEP_2)
	v_add_co_u32 v2, vcc_lo, s12, v2
	v_add_co_ci_u32_e32 v3, vcc_lo, s13, v3, vcc_lo
	global_store_b32 v[2:3], v1, off
	s_and_not1_b32 vcc_lo, exec_lo, s0
	s_cbranch_vccnz .LBB241_42
.LBB241_41:
	v_mad_u64_u32 v[2:3], null, s8, 18, v[0:1]
	v_mov_b32_e32 v3, 0
	s_delay_alu instid0(VALU_DEP_1) | instskip(NEXT) | instid1(VALU_DEP_1)
	v_lshlrev_b64 v[2:3], 2, v[2:3]
	v_add_co_u32 v2, vcc_lo, s12, v2
	s_delay_alu instid0(VALU_DEP_2)
	v_add_co_ci_u32_e32 v3, vcc_lo, s13, v3, vcc_lo
	global_load_b32 v0, v[2:3], off
	s_waitcnt vmcnt(0)
	v_fmac_f32_e32 v1, s2, v0
	global_store_b32 v[2:3], v1, off
.LBB241_42:
	s_nop 0
	s_sendmsg sendmsg(MSG_DEALLOC_VGPRS)
	s_endpgm
.LBB241_43:
	s_branch .LBB241_41
	.section	.rodata,"a",@progbits
	.p2align	6, 0x0
	.amdhsa_kernel _ZN9rocsparseL20bsrxmvn_17_32_kernelILj18EfiiaafEEvT2_20rocsparse_direction_NS_24const_host_device_scalarIT0_EES1_PKS1_PKT1_SA_S7_PKT3_PKT4_S5_PT5_21rocsparse_index_base_b
		.amdhsa_group_segment_fixed_size 1296
		.amdhsa_private_segment_fixed_size 0
		.amdhsa_kernarg_size 96
		.amdhsa_user_sgpr_count 15
		.amdhsa_user_sgpr_dispatch_ptr 0
		.amdhsa_user_sgpr_queue_ptr 0
		.amdhsa_user_sgpr_kernarg_segment_ptr 1
		.amdhsa_user_sgpr_dispatch_id 0
		.amdhsa_user_sgpr_private_segment_size 0
		.amdhsa_wavefront_size32 1
		.amdhsa_uses_dynamic_stack 0
		.amdhsa_enable_private_segment 0
		.amdhsa_system_sgpr_workgroup_id_x 1
		.amdhsa_system_sgpr_workgroup_id_y 0
		.amdhsa_system_sgpr_workgroup_id_z 0
		.amdhsa_system_sgpr_workgroup_info 0
		.amdhsa_system_vgpr_workitem_id 0
		.amdhsa_next_free_vgpr 10
		.amdhsa_next_free_sgpr 17
		.amdhsa_reserve_vcc 1
		.amdhsa_float_round_mode_32 0
		.amdhsa_float_round_mode_16_64 0
		.amdhsa_float_denorm_mode_32 3
		.amdhsa_float_denorm_mode_16_64 3
		.amdhsa_dx10_clamp 1
		.amdhsa_ieee_mode 1
		.amdhsa_fp16_overflow 0
		.amdhsa_workgroup_processor_mode 1
		.amdhsa_memory_ordered 1
		.amdhsa_forward_progress 0
		.amdhsa_shared_vgpr_count 0
		.amdhsa_exception_fp_ieee_invalid_op 0
		.amdhsa_exception_fp_denorm_src 0
		.amdhsa_exception_fp_ieee_div_zero 0
		.amdhsa_exception_fp_ieee_overflow 0
		.amdhsa_exception_fp_ieee_underflow 0
		.amdhsa_exception_fp_ieee_inexact 0
		.amdhsa_exception_int_div_zero 0
	.end_amdhsa_kernel
	.section	.text._ZN9rocsparseL20bsrxmvn_17_32_kernelILj18EfiiaafEEvT2_20rocsparse_direction_NS_24const_host_device_scalarIT0_EES1_PKS1_PKT1_SA_S7_PKT3_PKT4_S5_PT5_21rocsparse_index_base_b,"axG",@progbits,_ZN9rocsparseL20bsrxmvn_17_32_kernelILj18EfiiaafEEvT2_20rocsparse_direction_NS_24const_host_device_scalarIT0_EES1_PKS1_PKT1_SA_S7_PKT3_PKT4_S5_PT5_21rocsparse_index_base_b,comdat
.Lfunc_end241:
	.size	_ZN9rocsparseL20bsrxmvn_17_32_kernelILj18EfiiaafEEvT2_20rocsparse_direction_NS_24const_host_device_scalarIT0_EES1_PKS1_PKT1_SA_S7_PKT3_PKT4_S5_PT5_21rocsparse_index_base_b, .Lfunc_end241-_ZN9rocsparseL20bsrxmvn_17_32_kernelILj18EfiiaafEEvT2_20rocsparse_direction_NS_24const_host_device_scalarIT0_EES1_PKS1_PKT1_SA_S7_PKT3_PKT4_S5_PT5_21rocsparse_index_base_b
                                        ; -- End function
	.section	.AMDGPU.csdata,"",@progbits
; Kernel info:
; codeLenInByte = 1516
; NumSgprs: 19
; NumVgprs: 10
; ScratchSize: 0
; MemoryBound: 0
; FloatMode: 240
; IeeeMode: 1
; LDSByteSize: 1296 bytes/workgroup (compile time only)
; SGPRBlocks: 2
; VGPRBlocks: 1
; NumSGPRsForWavesPerEU: 19
; NumVGPRsForWavesPerEU: 10
; Occupancy: 14
; WaveLimiterHint : 1
; COMPUTE_PGM_RSRC2:SCRATCH_EN: 0
; COMPUTE_PGM_RSRC2:USER_SGPR: 15
; COMPUTE_PGM_RSRC2:TRAP_HANDLER: 0
; COMPUTE_PGM_RSRC2:TGID_X_EN: 1
; COMPUTE_PGM_RSRC2:TGID_Y_EN: 0
; COMPUTE_PGM_RSRC2:TGID_Z_EN: 0
; COMPUTE_PGM_RSRC2:TIDIG_COMP_CNT: 0
	.section	.text._ZN9rocsparseL20bsrxmvn_17_32_kernelILj19EfiiaafEEvT2_20rocsparse_direction_NS_24const_host_device_scalarIT0_EES1_PKS1_PKT1_SA_S7_PKT3_PKT4_S5_PT5_21rocsparse_index_base_b,"axG",@progbits,_ZN9rocsparseL20bsrxmvn_17_32_kernelILj19EfiiaafEEvT2_20rocsparse_direction_NS_24const_host_device_scalarIT0_EES1_PKS1_PKT1_SA_S7_PKT3_PKT4_S5_PT5_21rocsparse_index_base_b,comdat
	.globl	_ZN9rocsparseL20bsrxmvn_17_32_kernelILj19EfiiaafEEvT2_20rocsparse_direction_NS_24const_host_device_scalarIT0_EES1_PKS1_PKT1_SA_S7_PKT3_PKT4_S5_PT5_21rocsparse_index_base_b ; -- Begin function _ZN9rocsparseL20bsrxmvn_17_32_kernelILj19EfiiaafEEvT2_20rocsparse_direction_NS_24const_host_device_scalarIT0_EES1_PKS1_PKT1_SA_S7_PKT3_PKT4_S5_PT5_21rocsparse_index_base_b
	.p2align	8
	.type	_ZN9rocsparseL20bsrxmvn_17_32_kernelILj19EfiiaafEEvT2_20rocsparse_direction_NS_24const_host_device_scalarIT0_EES1_PKS1_PKT1_SA_S7_PKT3_PKT4_S5_PT5_21rocsparse_index_base_b,@function
_ZN9rocsparseL20bsrxmvn_17_32_kernelILj19EfiiaafEEvT2_20rocsparse_direction_NS_24const_host_device_scalarIT0_EES1_PKS1_PKT1_SA_S7_PKT3_PKT4_S5_PT5_21rocsparse_index_base_b: ; @_ZN9rocsparseL20bsrxmvn_17_32_kernelILj19EfiiaafEEvT2_20rocsparse_direction_NS_24const_host_device_scalarIT0_EES1_PKS1_PKT1_SA_S7_PKT3_PKT4_S5_PT5_21rocsparse_index_base_b
; %bb.0:
	s_mov_b32 s8, s15
	s_clause 0x2
	s_load_b64 s[14:15], s[0:1], 0x58
	s_load_b64 s[10:11], s[0:1], 0x8
	;; [unrolled: 1-line block ×3, first 2 shown]
	s_waitcnt lgkmcnt(0)
	s_bitcmp1_b32 s15, 0
	s_cselect_b32 s4, -1, 0
	s_delay_alu instid0(SALU_CYCLE_1)
	s_and_b32 vcc_lo, exec_lo, s4
	s_xor_b32 s4, s4, -1
	s_cbranch_vccnz .LBB242_2
; %bb.1:
	s_load_b32 s10, s[10:11], 0x0
.LBB242_2:
	s_and_not1_b32 vcc_lo, exec_lo, s4
	s_cbranch_vccnz .LBB242_4
; %bb.3:
	s_load_b32 s2, s[2:3], 0x0
.LBB242_4:
	s_waitcnt lgkmcnt(0)
	v_cmp_neq_f32_e64 s3, s10, 0
	v_cmp_neq_f32_e64 s4, s2, 1.0
	s_delay_alu instid0(VALU_DEP_1) | instskip(NEXT) | instid1(SALU_CYCLE_1)
	s_or_b32 s3, s3, s4
	s_and_not1_b32 vcc_lo, exec_lo, s3
	s_cbranch_vccnz .LBB242_42
; %bb.5:
	s_clause 0x1
	s_load_b128 s[4:7], s[0:1], 0x18
	s_load_b64 s[12:13], s[0:1], 0x28
	s_waitcnt lgkmcnt(0)
	s_cmp_eq_u64 s[4:5], 0
	s_cbranch_scc1 .LBB242_7
; %bb.6:
	s_ashr_i32 s9, s8, 31
	s_delay_alu instid0(SALU_CYCLE_1) | instskip(NEXT) | instid1(SALU_CYCLE_1)
	s_lshl_b64 s[8:9], s[8:9], 2
	s_add_u32 s4, s4, s8
	s_addc_u32 s5, s5, s9
	s_load_b32 s3, s[4:5], 0x0
	s_waitcnt lgkmcnt(0)
	s_sub_i32 s8, s3, s14
.LBB242_7:
	s_load_b32 s3, s[0:1], 0x4
	v_mul_u32_u24_e32 v1, 0xd7a, v0
	v_mov_b32_e32 v6, 0
	s_delay_alu instid0(VALU_DEP_2) | instskip(NEXT) | instid1(VALU_DEP_1)
	v_lshrrev_b32_e32 v1, 16, v1
	v_mul_lo_u16 v2, v1, 19
	s_delay_alu instid0(VALU_DEP_1)
	v_sub_nc_u16 v7, v0, v2
	s_waitcnt lgkmcnt(0)
	s_cmp_eq_u32 s3, 1
	s_cselect_b32 vcc_lo, -1, 0
	s_cmp_lg_u32 s3, 1
	s_cselect_b32 s3, -1, 0
	s_ashr_i32 s9, s8, 31
	s_delay_alu instid0(SALU_CYCLE_1) | instskip(NEXT) | instid1(SALU_CYCLE_1)
	s_lshl_b64 s[4:5], s[8:9], 2
	s_add_u32 s6, s6, s4
	s_addc_u32 s7, s7, s5
	s_add_u32 s9, s6, 4
	s_addc_u32 s11, s7, 0
	;; [unrolled: 2-line block ×3, first 2 shown]
	s_cmp_eq_u64 s[12:13], 0
	s_load_b64 s[12:13], s[0:1], 0x50
	s_cselect_b32 s5, s11, s5
	s_cselect_b32 s4, s9, s4
	s_load_b32 s11, s[6:7], 0x0
	s_load_b32 s9, s[4:5], 0x0
	s_waitcnt lgkmcnt(0)
	s_cmp_ge_i32 s11, s9
	s_cbranch_scc1 .LBB242_12
; %bb.8:
	v_mul_lo_u16 v2, v1, 14
	s_clause 0x1
	s_load_b128 s[4:7], s[0:1], 0x30
	s_load_b64 s[0:1], s[0:1], 0x40
	v_dual_mov_b32 v6, 0 :: v_dual_and_b32 v3, 0xffff, v7
	v_lshrrev_b16 v2, 8, v2
	s_sub_i32 s11, s11, s14
	s_sub_i32 s9, s9, s14
	s_mul_i32 s16, s11, 0x169
	s_mul_hi_i32 s15, s11, 0x169
	v_mul_lo_u16 v2, v2, 19
	s_delay_alu instid0(VALU_DEP_1) | instskip(NEXT) | instid1(VALU_DEP_1)
	v_sub_nc_u16 v1, v1, v2
	v_and_b32_e32 v5, 0xff, v1
	v_and_b32_e32 v4, 0xffff, v0
	s_waitcnt lgkmcnt(0)
	s_add_u32 s6, s6, s16
	s_addc_u32 s7, s7, s15
	v_add_co_u32 v1, s6, s6, v0
	v_cndmask_b32_e32 v3, v3, v5, vcc_lo
	v_mul_u32_u24_e32 v4, 0xb6, v4
	v_add_co_ci_u32_e64 v2, null, s7, 0, s6
	s_delay_alu instid0(VALU_DEP_2)
	v_lshrrev_b32_e32 v8, 16, v4
	s_set_inst_prefetch_distance 0x1
	s_branch .LBB242_10
	.p2align	6
.LBB242_9:                              ;   in Loop: Header=BB242_10 Depth=1
	s_or_b32 exec_lo, exec_lo, s6
	s_add_i32 s11, s11, 1
	s_delay_alu instid0(SALU_CYCLE_1)
	s_cmp_lt_i32 s11, s9
	s_cbranch_scc0 .LBB242_12
.LBB242_10:                             ; =>This Inner Loop Header: Depth=1
	s_delay_alu instid0(VALU_DEP_1) | instskip(SKIP_1) | instid1(VALU_DEP_1)
	v_add_nc_u32_e32 v4, s11, v8
	s_mov_b32 s6, exec_lo
	v_cmpx_gt_i32_e64 s9, v4
	s_cbranch_execz .LBB242_9
; %bb.11:                               ;   in Loop: Header=BB242_10 Depth=1
	v_ashrrev_i32_e32 v5, 31, v4
	s_delay_alu instid0(VALU_DEP_1) | instskip(NEXT) | instid1(VALU_DEP_1)
	v_lshlrev_b64 v[4:5], 2, v[4:5]
	v_add_co_u32 v4, vcc_lo, s4, v4
	s_delay_alu instid0(VALU_DEP_2) | instskip(SKIP_3) | instid1(VALU_DEP_1)
	v_add_co_ci_u32_e32 v5, vcc_lo, s5, v5, vcc_lo
	global_load_b32 v4, v[4:5], off
	s_waitcnt vmcnt(0)
	v_subrev_nc_u32_e32 v9, s14, v4
	v_mad_u64_u32 v[4:5], null, v9, 19, v[3:4]
	s_delay_alu instid0(VALU_DEP_1) | instskip(SKIP_1) | instid1(VALU_DEP_2)
	v_ashrrev_i32_e32 v5, 31, v4
	v_add_co_u32 v4, vcc_lo, s0, v4
	v_add_co_ci_u32_e32 v5, vcc_lo, s1, v5, vcc_lo
	global_load_i8 v9, v[1:2], off
	global_load_i8 v4, v[4:5], off
	v_add_co_u32 v1, vcc_lo, 0x169, v1
	v_add_co_ci_u32_e32 v2, vcc_lo, 0, v2, vcc_lo
	s_waitcnt vmcnt(1)
	v_cvt_f32_i32_e32 v5, v9
	s_waitcnt vmcnt(0)
	v_cvt_f32_i32_e32 v4, v4
	s_delay_alu instid0(VALU_DEP_1)
	v_fmac_f32_e32 v6, v5, v4
	s_branch .LBB242_9
.LBB242_12:
	s_set_inst_prefetch_distance 0x2
	v_lshlrev_b32_e32 v1, 2, v0
	s_and_b32 vcc_lo, exec_lo, s3
	ds_store_b32 v1, v6
	s_waitcnt lgkmcnt(0)
	s_barrier
	buffer_gl0_inv
	s_cbranch_vccz .LBB242_24
; %bb.13:
	s_mov_b32 s0, exec_lo
	v_cmpx_gt_u16_e32 3, v7
	s_cbranch_execz .LBB242_15
; %bb.14:
	ds_load_2addr_b32 v[2:3], v1 offset1:16
	s_waitcnt lgkmcnt(0)
	v_add_f32_e32 v2, v3, v2
	ds_store_b32 v1, v2
.LBB242_15:
	s_or_b32 exec_lo, exec_lo, s0
	s_delay_alu instid0(SALU_CYCLE_1)
	s_mov_b32 s0, exec_lo
	s_waitcnt lgkmcnt(0)
	s_barrier
	buffer_gl0_inv
	v_cmpx_gt_u16_e32 8, v7
	s_cbranch_execz .LBB242_17
; %bb.16:
	ds_load_2addr_b32 v[2:3], v1 offset1:8
	s_waitcnt lgkmcnt(0)
	v_add_f32_e32 v2, v3, v2
	ds_store_b32 v1, v2
.LBB242_17:
	s_or_b32 exec_lo, exec_lo, s0
	s_delay_alu instid0(SALU_CYCLE_1)
	s_mov_b32 s0, exec_lo
	s_waitcnt lgkmcnt(0)
	s_barrier
	buffer_gl0_inv
	v_cmpx_gt_u16_e32 4, v7
	s_cbranch_execz .LBB242_19
; %bb.18:
	ds_load_2addr_b32 v[2:3], v1 offset1:4
	s_waitcnt lgkmcnt(0)
	v_add_f32_e32 v2, v3, v2
	ds_store_b32 v1, v2
.LBB242_19:
	s_or_b32 exec_lo, exec_lo, s0
	s_delay_alu instid0(SALU_CYCLE_1)
	s_mov_b32 s0, exec_lo
	s_waitcnt lgkmcnt(0)
	s_barrier
	buffer_gl0_inv
	v_cmpx_gt_u16_e32 2, v7
	s_cbranch_execz .LBB242_21
; %bb.20:
	ds_load_2addr_b32 v[2:3], v1 offset1:2
	s_waitcnt lgkmcnt(0)
	v_add_f32_e32 v2, v3, v2
	ds_store_b32 v1, v2
.LBB242_21:
	s_or_b32 exec_lo, exec_lo, s0
	s_mov_b32 s1, 0
	s_mov_b32 s0, 0
	s_mov_b32 s3, exec_lo
	s_waitcnt lgkmcnt(0)
	s_barrier
	buffer_gl0_inv
                                        ; implicit-def: $vgpr2
                                        ; implicit-def: $vgpr3
	v_cmpx_gt_u32_e32 19, v0
	s_xor_b32 s3, exec_lo, s3
; %bb.22:
	v_mad_u32_u24 v2, v0, 19, 1
	v_mad_u32_u24 v3, 0x48, v0, v1
	s_mov_b32 s0, exec_lo
; %bb.23:
	s_or_b32 exec_lo, exec_lo, s3
	s_delay_alu instid0(SALU_CYCLE_1)
	s_and_b32 vcc_lo, exec_lo, s1
	s_cbranch_vccnz .LBB242_25
	s_branch .LBB242_36
.LBB242_24:
	s_mov_b32 s0, 0
                                        ; implicit-def: $vgpr2
                                        ; implicit-def: $vgpr3
	s_cbranch_execz .LBB242_36
.LBB242_25:
	s_mov_b32 s1, exec_lo
	v_cmpx_gt_u32_e32 57, v0
	s_cbranch_execz .LBB242_27
; %bb.26:
	ds_load_b32 v2, v1 offset:1216
	ds_load_b32 v3, v1
	s_waitcnt lgkmcnt(0)
	v_add_f32_e32 v2, v2, v3
	ds_store_b32 v1, v2
.LBB242_27:
	s_or_b32 exec_lo, exec_lo, s1
	s_delay_alu instid0(SALU_CYCLE_1)
	s_mov_b32 s1, exec_lo
	s_waitcnt lgkmcnt(0)
	s_barrier
	buffer_gl0_inv
	v_cmpx_gt_u32_e32 0x98, v0
	s_cbranch_execz .LBB242_29
; %bb.28:
	ds_load_2addr_b32 v[2:3], v1 offset1:152
	s_waitcnt lgkmcnt(0)
	v_add_f32_e32 v2, v3, v2
	ds_store_b32 v1, v2
.LBB242_29:
	s_or_b32 exec_lo, exec_lo, s1
	s_delay_alu instid0(SALU_CYCLE_1)
	s_mov_b32 s1, exec_lo
	s_waitcnt lgkmcnt(0)
	s_barrier
	buffer_gl0_inv
	v_cmpx_gt_u32_e32 0x4c, v0
	s_cbranch_execz .LBB242_31
; %bb.30:
	ds_load_2addr_b32 v[2:3], v1 offset1:76
	s_waitcnt lgkmcnt(0)
	v_add_f32_e32 v2, v3, v2
	ds_store_b32 v1, v2
.LBB242_31:
	;; [unrolled: 14-line block ×3, first 2 shown]
	s_or_b32 exec_lo, exec_lo, s1
	s_delay_alu instid0(SALU_CYCLE_1)
	s_mov_b32 s1, exec_lo
	s_waitcnt lgkmcnt(0)
	buffer_gl0_inv
                                        ; implicit-def: $vgpr2
	v_cmpx_gt_u32_e32 19, v0
; %bb.34:
	v_add_nc_u32_e32 v2, 19, v0
	s_or_b32 s0, s0, exec_lo
                                        ; implicit-def: $vgpr6
; %bb.35:
	s_or_b32 exec_lo, exec_lo, s1
	v_mov_b32_e32 v3, v1
.LBB242_36:
	s_and_saveexec_b32 s1, s0
	s_cbranch_execz .LBB242_38
; %bb.37:
	v_lshlrev_b32_e32 v1, 2, v2
	ds_load_b32 v2, v3
	ds_load_b32 v1, v1
	s_waitcnt lgkmcnt(0)
	v_add_f32_e32 v6, v2, v1
.LBB242_38:
	s_or_b32 exec_lo, exec_lo, s1
	s_delay_alu instid0(SALU_CYCLE_1)
	s_mov_b32 s0, exec_lo
	v_cmpx_gt_u32_e32 19, v0
	s_cbranch_execz .LBB242_42
; %bb.39:
	v_cmp_eq_f32_e64 s0, s2, 0
	v_mul_f32_e32 v1, s10, v6
	s_delay_alu instid0(VALU_DEP_2)
	s_and_b32 vcc_lo, exec_lo, s0
	s_mov_b32 s0, 0
	s_cbranch_vccz .LBB242_43
; %bb.40:
	s_delay_alu instid0(VALU_DEP_1) | instskip(SKIP_1) | instid1(VALU_DEP_1)
	v_mad_u64_u32 v[2:3], null, s8, 19, v[0:1]
	v_mov_b32_e32 v3, 0
	v_lshlrev_b64 v[2:3], 2, v[2:3]
	s_delay_alu instid0(VALU_DEP_1) | instskip(NEXT) | instid1(VALU_DEP_2)
	v_add_co_u32 v2, vcc_lo, s12, v2
	v_add_co_ci_u32_e32 v3, vcc_lo, s13, v3, vcc_lo
	global_store_b32 v[2:3], v1, off
	s_and_not1_b32 vcc_lo, exec_lo, s0
	s_cbranch_vccnz .LBB242_42
.LBB242_41:
	v_mad_u64_u32 v[2:3], null, s8, 19, v[0:1]
	v_mov_b32_e32 v3, 0
	s_delay_alu instid0(VALU_DEP_1) | instskip(NEXT) | instid1(VALU_DEP_1)
	v_lshlrev_b64 v[2:3], 2, v[2:3]
	v_add_co_u32 v2, vcc_lo, s12, v2
	s_delay_alu instid0(VALU_DEP_2)
	v_add_co_ci_u32_e32 v3, vcc_lo, s13, v3, vcc_lo
	global_load_b32 v0, v[2:3], off
	s_waitcnt vmcnt(0)
	v_fmac_f32_e32 v1, s2, v0
	global_store_b32 v[2:3], v1, off
.LBB242_42:
	s_nop 0
	s_sendmsg sendmsg(MSG_DEALLOC_VGPRS)
	s_endpgm
.LBB242_43:
	s_branch .LBB242_41
	.section	.rodata,"a",@progbits
	.p2align	6, 0x0
	.amdhsa_kernel _ZN9rocsparseL20bsrxmvn_17_32_kernelILj19EfiiaafEEvT2_20rocsparse_direction_NS_24const_host_device_scalarIT0_EES1_PKS1_PKT1_SA_S7_PKT3_PKT4_S5_PT5_21rocsparse_index_base_b
		.amdhsa_group_segment_fixed_size 1444
		.amdhsa_private_segment_fixed_size 0
		.amdhsa_kernarg_size 96
		.amdhsa_user_sgpr_count 15
		.amdhsa_user_sgpr_dispatch_ptr 0
		.amdhsa_user_sgpr_queue_ptr 0
		.amdhsa_user_sgpr_kernarg_segment_ptr 1
		.amdhsa_user_sgpr_dispatch_id 0
		.amdhsa_user_sgpr_private_segment_size 0
		.amdhsa_wavefront_size32 1
		.amdhsa_uses_dynamic_stack 0
		.amdhsa_enable_private_segment 0
		.amdhsa_system_sgpr_workgroup_id_x 1
		.amdhsa_system_sgpr_workgroup_id_y 0
		.amdhsa_system_sgpr_workgroup_id_z 0
		.amdhsa_system_sgpr_workgroup_info 0
		.amdhsa_system_vgpr_workitem_id 0
		.amdhsa_next_free_vgpr 10
		.amdhsa_next_free_sgpr 17
		.amdhsa_reserve_vcc 1
		.amdhsa_float_round_mode_32 0
		.amdhsa_float_round_mode_16_64 0
		.amdhsa_float_denorm_mode_32 3
		.amdhsa_float_denorm_mode_16_64 3
		.amdhsa_dx10_clamp 1
		.amdhsa_ieee_mode 1
		.amdhsa_fp16_overflow 0
		.amdhsa_workgroup_processor_mode 1
		.amdhsa_memory_ordered 1
		.amdhsa_forward_progress 0
		.amdhsa_shared_vgpr_count 0
		.amdhsa_exception_fp_ieee_invalid_op 0
		.amdhsa_exception_fp_denorm_src 0
		.amdhsa_exception_fp_ieee_div_zero 0
		.amdhsa_exception_fp_ieee_overflow 0
		.amdhsa_exception_fp_ieee_underflow 0
		.amdhsa_exception_fp_ieee_inexact 0
		.amdhsa_exception_int_div_zero 0
	.end_amdhsa_kernel
	.section	.text._ZN9rocsparseL20bsrxmvn_17_32_kernelILj19EfiiaafEEvT2_20rocsparse_direction_NS_24const_host_device_scalarIT0_EES1_PKS1_PKT1_SA_S7_PKT3_PKT4_S5_PT5_21rocsparse_index_base_b,"axG",@progbits,_ZN9rocsparseL20bsrxmvn_17_32_kernelILj19EfiiaafEEvT2_20rocsparse_direction_NS_24const_host_device_scalarIT0_EES1_PKS1_PKT1_SA_S7_PKT3_PKT4_S5_PT5_21rocsparse_index_base_b,comdat
.Lfunc_end242:
	.size	_ZN9rocsparseL20bsrxmvn_17_32_kernelILj19EfiiaafEEvT2_20rocsparse_direction_NS_24const_host_device_scalarIT0_EES1_PKS1_PKT1_SA_S7_PKT3_PKT4_S5_PT5_21rocsparse_index_base_b, .Lfunc_end242-_ZN9rocsparseL20bsrxmvn_17_32_kernelILj19EfiiaafEEvT2_20rocsparse_direction_NS_24const_host_device_scalarIT0_EES1_PKS1_PKT1_SA_S7_PKT3_PKT4_S5_PT5_21rocsparse_index_base_b
                                        ; -- End function
	.section	.AMDGPU.csdata,"",@progbits
; Kernel info:
; codeLenInByte = 1528
; NumSgprs: 19
; NumVgprs: 10
; ScratchSize: 0
; MemoryBound: 0
; FloatMode: 240
; IeeeMode: 1
; LDSByteSize: 1444 bytes/workgroup (compile time only)
; SGPRBlocks: 2
; VGPRBlocks: 1
; NumSGPRsForWavesPerEU: 19
; NumVGPRsForWavesPerEU: 10
; Occupancy: 15
; WaveLimiterHint : 1
; COMPUTE_PGM_RSRC2:SCRATCH_EN: 0
; COMPUTE_PGM_RSRC2:USER_SGPR: 15
; COMPUTE_PGM_RSRC2:TRAP_HANDLER: 0
; COMPUTE_PGM_RSRC2:TGID_X_EN: 1
; COMPUTE_PGM_RSRC2:TGID_Y_EN: 0
; COMPUTE_PGM_RSRC2:TGID_Z_EN: 0
; COMPUTE_PGM_RSRC2:TIDIG_COMP_CNT: 0
	.section	.text._ZN9rocsparseL20bsrxmvn_17_32_kernelILj20EfiiaafEEvT2_20rocsparse_direction_NS_24const_host_device_scalarIT0_EES1_PKS1_PKT1_SA_S7_PKT3_PKT4_S5_PT5_21rocsparse_index_base_b,"axG",@progbits,_ZN9rocsparseL20bsrxmvn_17_32_kernelILj20EfiiaafEEvT2_20rocsparse_direction_NS_24const_host_device_scalarIT0_EES1_PKS1_PKT1_SA_S7_PKT3_PKT4_S5_PT5_21rocsparse_index_base_b,comdat
	.globl	_ZN9rocsparseL20bsrxmvn_17_32_kernelILj20EfiiaafEEvT2_20rocsparse_direction_NS_24const_host_device_scalarIT0_EES1_PKS1_PKT1_SA_S7_PKT3_PKT4_S5_PT5_21rocsparse_index_base_b ; -- Begin function _ZN9rocsparseL20bsrxmvn_17_32_kernelILj20EfiiaafEEvT2_20rocsparse_direction_NS_24const_host_device_scalarIT0_EES1_PKS1_PKT1_SA_S7_PKT3_PKT4_S5_PT5_21rocsparse_index_base_b
	.p2align	8
	.type	_ZN9rocsparseL20bsrxmvn_17_32_kernelILj20EfiiaafEEvT2_20rocsparse_direction_NS_24const_host_device_scalarIT0_EES1_PKS1_PKT1_SA_S7_PKT3_PKT4_S5_PT5_21rocsparse_index_base_b,@function
_ZN9rocsparseL20bsrxmvn_17_32_kernelILj20EfiiaafEEvT2_20rocsparse_direction_NS_24const_host_device_scalarIT0_EES1_PKS1_PKT1_SA_S7_PKT3_PKT4_S5_PT5_21rocsparse_index_base_b: ; @_ZN9rocsparseL20bsrxmvn_17_32_kernelILj20EfiiaafEEvT2_20rocsparse_direction_NS_24const_host_device_scalarIT0_EES1_PKS1_PKT1_SA_S7_PKT3_PKT4_S5_PT5_21rocsparse_index_base_b
; %bb.0:
	s_mov_b32 s8, s15
	s_clause 0x2
	s_load_b64 s[14:15], s[0:1], 0x58
	s_load_b64 s[10:11], s[0:1], 0x8
	;; [unrolled: 1-line block ×3, first 2 shown]
	s_waitcnt lgkmcnt(0)
	s_bitcmp1_b32 s15, 0
	s_cselect_b32 s4, -1, 0
	s_delay_alu instid0(SALU_CYCLE_1)
	s_and_b32 vcc_lo, exec_lo, s4
	s_xor_b32 s4, s4, -1
	s_cbranch_vccnz .LBB243_2
; %bb.1:
	s_load_b32 s10, s[10:11], 0x0
.LBB243_2:
	s_and_not1_b32 vcc_lo, exec_lo, s4
	s_cbranch_vccnz .LBB243_4
; %bb.3:
	s_load_b32 s2, s[2:3], 0x0
.LBB243_4:
	s_waitcnt lgkmcnt(0)
	v_cmp_neq_f32_e64 s3, s10, 0
	v_cmp_neq_f32_e64 s4, s2, 1.0
	s_delay_alu instid0(VALU_DEP_1) | instskip(NEXT) | instid1(SALU_CYCLE_1)
	s_or_b32 s3, s3, s4
	s_and_not1_b32 vcc_lo, exec_lo, s3
	s_cbranch_vccnz .LBB243_42
; %bb.5:
	s_clause 0x1
	s_load_b128 s[4:7], s[0:1], 0x18
	s_load_b64 s[12:13], s[0:1], 0x28
	s_waitcnt lgkmcnt(0)
	s_cmp_eq_u64 s[4:5], 0
	s_cbranch_scc1 .LBB243_7
; %bb.6:
	s_ashr_i32 s9, s8, 31
	s_delay_alu instid0(SALU_CYCLE_1) | instskip(NEXT) | instid1(SALU_CYCLE_1)
	s_lshl_b64 s[8:9], s[8:9], 2
	s_add_u32 s4, s4, s8
	s_addc_u32 s5, s5, s9
	s_load_b32 s3, s[4:5], 0x0
	s_waitcnt lgkmcnt(0)
	s_sub_i32 s8, s3, s14
.LBB243_7:
	s_load_b32 s3, s[0:1], 0x4
	v_mul_u32_u24_e32 v1, 0xccd, v0
	v_mov_b32_e32 v6, 0
	s_delay_alu instid0(VALU_DEP_2) | instskip(NEXT) | instid1(VALU_DEP_1)
	v_lshrrev_b32_e32 v1, 16, v1
	v_mul_lo_u16 v2, v1, 20
	s_delay_alu instid0(VALU_DEP_1)
	v_sub_nc_u16 v7, v0, v2
	s_waitcnt lgkmcnt(0)
	s_cmp_eq_u32 s3, 1
	s_cselect_b32 vcc_lo, -1, 0
	s_cmp_lg_u32 s3, 1
	s_cselect_b32 s3, -1, 0
	s_ashr_i32 s9, s8, 31
	s_delay_alu instid0(SALU_CYCLE_1) | instskip(NEXT) | instid1(SALU_CYCLE_1)
	s_lshl_b64 s[4:5], s[8:9], 2
	s_add_u32 s6, s6, s4
	s_addc_u32 s7, s7, s5
	s_add_u32 s9, s6, 4
	s_addc_u32 s11, s7, 0
	;; [unrolled: 2-line block ×3, first 2 shown]
	s_cmp_eq_u64 s[12:13], 0
	s_load_b64 s[12:13], s[0:1], 0x50
	s_cselect_b32 s5, s11, s5
	s_cselect_b32 s4, s9, s4
	s_load_b32 s11, s[6:7], 0x0
	s_load_b32 s9, s[4:5], 0x0
	s_waitcnt lgkmcnt(0)
	s_cmp_ge_i32 s11, s9
	s_cbranch_scc1 .LBB243_12
; %bb.8:
	v_mul_lo_u16 v2, v1, 13
	s_clause 0x1
	s_load_b128 s[4:7], s[0:1], 0x30
	s_load_b64 s[0:1], s[0:1], 0x40
	v_dual_mov_b32 v6, 0 :: v_dual_and_b32 v3, 0xffff, v7
	v_lshrrev_b16 v2, 8, v2
	s_sub_i32 s11, s11, s14
	s_sub_i32 s9, s9, s14
	s_mul_i32 s16, s11, 0x190
	s_mul_hi_i32 s15, s11, 0x190
	v_mul_lo_u16 v2, v2, 20
	s_delay_alu instid0(VALU_DEP_1) | instskip(NEXT) | instid1(VALU_DEP_1)
	v_sub_nc_u16 v1, v1, v2
	v_and_b32_e32 v5, 0xff, v1
	v_and_b32_e32 v4, 0xffff, v0
	s_waitcnt lgkmcnt(0)
	s_add_u32 s6, s6, s16
	s_addc_u32 s7, s7, s15
	v_add_co_u32 v1, s6, s6, v0
	v_cndmask_b32_e32 v3, v3, v5, vcc_lo
	v_mul_u32_u24_e32 v4, 0xa4, v4
	v_add_co_ci_u32_e64 v2, null, s7, 0, s6
	s_delay_alu instid0(VALU_DEP_2)
	v_lshrrev_b32_e32 v8, 16, v4
	s_set_inst_prefetch_distance 0x1
	s_branch .LBB243_10
	.p2align	6
.LBB243_9:                              ;   in Loop: Header=BB243_10 Depth=1
	s_or_b32 exec_lo, exec_lo, s6
	s_add_i32 s11, s11, 1
	s_delay_alu instid0(SALU_CYCLE_1)
	s_cmp_lt_i32 s11, s9
	s_cbranch_scc0 .LBB243_12
.LBB243_10:                             ; =>This Inner Loop Header: Depth=1
	s_delay_alu instid0(VALU_DEP_1) | instskip(SKIP_1) | instid1(VALU_DEP_1)
	v_add_nc_u32_e32 v4, s11, v8
	s_mov_b32 s6, exec_lo
	v_cmpx_gt_i32_e64 s9, v4
	s_cbranch_execz .LBB243_9
; %bb.11:                               ;   in Loop: Header=BB243_10 Depth=1
	v_ashrrev_i32_e32 v5, 31, v4
	s_delay_alu instid0(VALU_DEP_1) | instskip(NEXT) | instid1(VALU_DEP_1)
	v_lshlrev_b64 v[4:5], 2, v[4:5]
	v_add_co_u32 v4, vcc_lo, s4, v4
	s_delay_alu instid0(VALU_DEP_2) | instskip(SKIP_3) | instid1(VALU_DEP_1)
	v_add_co_ci_u32_e32 v5, vcc_lo, s5, v5, vcc_lo
	global_load_b32 v4, v[4:5], off
	s_waitcnt vmcnt(0)
	v_subrev_nc_u32_e32 v9, s14, v4
	v_mad_u64_u32 v[4:5], null, v9, 20, v[3:4]
	s_delay_alu instid0(VALU_DEP_1) | instskip(SKIP_1) | instid1(VALU_DEP_2)
	v_ashrrev_i32_e32 v5, 31, v4
	v_add_co_u32 v4, vcc_lo, s0, v4
	v_add_co_ci_u32_e32 v5, vcc_lo, s1, v5, vcc_lo
	global_load_i8 v9, v[1:2], off
	global_load_i8 v4, v[4:5], off
	v_add_co_u32 v1, vcc_lo, 0x190, v1
	v_add_co_ci_u32_e32 v2, vcc_lo, 0, v2, vcc_lo
	s_waitcnt vmcnt(1)
	v_cvt_f32_i32_e32 v5, v9
	s_waitcnt vmcnt(0)
	v_cvt_f32_i32_e32 v4, v4
	s_delay_alu instid0(VALU_DEP_1)
	v_fmac_f32_e32 v6, v5, v4
	s_branch .LBB243_9
.LBB243_12:
	s_set_inst_prefetch_distance 0x2
	v_lshlrev_b32_e32 v1, 2, v0
	s_and_b32 vcc_lo, exec_lo, s3
	ds_store_b32 v1, v6
	s_waitcnt lgkmcnt(0)
	s_barrier
	buffer_gl0_inv
	s_cbranch_vccz .LBB243_24
; %bb.13:
	v_cmp_gt_u16_e32 vcc_lo, 4, v7
	s_and_saveexec_b32 s0, vcc_lo
	s_cbranch_execz .LBB243_15
; %bb.14:
	ds_load_2addr_b32 v[2:3], v1 offset1:16
	s_waitcnt lgkmcnt(0)
	v_add_f32_e32 v2, v3, v2
	ds_store_b32 v1, v2
.LBB243_15:
	s_or_b32 exec_lo, exec_lo, s0
	s_delay_alu instid0(SALU_CYCLE_1)
	s_mov_b32 s1, exec_lo
	s_waitcnt lgkmcnt(0)
	s_barrier
	buffer_gl0_inv
	v_cmpx_gt_u16_e32 8, v7
	s_cbranch_execz .LBB243_17
; %bb.16:
	ds_load_2addr_b32 v[2:3], v1 offset1:8
	s_waitcnt lgkmcnt(0)
	v_add_f32_e32 v2, v3, v2
	ds_store_b32 v1, v2
.LBB243_17:
	s_or_b32 exec_lo, exec_lo, s1
	s_waitcnt lgkmcnt(0)
	s_barrier
	buffer_gl0_inv
	s_and_saveexec_b32 s0, vcc_lo
	s_cbranch_execz .LBB243_19
; %bb.18:
	ds_load_2addr_b32 v[2:3], v1 offset1:4
	s_waitcnt lgkmcnt(0)
	v_add_f32_e32 v2, v3, v2
	ds_store_b32 v1, v2
.LBB243_19:
	s_or_b32 exec_lo, exec_lo, s0
	s_delay_alu instid0(SALU_CYCLE_1)
	s_mov_b32 s0, exec_lo
	s_waitcnt lgkmcnt(0)
	s_barrier
	buffer_gl0_inv
	v_cmpx_gt_u16_e32 2, v7
	s_cbranch_execz .LBB243_21
; %bb.20:
	ds_load_2addr_b32 v[2:3], v1 offset1:2
	s_waitcnt lgkmcnt(0)
	v_add_f32_e32 v2, v3, v2
	ds_store_b32 v1, v2
.LBB243_21:
	s_or_b32 exec_lo, exec_lo, s0
	s_mov_b32 s0, 0
	s_mov_b32 s1, 0
	s_mov_b32 s3, exec_lo
	s_waitcnt lgkmcnt(0)
	s_barrier
	buffer_gl0_inv
                                        ; implicit-def: $vgpr2
                                        ; implicit-def: $vgpr3
	v_cmpx_gt_u32_e32 20, v0
	s_xor_b32 s3, exec_lo, s3
; %bb.22:
	v_mul_u32_u24_e32 v2, 20, v0
	v_mad_u32_u24 v3, 0x4c, v0, v1
	s_mov_b32 s1, exec_lo
	s_delay_alu instid0(VALU_DEP_2)
	v_or_b32_e32 v2, 1, v2
; %bb.23:
	s_or_b32 exec_lo, exec_lo, s3
	s_delay_alu instid0(SALU_CYCLE_1)
	s_and_b32 vcc_lo, exec_lo, s0
	s_cbranch_vccnz .LBB243_25
	s_branch .LBB243_36
.LBB243_24:
	s_mov_b32 s1, 0
                                        ; implicit-def: $vgpr2
                                        ; implicit-def: $vgpr3
	s_cbranch_execz .LBB243_36
.LBB243_25:
	v_cmp_gt_u32_e32 vcc_lo, 0x50, v0
	s_and_saveexec_b32 s0, vcc_lo
	s_cbranch_execz .LBB243_27
; %bb.26:
	ds_load_2addr_stride64_b32 v[2:3], v1 offset1:5
	s_waitcnt lgkmcnt(0)
	v_add_f32_e32 v2, v3, v2
	ds_store_b32 v1, v2
.LBB243_27:
	s_or_b32 exec_lo, exec_lo, s0
	s_delay_alu instid0(SALU_CYCLE_1)
	s_mov_b32 s3, exec_lo
	s_waitcnt lgkmcnt(0)
	s_barrier
	buffer_gl0_inv
	v_cmpx_gt_u32_e32 0xa0, v0
	s_cbranch_execz .LBB243_29
; %bb.28:
	ds_load_2addr_b32 v[2:3], v1 offset1:160
	s_waitcnt lgkmcnt(0)
	v_add_f32_e32 v2, v3, v2
	ds_store_b32 v1, v2
.LBB243_29:
	s_or_b32 exec_lo, exec_lo, s3
	s_waitcnt lgkmcnt(0)
	s_barrier
	buffer_gl0_inv
	s_and_saveexec_b32 s0, vcc_lo
	s_cbranch_execz .LBB243_31
; %bb.30:
	ds_load_2addr_b32 v[2:3], v1 offset1:80
	s_waitcnt lgkmcnt(0)
	v_add_f32_e32 v2, v3, v2
	ds_store_b32 v1, v2
.LBB243_31:
	s_or_b32 exec_lo, exec_lo, s0
	s_delay_alu instid0(SALU_CYCLE_1)
	s_mov_b32 s0, exec_lo
	s_waitcnt lgkmcnt(0)
	s_barrier
	buffer_gl0_inv
	v_cmpx_gt_u32_e32 40, v0
	s_cbranch_execz .LBB243_33
; %bb.32:
	ds_load_2addr_b32 v[2:3], v1 offset1:40
	s_waitcnt lgkmcnt(0)
	v_add_f32_e32 v2, v3, v2
	ds_store_b32 v1, v2
.LBB243_33:
	s_or_b32 exec_lo, exec_lo, s0
	s_delay_alu instid0(SALU_CYCLE_1)
	s_mov_b32 s0, exec_lo
	s_waitcnt lgkmcnt(0)
	buffer_gl0_inv
                                        ; implicit-def: $vgpr2
	v_cmpx_gt_u32_e32 20, v0
; %bb.34:
	v_add_nc_u32_e32 v2, 20, v0
	s_or_b32 s1, s1, exec_lo
                                        ; implicit-def: $vgpr6
; %bb.35:
	s_or_b32 exec_lo, exec_lo, s0
	v_mov_b32_e32 v3, v1
.LBB243_36:
	s_and_saveexec_b32 s0, s1
	s_cbranch_execz .LBB243_38
; %bb.37:
	v_lshlrev_b32_e32 v1, 2, v2
	ds_load_b32 v2, v3
	ds_load_b32 v1, v1
	s_waitcnt lgkmcnt(0)
	v_add_f32_e32 v6, v2, v1
.LBB243_38:
	s_or_b32 exec_lo, exec_lo, s0
	s_delay_alu instid0(SALU_CYCLE_1)
	s_mov_b32 s0, exec_lo
	v_cmpx_gt_u32_e32 20, v0
	s_cbranch_execz .LBB243_42
; %bb.39:
	v_cmp_eq_f32_e64 s0, s2, 0
	v_mul_f32_e32 v1, s10, v6
	s_delay_alu instid0(VALU_DEP_2)
	s_and_b32 vcc_lo, exec_lo, s0
	s_mov_b32 s0, 0
	s_cbranch_vccz .LBB243_43
; %bb.40:
	s_delay_alu instid0(VALU_DEP_1) | instskip(SKIP_1) | instid1(VALU_DEP_1)
	v_mad_u64_u32 v[2:3], null, s8, 20, v[0:1]
	v_mov_b32_e32 v3, 0
	v_lshlrev_b64 v[2:3], 2, v[2:3]
	s_delay_alu instid0(VALU_DEP_1) | instskip(NEXT) | instid1(VALU_DEP_2)
	v_add_co_u32 v2, vcc_lo, s12, v2
	v_add_co_ci_u32_e32 v3, vcc_lo, s13, v3, vcc_lo
	global_store_b32 v[2:3], v1, off
	s_and_not1_b32 vcc_lo, exec_lo, s0
	s_cbranch_vccnz .LBB243_42
.LBB243_41:
	v_mad_u64_u32 v[2:3], null, s8, 20, v[0:1]
	v_mov_b32_e32 v3, 0
	s_delay_alu instid0(VALU_DEP_1) | instskip(NEXT) | instid1(VALU_DEP_1)
	v_lshlrev_b64 v[2:3], 2, v[2:3]
	v_add_co_u32 v2, vcc_lo, s12, v2
	s_delay_alu instid0(VALU_DEP_2)
	v_add_co_ci_u32_e32 v3, vcc_lo, s13, v3, vcc_lo
	global_load_b32 v0, v[2:3], off
	s_waitcnt vmcnt(0)
	v_fmac_f32_e32 v1, s2, v0
	global_store_b32 v[2:3], v1, off
.LBB243_42:
	s_nop 0
	s_sendmsg sendmsg(MSG_DEALLOC_VGPRS)
	s_endpgm
.LBB243_43:
	s_branch .LBB243_41
	.section	.rodata,"a",@progbits
	.p2align	6, 0x0
	.amdhsa_kernel _ZN9rocsparseL20bsrxmvn_17_32_kernelILj20EfiiaafEEvT2_20rocsparse_direction_NS_24const_host_device_scalarIT0_EES1_PKS1_PKT1_SA_S7_PKT3_PKT4_S5_PT5_21rocsparse_index_base_b
		.amdhsa_group_segment_fixed_size 1600
		.amdhsa_private_segment_fixed_size 0
		.amdhsa_kernarg_size 96
		.amdhsa_user_sgpr_count 15
		.amdhsa_user_sgpr_dispatch_ptr 0
		.amdhsa_user_sgpr_queue_ptr 0
		.amdhsa_user_sgpr_kernarg_segment_ptr 1
		.amdhsa_user_sgpr_dispatch_id 0
		.amdhsa_user_sgpr_private_segment_size 0
		.amdhsa_wavefront_size32 1
		.amdhsa_uses_dynamic_stack 0
		.amdhsa_enable_private_segment 0
		.amdhsa_system_sgpr_workgroup_id_x 1
		.amdhsa_system_sgpr_workgroup_id_y 0
		.amdhsa_system_sgpr_workgroup_id_z 0
		.amdhsa_system_sgpr_workgroup_info 0
		.amdhsa_system_vgpr_workitem_id 0
		.amdhsa_next_free_vgpr 10
		.amdhsa_next_free_sgpr 17
		.amdhsa_reserve_vcc 1
		.amdhsa_float_round_mode_32 0
		.amdhsa_float_round_mode_16_64 0
		.amdhsa_float_denorm_mode_32 3
		.amdhsa_float_denorm_mode_16_64 3
		.amdhsa_dx10_clamp 1
		.amdhsa_ieee_mode 1
		.amdhsa_fp16_overflow 0
		.amdhsa_workgroup_processor_mode 1
		.amdhsa_memory_ordered 1
		.amdhsa_forward_progress 0
		.amdhsa_shared_vgpr_count 0
		.amdhsa_exception_fp_ieee_invalid_op 0
		.amdhsa_exception_fp_denorm_src 0
		.amdhsa_exception_fp_ieee_div_zero 0
		.amdhsa_exception_fp_ieee_overflow 0
		.amdhsa_exception_fp_ieee_underflow 0
		.amdhsa_exception_fp_ieee_inexact 0
		.amdhsa_exception_int_div_zero 0
	.end_amdhsa_kernel
	.section	.text._ZN9rocsparseL20bsrxmvn_17_32_kernelILj20EfiiaafEEvT2_20rocsparse_direction_NS_24const_host_device_scalarIT0_EES1_PKS1_PKT1_SA_S7_PKT3_PKT4_S5_PT5_21rocsparse_index_base_b,"axG",@progbits,_ZN9rocsparseL20bsrxmvn_17_32_kernelILj20EfiiaafEEvT2_20rocsparse_direction_NS_24const_host_device_scalarIT0_EES1_PKS1_PKT1_SA_S7_PKT3_PKT4_S5_PT5_21rocsparse_index_base_b,comdat
.Lfunc_end243:
	.size	_ZN9rocsparseL20bsrxmvn_17_32_kernelILj20EfiiaafEEvT2_20rocsparse_direction_NS_24const_host_device_scalarIT0_EES1_PKS1_PKT1_SA_S7_PKT3_PKT4_S5_PT5_21rocsparse_index_base_b, .Lfunc_end243-_ZN9rocsparseL20bsrxmvn_17_32_kernelILj20EfiiaafEEvT2_20rocsparse_direction_NS_24const_host_device_scalarIT0_EES1_PKS1_PKT1_SA_S7_PKT3_PKT4_S5_PT5_21rocsparse_index_base_b
                                        ; -- End function
	.section	.AMDGPU.csdata,"",@progbits
; Kernel info:
; codeLenInByte = 1508
; NumSgprs: 19
; NumVgprs: 10
; ScratchSize: 0
; MemoryBound: 0
; FloatMode: 240
; IeeeMode: 1
; LDSByteSize: 1600 bytes/workgroup (compile time only)
; SGPRBlocks: 2
; VGPRBlocks: 1
; NumSGPRsForWavesPerEU: 19
; NumVGPRsForWavesPerEU: 10
; Occupancy: 13
; WaveLimiterHint : 1
; COMPUTE_PGM_RSRC2:SCRATCH_EN: 0
; COMPUTE_PGM_RSRC2:USER_SGPR: 15
; COMPUTE_PGM_RSRC2:TRAP_HANDLER: 0
; COMPUTE_PGM_RSRC2:TGID_X_EN: 1
; COMPUTE_PGM_RSRC2:TGID_Y_EN: 0
; COMPUTE_PGM_RSRC2:TGID_Z_EN: 0
; COMPUTE_PGM_RSRC2:TIDIG_COMP_CNT: 0
	.section	.text._ZN9rocsparseL20bsrxmvn_17_32_kernelILj21EfiiaafEEvT2_20rocsparse_direction_NS_24const_host_device_scalarIT0_EES1_PKS1_PKT1_SA_S7_PKT3_PKT4_S5_PT5_21rocsparse_index_base_b,"axG",@progbits,_ZN9rocsparseL20bsrxmvn_17_32_kernelILj21EfiiaafEEvT2_20rocsparse_direction_NS_24const_host_device_scalarIT0_EES1_PKS1_PKT1_SA_S7_PKT3_PKT4_S5_PT5_21rocsparse_index_base_b,comdat
	.globl	_ZN9rocsparseL20bsrxmvn_17_32_kernelILj21EfiiaafEEvT2_20rocsparse_direction_NS_24const_host_device_scalarIT0_EES1_PKS1_PKT1_SA_S7_PKT3_PKT4_S5_PT5_21rocsparse_index_base_b ; -- Begin function _ZN9rocsparseL20bsrxmvn_17_32_kernelILj21EfiiaafEEvT2_20rocsparse_direction_NS_24const_host_device_scalarIT0_EES1_PKS1_PKT1_SA_S7_PKT3_PKT4_S5_PT5_21rocsparse_index_base_b
	.p2align	8
	.type	_ZN9rocsparseL20bsrxmvn_17_32_kernelILj21EfiiaafEEvT2_20rocsparse_direction_NS_24const_host_device_scalarIT0_EES1_PKS1_PKT1_SA_S7_PKT3_PKT4_S5_PT5_21rocsparse_index_base_b,@function
_ZN9rocsparseL20bsrxmvn_17_32_kernelILj21EfiiaafEEvT2_20rocsparse_direction_NS_24const_host_device_scalarIT0_EES1_PKS1_PKT1_SA_S7_PKT3_PKT4_S5_PT5_21rocsparse_index_base_b: ; @_ZN9rocsparseL20bsrxmvn_17_32_kernelILj21EfiiaafEEvT2_20rocsparse_direction_NS_24const_host_device_scalarIT0_EES1_PKS1_PKT1_SA_S7_PKT3_PKT4_S5_PT5_21rocsparse_index_base_b
; %bb.0:
	s_mov_b32 s8, s15
	s_clause 0x2
	s_load_b64 s[14:15], s[0:1], 0x58
	s_load_b64 s[10:11], s[0:1], 0x8
	;; [unrolled: 1-line block ×3, first 2 shown]
	s_waitcnt lgkmcnt(0)
	s_bitcmp1_b32 s15, 0
	s_cselect_b32 s4, -1, 0
	s_delay_alu instid0(SALU_CYCLE_1)
	s_and_b32 vcc_lo, exec_lo, s4
	s_xor_b32 s4, s4, -1
	s_cbranch_vccnz .LBB244_2
; %bb.1:
	s_load_b32 s10, s[10:11], 0x0
.LBB244_2:
	s_and_not1_b32 vcc_lo, exec_lo, s4
	s_cbranch_vccnz .LBB244_4
; %bb.3:
	s_load_b32 s2, s[2:3], 0x0
.LBB244_4:
	s_waitcnt lgkmcnt(0)
	v_cmp_neq_f32_e64 s3, s10, 0
	v_cmp_neq_f32_e64 s4, s2, 1.0
	s_delay_alu instid0(VALU_DEP_1) | instskip(NEXT) | instid1(SALU_CYCLE_1)
	s_or_b32 s3, s3, s4
	s_and_not1_b32 vcc_lo, exec_lo, s3
	s_cbranch_vccnz .LBB244_42
; %bb.5:
	s_clause 0x1
	s_load_b128 s[4:7], s[0:1], 0x18
	s_load_b64 s[12:13], s[0:1], 0x28
	s_waitcnt lgkmcnt(0)
	s_cmp_eq_u64 s[4:5], 0
	s_cbranch_scc1 .LBB244_7
; %bb.6:
	s_ashr_i32 s9, s8, 31
	s_delay_alu instid0(SALU_CYCLE_1) | instskip(NEXT) | instid1(SALU_CYCLE_1)
	s_lshl_b64 s[8:9], s[8:9], 2
	s_add_u32 s4, s4, s8
	s_addc_u32 s5, s5, s9
	s_load_b32 s3, s[4:5], 0x0
	s_waitcnt lgkmcnt(0)
	s_sub_i32 s8, s3, s14
.LBB244_7:
	s_load_b32 s3, s[0:1], 0x4
	v_mul_u32_u24_e32 v1, 0xc31, v0
	v_mov_b32_e32 v6, 0
	s_delay_alu instid0(VALU_DEP_2) | instskip(NEXT) | instid1(VALU_DEP_1)
	v_lshrrev_b32_e32 v1, 16, v1
	v_mul_lo_u16 v2, v1, 21
	s_delay_alu instid0(VALU_DEP_1)
	v_sub_nc_u16 v7, v0, v2
	s_waitcnt lgkmcnt(0)
	s_cmp_eq_u32 s3, 1
	s_cselect_b32 vcc_lo, -1, 0
	s_cmp_lg_u32 s3, 1
	s_cselect_b32 s3, -1, 0
	s_ashr_i32 s9, s8, 31
	s_delay_alu instid0(SALU_CYCLE_1) | instskip(NEXT) | instid1(SALU_CYCLE_1)
	s_lshl_b64 s[4:5], s[8:9], 2
	s_add_u32 s6, s6, s4
	s_addc_u32 s7, s7, s5
	s_add_u32 s9, s6, 4
	s_addc_u32 s11, s7, 0
	s_add_u32 s4, s12, s4
	s_addc_u32 s5, s13, s5
	s_cmp_eq_u64 s[12:13], 0
	s_load_b64 s[12:13], s[0:1], 0x50
	s_cselect_b32 s5, s11, s5
	s_cselect_b32 s4, s9, s4
	s_load_b32 s11, s[6:7], 0x0
	s_load_b32 s9, s[4:5], 0x0
	s_waitcnt lgkmcnt(0)
	s_cmp_ge_i32 s11, s9
	s_cbranch_scc1 .LBB244_12
; %bb.8:
	v_mul_lo_u16 v2, v1, 25
	s_clause 0x1
	s_load_b128 s[4:7], s[0:1], 0x30
	s_load_b64 s[0:1], s[0:1], 0x40
	v_dual_mov_b32 v6, 0 :: v_dual_and_b32 v3, 0xffff, v7
	v_lshrrev_b16 v2, 9, v2
	s_sub_i32 s11, s11, s14
	s_sub_i32 s9, s9, s14
	s_mul_i32 s16, s11, 0x1b9
	s_mul_hi_i32 s15, s11, 0x1b9
	v_mul_lo_u16 v2, v2, 21
	s_delay_alu instid0(VALU_DEP_1) | instskip(NEXT) | instid1(VALU_DEP_1)
	v_sub_nc_u16 v1, v1, v2
	v_and_b32_e32 v5, 0xff, v1
	v_and_b32_e32 v4, 0xffff, v0
	s_waitcnt lgkmcnt(0)
	s_add_u32 s6, s6, s16
	s_addc_u32 s7, s7, s15
	v_add_co_u32 v1, s6, s6, v0
	v_cndmask_b32_e32 v3, v3, v5, vcc_lo
	v_mul_u32_u24_e32 v4, 0x253, v4
	v_add_co_ci_u32_e64 v2, null, s7, 0, s6
	s_delay_alu instid0(VALU_DEP_2)
	v_lshrrev_b32_e32 v8, 18, v4
	s_set_inst_prefetch_distance 0x1
	s_branch .LBB244_10
	.p2align	6
.LBB244_9:                              ;   in Loop: Header=BB244_10 Depth=1
	s_or_b32 exec_lo, exec_lo, s6
	s_add_i32 s11, s11, 1
	s_delay_alu instid0(SALU_CYCLE_1)
	s_cmp_lt_i32 s11, s9
	s_cbranch_scc0 .LBB244_12
.LBB244_10:                             ; =>This Inner Loop Header: Depth=1
	s_delay_alu instid0(VALU_DEP_1) | instskip(SKIP_1) | instid1(VALU_DEP_1)
	v_add_nc_u32_e32 v4, s11, v8
	s_mov_b32 s6, exec_lo
	v_cmpx_gt_i32_e64 s9, v4
	s_cbranch_execz .LBB244_9
; %bb.11:                               ;   in Loop: Header=BB244_10 Depth=1
	v_ashrrev_i32_e32 v5, 31, v4
	s_delay_alu instid0(VALU_DEP_1) | instskip(NEXT) | instid1(VALU_DEP_1)
	v_lshlrev_b64 v[4:5], 2, v[4:5]
	v_add_co_u32 v4, vcc_lo, s4, v4
	s_delay_alu instid0(VALU_DEP_2) | instskip(SKIP_3) | instid1(VALU_DEP_1)
	v_add_co_ci_u32_e32 v5, vcc_lo, s5, v5, vcc_lo
	global_load_b32 v4, v[4:5], off
	s_waitcnt vmcnt(0)
	v_subrev_nc_u32_e32 v9, s14, v4
	v_mad_u64_u32 v[4:5], null, v9, 21, v[3:4]
	s_delay_alu instid0(VALU_DEP_1) | instskip(SKIP_1) | instid1(VALU_DEP_2)
	v_ashrrev_i32_e32 v5, 31, v4
	v_add_co_u32 v4, vcc_lo, s0, v4
	v_add_co_ci_u32_e32 v5, vcc_lo, s1, v5, vcc_lo
	global_load_i8 v9, v[1:2], off
	global_load_i8 v4, v[4:5], off
	v_add_co_u32 v1, vcc_lo, 0x1b9, v1
	v_add_co_ci_u32_e32 v2, vcc_lo, 0, v2, vcc_lo
	s_waitcnt vmcnt(1)
	v_cvt_f32_i32_e32 v5, v9
	s_waitcnt vmcnt(0)
	v_cvt_f32_i32_e32 v4, v4
	s_delay_alu instid0(VALU_DEP_1)
	v_fmac_f32_e32 v6, v5, v4
	s_branch .LBB244_9
.LBB244_12:
	s_set_inst_prefetch_distance 0x2
	v_lshlrev_b32_e32 v1, 2, v0
	s_and_b32 vcc_lo, exec_lo, s3
	ds_store_b32 v1, v6
	s_waitcnt lgkmcnt(0)
	s_barrier
	buffer_gl0_inv
	s_cbranch_vccz .LBB244_24
; %bb.13:
	s_mov_b32 s0, exec_lo
	v_cmpx_gt_u16_e32 5, v7
	s_cbranch_execz .LBB244_15
; %bb.14:
	ds_load_2addr_b32 v[2:3], v1 offset1:16
	s_waitcnt lgkmcnt(0)
	v_add_f32_e32 v2, v3, v2
	ds_store_b32 v1, v2
.LBB244_15:
	s_or_b32 exec_lo, exec_lo, s0
	s_delay_alu instid0(SALU_CYCLE_1)
	s_mov_b32 s0, exec_lo
	s_waitcnt lgkmcnt(0)
	s_barrier
	buffer_gl0_inv
	v_cmpx_gt_u16_e32 8, v7
	s_cbranch_execz .LBB244_17
; %bb.16:
	ds_load_2addr_b32 v[2:3], v1 offset1:8
	s_waitcnt lgkmcnt(0)
	v_add_f32_e32 v2, v3, v2
	ds_store_b32 v1, v2
.LBB244_17:
	s_or_b32 exec_lo, exec_lo, s0
	s_delay_alu instid0(SALU_CYCLE_1)
	s_mov_b32 s0, exec_lo
	s_waitcnt lgkmcnt(0)
	s_barrier
	buffer_gl0_inv
	;; [unrolled: 14-line block ×3, first 2 shown]
	v_cmpx_gt_u16_e32 2, v7
	s_cbranch_execz .LBB244_21
; %bb.20:
	ds_load_2addr_b32 v[2:3], v1 offset1:2
	s_waitcnt lgkmcnt(0)
	v_add_f32_e32 v2, v3, v2
	ds_store_b32 v1, v2
.LBB244_21:
	s_or_b32 exec_lo, exec_lo, s0
	s_mov_b32 s1, 0
	s_mov_b32 s0, 0
	s_mov_b32 s3, exec_lo
	s_waitcnt lgkmcnt(0)
	s_barrier
	buffer_gl0_inv
                                        ; implicit-def: $vgpr2
                                        ; implicit-def: $vgpr3
	v_cmpx_gt_u32_e32 21, v0
	s_xor_b32 s3, exec_lo, s3
; %bb.22:
	v_mad_u32_u24 v2, v0, 21, 1
	v_mad_u32_u24 v3, 0x50, v0, v1
	s_mov_b32 s0, exec_lo
; %bb.23:
	s_or_b32 exec_lo, exec_lo, s3
	s_delay_alu instid0(SALU_CYCLE_1)
	s_and_b32 vcc_lo, exec_lo, s1
	s_cbranch_vccnz .LBB244_25
	s_branch .LBB244_36
.LBB244_24:
	s_mov_b32 s0, 0
                                        ; implicit-def: $vgpr2
                                        ; implicit-def: $vgpr3
	s_cbranch_execz .LBB244_36
.LBB244_25:
	s_mov_b32 s1, exec_lo
	v_cmpx_gt_u32_e32 0x69, v0
	s_cbranch_execz .LBB244_27
; %bb.26:
	ds_load_b32 v2, v1 offset:1344
	ds_load_b32 v3, v1
	s_waitcnt lgkmcnt(0)
	v_add_f32_e32 v2, v2, v3
	ds_store_b32 v1, v2
.LBB244_27:
	s_or_b32 exec_lo, exec_lo, s1
	s_delay_alu instid0(SALU_CYCLE_1)
	s_mov_b32 s1, exec_lo
	s_waitcnt lgkmcnt(0)
	s_barrier
	buffer_gl0_inv
	v_cmpx_gt_u32_e32 0xa8, v0
	s_cbranch_execz .LBB244_29
; %bb.28:
	ds_load_2addr_b32 v[2:3], v1 offset1:168
	s_waitcnt lgkmcnt(0)
	v_add_f32_e32 v2, v3, v2
	ds_store_b32 v1, v2
.LBB244_29:
	s_or_b32 exec_lo, exec_lo, s1
	s_delay_alu instid0(SALU_CYCLE_1)
	s_mov_b32 s1, exec_lo
	s_waitcnt lgkmcnt(0)
	s_barrier
	buffer_gl0_inv
	v_cmpx_gt_u32_e32 0x54, v0
	s_cbranch_execz .LBB244_31
; %bb.30:
	ds_load_2addr_b32 v[2:3], v1 offset1:84
	s_waitcnt lgkmcnt(0)
	v_add_f32_e32 v2, v3, v2
	ds_store_b32 v1, v2
.LBB244_31:
	;; [unrolled: 14-line block ×3, first 2 shown]
	s_or_b32 exec_lo, exec_lo, s1
	s_delay_alu instid0(SALU_CYCLE_1)
	s_mov_b32 s1, exec_lo
	s_waitcnt lgkmcnt(0)
	buffer_gl0_inv
                                        ; implicit-def: $vgpr2
	v_cmpx_gt_u32_e32 21, v0
; %bb.34:
	v_add_nc_u32_e32 v2, 21, v0
	s_or_b32 s0, s0, exec_lo
                                        ; implicit-def: $vgpr6
; %bb.35:
	s_or_b32 exec_lo, exec_lo, s1
	v_mov_b32_e32 v3, v1
.LBB244_36:
	s_and_saveexec_b32 s1, s0
	s_cbranch_execz .LBB244_38
; %bb.37:
	v_lshlrev_b32_e32 v1, 2, v2
	ds_load_b32 v2, v3
	ds_load_b32 v1, v1
	s_waitcnt lgkmcnt(0)
	v_add_f32_e32 v6, v2, v1
.LBB244_38:
	s_or_b32 exec_lo, exec_lo, s1
	s_delay_alu instid0(SALU_CYCLE_1)
	s_mov_b32 s0, exec_lo
	v_cmpx_gt_u32_e32 21, v0
	s_cbranch_execz .LBB244_42
; %bb.39:
	v_cmp_eq_f32_e64 s0, s2, 0
	v_mul_f32_e32 v1, s10, v6
	s_delay_alu instid0(VALU_DEP_2)
	s_and_b32 vcc_lo, exec_lo, s0
	s_mov_b32 s0, 0
	s_cbranch_vccz .LBB244_43
; %bb.40:
	s_delay_alu instid0(VALU_DEP_1) | instskip(SKIP_1) | instid1(VALU_DEP_1)
	v_mad_u64_u32 v[2:3], null, s8, 21, v[0:1]
	v_mov_b32_e32 v3, 0
	v_lshlrev_b64 v[2:3], 2, v[2:3]
	s_delay_alu instid0(VALU_DEP_1) | instskip(NEXT) | instid1(VALU_DEP_2)
	v_add_co_u32 v2, vcc_lo, s12, v2
	v_add_co_ci_u32_e32 v3, vcc_lo, s13, v3, vcc_lo
	global_store_b32 v[2:3], v1, off
	s_and_not1_b32 vcc_lo, exec_lo, s0
	s_cbranch_vccnz .LBB244_42
.LBB244_41:
	v_mad_u64_u32 v[2:3], null, s8, 21, v[0:1]
	v_mov_b32_e32 v3, 0
	s_delay_alu instid0(VALU_DEP_1) | instskip(NEXT) | instid1(VALU_DEP_1)
	v_lshlrev_b64 v[2:3], 2, v[2:3]
	v_add_co_u32 v2, vcc_lo, s12, v2
	s_delay_alu instid0(VALU_DEP_2)
	v_add_co_ci_u32_e32 v3, vcc_lo, s13, v3, vcc_lo
	global_load_b32 v0, v[2:3], off
	s_waitcnt vmcnt(0)
	v_fmac_f32_e32 v1, s2, v0
	global_store_b32 v[2:3], v1, off
.LBB244_42:
	s_nop 0
	s_sendmsg sendmsg(MSG_DEALLOC_VGPRS)
	s_endpgm
.LBB244_43:
	s_branch .LBB244_41
	.section	.rodata,"a",@progbits
	.p2align	6, 0x0
	.amdhsa_kernel _ZN9rocsparseL20bsrxmvn_17_32_kernelILj21EfiiaafEEvT2_20rocsparse_direction_NS_24const_host_device_scalarIT0_EES1_PKS1_PKT1_SA_S7_PKT3_PKT4_S5_PT5_21rocsparse_index_base_b
		.amdhsa_group_segment_fixed_size 1764
		.amdhsa_private_segment_fixed_size 0
		.amdhsa_kernarg_size 96
		.amdhsa_user_sgpr_count 15
		.amdhsa_user_sgpr_dispatch_ptr 0
		.amdhsa_user_sgpr_queue_ptr 0
		.amdhsa_user_sgpr_kernarg_segment_ptr 1
		.amdhsa_user_sgpr_dispatch_id 0
		.amdhsa_user_sgpr_private_segment_size 0
		.amdhsa_wavefront_size32 1
		.amdhsa_uses_dynamic_stack 0
		.amdhsa_enable_private_segment 0
		.amdhsa_system_sgpr_workgroup_id_x 1
		.amdhsa_system_sgpr_workgroup_id_y 0
		.amdhsa_system_sgpr_workgroup_id_z 0
		.amdhsa_system_sgpr_workgroup_info 0
		.amdhsa_system_vgpr_workitem_id 0
		.amdhsa_next_free_vgpr 10
		.amdhsa_next_free_sgpr 17
		.amdhsa_reserve_vcc 1
		.amdhsa_float_round_mode_32 0
		.amdhsa_float_round_mode_16_64 0
		.amdhsa_float_denorm_mode_32 3
		.amdhsa_float_denorm_mode_16_64 3
		.amdhsa_dx10_clamp 1
		.amdhsa_ieee_mode 1
		.amdhsa_fp16_overflow 0
		.amdhsa_workgroup_processor_mode 1
		.amdhsa_memory_ordered 1
		.amdhsa_forward_progress 0
		.amdhsa_shared_vgpr_count 0
		.amdhsa_exception_fp_ieee_invalid_op 0
		.amdhsa_exception_fp_denorm_src 0
		.amdhsa_exception_fp_ieee_div_zero 0
		.amdhsa_exception_fp_ieee_overflow 0
		.amdhsa_exception_fp_ieee_underflow 0
		.amdhsa_exception_fp_ieee_inexact 0
		.amdhsa_exception_int_div_zero 0
	.end_amdhsa_kernel
	.section	.text._ZN9rocsparseL20bsrxmvn_17_32_kernelILj21EfiiaafEEvT2_20rocsparse_direction_NS_24const_host_device_scalarIT0_EES1_PKS1_PKT1_SA_S7_PKT3_PKT4_S5_PT5_21rocsparse_index_base_b,"axG",@progbits,_ZN9rocsparseL20bsrxmvn_17_32_kernelILj21EfiiaafEEvT2_20rocsparse_direction_NS_24const_host_device_scalarIT0_EES1_PKS1_PKT1_SA_S7_PKT3_PKT4_S5_PT5_21rocsparse_index_base_b,comdat
.Lfunc_end244:
	.size	_ZN9rocsparseL20bsrxmvn_17_32_kernelILj21EfiiaafEEvT2_20rocsparse_direction_NS_24const_host_device_scalarIT0_EES1_PKS1_PKT1_SA_S7_PKT3_PKT4_S5_PT5_21rocsparse_index_base_b, .Lfunc_end244-_ZN9rocsparseL20bsrxmvn_17_32_kernelILj21EfiiaafEEvT2_20rocsparse_direction_NS_24const_host_device_scalarIT0_EES1_PKS1_PKT1_SA_S7_PKT3_PKT4_S5_PT5_21rocsparse_index_base_b
                                        ; -- End function
	.section	.AMDGPU.csdata,"",@progbits
; Kernel info:
; codeLenInByte = 1532
; NumSgprs: 19
; NumVgprs: 10
; ScratchSize: 0
; MemoryBound: 0
; FloatMode: 240
; IeeeMode: 1
; LDSByteSize: 1764 bytes/workgroup (compile time only)
; SGPRBlocks: 2
; VGPRBlocks: 1
; NumSGPRsForWavesPerEU: 19
; NumVGPRsForWavesPerEU: 10
; Occupancy: 14
; WaveLimiterHint : 1
; COMPUTE_PGM_RSRC2:SCRATCH_EN: 0
; COMPUTE_PGM_RSRC2:USER_SGPR: 15
; COMPUTE_PGM_RSRC2:TRAP_HANDLER: 0
; COMPUTE_PGM_RSRC2:TGID_X_EN: 1
; COMPUTE_PGM_RSRC2:TGID_Y_EN: 0
; COMPUTE_PGM_RSRC2:TGID_Z_EN: 0
; COMPUTE_PGM_RSRC2:TIDIG_COMP_CNT: 0
	.section	.text._ZN9rocsparseL20bsrxmvn_17_32_kernelILj22EfiiaafEEvT2_20rocsparse_direction_NS_24const_host_device_scalarIT0_EES1_PKS1_PKT1_SA_S7_PKT3_PKT4_S5_PT5_21rocsparse_index_base_b,"axG",@progbits,_ZN9rocsparseL20bsrxmvn_17_32_kernelILj22EfiiaafEEvT2_20rocsparse_direction_NS_24const_host_device_scalarIT0_EES1_PKS1_PKT1_SA_S7_PKT3_PKT4_S5_PT5_21rocsparse_index_base_b,comdat
	.globl	_ZN9rocsparseL20bsrxmvn_17_32_kernelILj22EfiiaafEEvT2_20rocsparse_direction_NS_24const_host_device_scalarIT0_EES1_PKS1_PKT1_SA_S7_PKT3_PKT4_S5_PT5_21rocsparse_index_base_b ; -- Begin function _ZN9rocsparseL20bsrxmvn_17_32_kernelILj22EfiiaafEEvT2_20rocsparse_direction_NS_24const_host_device_scalarIT0_EES1_PKS1_PKT1_SA_S7_PKT3_PKT4_S5_PT5_21rocsparse_index_base_b
	.p2align	8
	.type	_ZN9rocsparseL20bsrxmvn_17_32_kernelILj22EfiiaafEEvT2_20rocsparse_direction_NS_24const_host_device_scalarIT0_EES1_PKS1_PKT1_SA_S7_PKT3_PKT4_S5_PT5_21rocsparse_index_base_b,@function
_ZN9rocsparseL20bsrxmvn_17_32_kernelILj22EfiiaafEEvT2_20rocsparse_direction_NS_24const_host_device_scalarIT0_EES1_PKS1_PKT1_SA_S7_PKT3_PKT4_S5_PT5_21rocsparse_index_base_b: ; @_ZN9rocsparseL20bsrxmvn_17_32_kernelILj22EfiiaafEEvT2_20rocsparse_direction_NS_24const_host_device_scalarIT0_EES1_PKS1_PKT1_SA_S7_PKT3_PKT4_S5_PT5_21rocsparse_index_base_b
; %bb.0:
	s_mov_b32 s8, s15
	s_clause 0x2
	s_load_b64 s[14:15], s[0:1], 0x58
	s_load_b64 s[10:11], s[0:1], 0x8
	;; [unrolled: 1-line block ×3, first 2 shown]
	s_waitcnt lgkmcnt(0)
	s_bitcmp1_b32 s15, 0
	s_cselect_b32 s4, -1, 0
	s_delay_alu instid0(SALU_CYCLE_1)
	s_and_b32 vcc_lo, exec_lo, s4
	s_xor_b32 s4, s4, -1
	s_cbranch_vccnz .LBB245_2
; %bb.1:
	s_load_b32 s10, s[10:11], 0x0
.LBB245_2:
	s_and_not1_b32 vcc_lo, exec_lo, s4
	s_cbranch_vccnz .LBB245_4
; %bb.3:
	s_load_b32 s2, s[2:3], 0x0
.LBB245_4:
	s_waitcnt lgkmcnt(0)
	v_cmp_neq_f32_e64 s3, s10, 0
	v_cmp_neq_f32_e64 s4, s2, 1.0
	s_delay_alu instid0(VALU_DEP_1) | instskip(NEXT) | instid1(SALU_CYCLE_1)
	s_or_b32 s3, s3, s4
	s_and_not1_b32 vcc_lo, exec_lo, s3
	s_cbranch_vccnz .LBB245_42
; %bb.5:
	s_clause 0x1
	s_load_b128 s[4:7], s[0:1], 0x18
	s_load_b64 s[12:13], s[0:1], 0x28
	s_waitcnt lgkmcnt(0)
	s_cmp_eq_u64 s[4:5], 0
	s_cbranch_scc1 .LBB245_7
; %bb.6:
	s_ashr_i32 s9, s8, 31
	s_delay_alu instid0(SALU_CYCLE_1) | instskip(NEXT) | instid1(SALU_CYCLE_1)
	s_lshl_b64 s[8:9], s[8:9], 2
	s_add_u32 s4, s4, s8
	s_addc_u32 s5, s5, s9
	s_load_b32 s3, s[4:5], 0x0
	s_waitcnt lgkmcnt(0)
	s_sub_i32 s8, s3, s14
.LBB245_7:
	s_load_b32 s3, s[0:1], 0x4
	v_mul_u32_u24_e32 v1, 0xba3, v0
	v_mov_b32_e32 v6, 0
	s_delay_alu instid0(VALU_DEP_2) | instskip(NEXT) | instid1(VALU_DEP_1)
	v_lshrrev_b32_e32 v1, 16, v1
	v_mul_lo_u16 v2, v1, 22
	s_delay_alu instid0(VALU_DEP_1)
	v_sub_nc_u16 v7, v0, v2
	s_waitcnt lgkmcnt(0)
	s_cmp_eq_u32 s3, 1
	s_cselect_b32 vcc_lo, -1, 0
	s_cmp_lg_u32 s3, 1
	s_cselect_b32 s3, -1, 0
	s_ashr_i32 s9, s8, 31
	s_delay_alu instid0(SALU_CYCLE_1) | instskip(NEXT) | instid1(SALU_CYCLE_1)
	s_lshl_b64 s[4:5], s[8:9], 2
	s_add_u32 s6, s6, s4
	s_addc_u32 s7, s7, s5
	s_add_u32 s9, s6, 4
	s_addc_u32 s11, s7, 0
	s_add_u32 s4, s12, s4
	s_addc_u32 s5, s13, s5
	s_cmp_eq_u64 s[12:13], 0
	s_load_b64 s[12:13], s[0:1], 0x50
	s_cselect_b32 s5, s11, s5
	s_cselect_b32 s4, s9, s4
	s_load_b32 s11, s[6:7], 0x0
	s_load_b32 s9, s[4:5], 0x0
	s_waitcnt lgkmcnt(0)
	s_cmp_ge_i32 s11, s9
	s_cbranch_scc1 .LBB245_12
; %bb.8:
	v_mul_lo_u16 v2, v1, 12
	s_clause 0x1
	s_load_b128 s[4:7], s[0:1], 0x30
	s_load_b64 s[0:1], s[0:1], 0x40
	v_dual_mov_b32 v6, 0 :: v_dual_and_b32 v3, 0xffff, v7
	v_lshrrev_b16 v2, 8, v2
	s_sub_i32 s11, s11, s14
	s_sub_i32 s9, s9, s14
	s_mul_i32 s16, s11, 0x1e4
	s_mul_hi_i32 s15, s11, 0x1e4
	v_mul_lo_u16 v2, v2, 22
	s_delay_alu instid0(VALU_DEP_1) | instskip(NEXT) | instid1(VALU_DEP_1)
	v_sub_nc_u16 v1, v1, v2
	v_and_b32_e32 v5, 0xff, v1
	v_and_b32_e32 v4, 0xffff, v0
	s_waitcnt lgkmcnt(0)
	s_add_u32 s6, s6, s16
	s_addc_u32 s7, s7, s15
	v_add_co_u32 v1, s6, s6, v0
	v_cndmask_b32_e32 v3, v3, v5, vcc_lo
	v_mul_u32_u24_e32 v4, 0x10f, v4
	v_add_co_ci_u32_e64 v2, null, s7, 0, s6
	s_delay_alu instid0(VALU_DEP_2)
	v_lshrrev_b32_e32 v8, 17, v4
	s_set_inst_prefetch_distance 0x1
	s_branch .LBB245_10
	.p2align	6
.LBB245_9:                              ;   in Loop: Header=BB245_10 Depth=1
	s_or_b32 exec_lo, exec_lo, s6
	s_add_i32 s11, s11, 1
	s_delay_alu instid0(SALU_CYCLE_1)
	s_cmp_lt_i32 s11, s9
	s_cbranch_scc0 .LBB245_12
.LBB245_10:                             ; =>This Inner Loop Header: Depth=1
	s_delay_alu instid0(VALU_DEP_1) | instskip(SKIP_1) | instid1(VALU_DEP_1)
	v_add_nc_u32_e32 v4, s11, v8
	s_mov_b32 s6, exec_lo
	v_cmpx_gt_i32_e64 s9, v4
	s_cbranch_execz .LBB245_9
; %bb.11:                               ;   in Loop: Header=BB245_10 Depth=1
	v_ashrrev_i32_e32 v5, 31, v4
	s_delay_alu instid0(VALU_DEP_1) | instskip(NEXT) | instid1(VALU_DEP_1)
	v_lshlrev_b64 v[4:5], 2, v[4:5]
	v_add_co_u32 v4, vcc_lo, s4, v4
	s_delay_alu instid0(VALU_DEP_2) | instskip(SKIP_3) | instid1(VALU_DEP_1)
	v_add_co_ci_u32_e32 v5, vcc_lo, s5, v5, vcc_lo
	global_load_b32 v4, v[4:5], off
	s_waitcnt vmcnt(0)
	v_subrev_nc_u32_e32 v9, s14, v4
	v_mad_u64_u32 v[4:5], null, v9, 22, v[3:4]
	s_delay_alu instid0(VALU_DEP_1) | instskip(SKIP_1) | instid1(VALU_DEP_2)
	v_ashrrev_i32_e32 v5, 31, v4
	v_add_co_u32 v4, vcc_lo, s0, v4
	v_add_co_ci_u32_e32 v5, vcc_lo, s1, v5, vcc_lo
	global_load_i8 v9, v[1:2], off
	global_load_i8 v4, v[4:5], off
	v_add_co_u32 v1, vcc_lo, 0x1e4, v1
	v_add_co_ci_u32_e32 v2, vcc_lo, 0, v2, vcc_lo
	s_waitcnt vmcnt(1)
	v_cvt_f32_i32_e32 v5, v9
	s_waitcnt vmcnt(0)
	v_cvt_f32_i32_e32 v4, v4
	s_delay_alu instid0(VALU_DEP_1)
	v_fmac_f32_e32 v6, v5, v4
	s_branch .LBB245_9
.LBB245_12:
	s_set_inst_prefetch_distance 0x2
	v_lshlrev_b32_e32 v1, 2, v0
	s_and_b32 vcc_lo, exec_lo, s3
	ds_store_b32 v1, v6
	s_waitcnt lgkmcnt(0)
	s_barrier
	buffer_gl0_inv
	s_cbranch_vccz .LBB245_24
; %bb.13:
	s_mov_b32 s0, exec_lo
	v_cmpx_gt_u16_e32 6, v7
	s_cbranch_execz .LBB245_15
; %bb.14:
	ds_load_2addr_b32 v[2:3], v1 offset1:16
	s_waitcnt lgkmcnt(0)
	v_add_f32_e32 v2, v3, v2
	ds_store_b32 v1, v2
.LBB245_15:
	s_or_b32 exec_lo, exec_lo, s0
	s_delay_alu instid0(SALU_CYCLE_1)
	s_mov_b32 s0, exec_lo
	s_waitcnt lgkmcnt(0)
	s_barrier
	buffer_gl0_inv
	v_cmpx_gt_u16_e32 8, v7
	s_cbranch_execz .LBB245_17
; %bb.16:
	ds_load_2addr_b32 v[2:3], v1 offset1:8
	s_waitcnt lgkmcnt(0)
	v_add_f32_e32 v2, v3, v2
	ds_store_b32 v1, v2
.LBB245_17:
	s_or_b32 exec_lo, exec_lo, s0
	s_delay_alu instid0(SALU_CYCLE_1)
	s_mov_b32 s0, exec_lo
	s_waitcnt lgkmcnt(0)
	s_barrier
	buffer_gl0_inv
	;; [unrolled: 14-line block ×3, first 2 shown]
	v_cmpx_gt_u16_e32 2, v7
	s_cbranch_execz .LBB245_21
; %bb.20:
	ds_load_2addr_b32 v[2:3], v1 offset1:2
	s_waitcnt lgkmcnt(0)
	v_add_f32_e32 v2, v3, v2
	ds_store_b32 v1, v2
.LBB245_21:
	s_or_b32 exec_lo, exec_lo, s0
	s_mov_b32 s1, 0
	s_mov_b32 s0, 0
	s_mov_b32 s3, exec_lo
	s_waitcnt lgkmcnt(0)
	s_barrier
	buffer_gl0_inv
                                        ; implicit-def: $vgpr2
                                        ; implicit-def: $vgpr3
	v_cmpx_gt_u32_e32 22, v0
	s_xor_b32 s3, exec_lo, s3
; %bb.22:
	v_mul_u32_u24_e32 v2, 22, v0
	v_mad_u32_u24 v3, 0x54, v0, v1
	s_mov_b32 s0, exec_lo
	s_delay_alu instid0(VALU_DEP_2)
	v_or_b32_e32 v2, 1, v2
; %bb.23:
	s_or_b32 exec_lo, exec_lo, s3
	s_delay_alu instid0(SALU_CYCLE_1)
	s_and_b32 vcc_lo, exec_lo, s1
	s_cbranch_vccnz .LBB245_25
	s_branch .LBB245_36
.LBB245_24:
	s_mov_b32 s0, 0
                                        ; implicit-def: $vgpr2
                                        ; implicit-def: $vgpr3
	s_cbranch_execz .LBB245_36
.LBB245_25:
	s_mov_b32 s1, exec_lo
	v_cmpx_gt_u32_e32 0x84, v0
	s_cbranch_execz .LBB245_27
; %bb.26:
	ds_load_b32 v2, v1 offset:1408
	ds_load_b32 v3, v1
	s_waitcnt lgkmcnt(0)
	v_add_f32_e32 v2, v2, v3
	ds_store_b32 v1, v2
.LBB245_27:
	s_or_b32 exec_lo, exec_lo, s1
	s_delay_alu instid0(SALU_CYCLE_1)
	s_mov_b32 s1, exec_lo
	s_waitcnt lgkmcnt(0)
	s_barrier
	buffer_gl0_inv
	v_cmpx_gt_u32_e32 0xb0, v0
	s_cbranch_execz .LBB245_29
; %bb.28:
	ds_load_2addr_b32 v[2:3], v1 offset1:176
	s_waitcnt lgkmcnt(0)
	v_add_f32_e32 v2, v3, v2
	ds_store_b32 v1, v2
.LBB245_29:
	s_or_b32 exec_lo, exec_lo, s1
	s_delay_alu instid0(SALU_CYCLE_1)
	s_mov_b32 s1, exec_lo
	s_waitcnt lgkmcnt(0)
	s_barrier
	buffer_gl0_inv
	v_cmpx_gt_u32_e32 0x58, v0
	s_cbranch_execz .LBB245_31
; %bb.30:
	ds_load_2addr_b32 v[2:3], v1 offset1:88
	s_waitcnt lgkmcnt(0)
	v_add_f32_e32 v2, v3, v2
	ds_store_b32 v1, v2
.LBB245_31:
	s_or_b32 exec_lo, exec_lo, s1
	s_delay_alu instid0(SALU_CYCLE_1)
	s_mov_b32 s1, exec_lo
	s_waitcnt lgkmcnt(0)
	s_barrier
	buffer_gl0_inv
	v_cmpx_gt_u32_e32 44, v0
	s_cbranch_execz .LBB245_33
; %bb.32:
	ds_load_2addr_b32 v[2:3], v1 offset1:44
	s_waitcnt lgkmcnt(0)
	v_add_f32_e32 v2, v3, v2
	ds_store_b32 v1, v2
.LBB245_33:
	s_or_b32 exec_lo, exec_lo, s1
	s_delay_alu instid0(SALU_CYCLE_1)
	s_mov_b32 s1, exec_lo
	s_waitcnt lgkmcnt(0)
	buffer_gl0_inv
                                        ; implicit-def: $vgpr2
	v_cmpx_gt_u32_e32 22, v0
; %bb.34:
	v_add_nc_u32_e32 v2, 22, v0
	s_or_b32 s0, s0, exec_lo
                                        ; implicit-def: $vgpr6
; %bb.35:
	s_or_b32 exec_lo, exec_lo, s1
	v_mov_b32_e32 v3, v1
.LBB245_36:
	s_and_saveexec_b32 s1, s0
	s_cbranch_execz .LBB245_38
; %bb.37:
	v_lshlrev_b32_e32 v1, 2, v2
	ds_load_b32 v2, v3
	ds_load_b32 v1, v1
	s_waitcnt lgkmcnt(0)
	v_add_f32_e32 v6, v2, v1
.LBB245_38:
	s_or_b32 exec_lo, exec_lo, s1
	s_delay_alu instid0(SALU_CYCLE_1)
	s_mov_b32 s0, exec_lo
	v_cmpx_gt_u32_e32 22, v0
	s_cbranch_execz .LBB245_42
; %bb.39:
	v_cmp_eq_f32_e64 s0, s2, 0
	v_mul_f32_e32 v1, s10, v6
	s_delay_alu instid0(VALU_DEP_2)
	s_and_b32 vcc_lo, exec_lo, s0
	s_mov_b32 s0, 0
	s_cbranch_vccz .LBB245_43
; %bb.40:
	s_delay_alu instid0(VALU_DEP_1) | instskip(SKIP_1) | instid1(VALU_DEP_1)
	v_mad_u64_u32 v[2:3], null, s8, 22, v[0:1]
	v_mov_b32_e32 v3, 0
	v_lshlrev_b64 v[2:3], 2, v[2:3]
	s_delay_alu instid0(VALU_DEP_1) | instskip(NEXT) | instid1(VALU_DEP_2)
	v_add_co_u32 v2, vcc_lo, s12, v2
	v_add_co_ci_u32_e32 v3, vcc_lo, s13, v3, vcc_lo
	global_store_b32 v[2:3], v1, off
	s_and_not1_b32 vcc_lo, exec_lo, s0
	s_cbranch_vccnz .LBB245_42
.LBB245_41:
	v_mad_u64_u32 v[2:3], null, s8, 22, v[0:1]
	v_mov_b32_e32 v3, 0
	s_delay_alu instid0(VALU_DEP_1) | instskip(NEXT) | instid1(VALU_DEP_1)
	v_lshlrev_b64 v[2:3], 2, v[2:3]
	v_add_co_u32 v2, vcc_lo, s12, v2
	s_delay_alu instid0(VALU_DEP_2)
	v_add_co_ci_u32_e32 v3, vcc_lo, s13, v3, vcc_lo
	global_load_b32 v0, v[2:3], off
	s_waitcnt vmcnt(0)
	v_fmac_f32_e32 v1, s2, v0
	global_store_b32 v[2:3], v1, off
.LBB245_42:
	s_nop 0
	s_sendmsg sendmsg(MSG_DEALLOC_VGPRS)
	s_endpgm
.LBB245_43:
	s_branch .LBB245_41
	.section	.rodata,"a",@progbits
	.p2align	6, 0x0
	.amdhsa_kernel _ZN9rocsparseL20bsrxmvn_17_32_kernelILj22EfiiaafEEvT2_20rocsparse_direction_NS_24const_host_device_scalarIT0_EES1_PKS1_PKT1_SA_S7_PKT3_PKT4_S5_PT5_21rocsparse_index_base_b
		.amdhsa_group_segment_fixed_size 1936
		.amdhsa_private_segment_fixed_size 0
		.amdhsa_kernarg_size 96
		.amdhsa_user_sgpr_count 15
		.amdhsa_user_sgpr_dispatch_ptr 0
		.amdhsa_user_sgpr_queue_ptr 0
		.amdhsa_user_sgpr_kernarg_segment_ptr 1
		.amdhsa_user_sgpr_dispatch_id 0
		.amdhsa_user_sgpr_private_segment_size 0
		.amdhsa_wavefront_size32 1
		.amdhsa_uses_dynamic_stack 0
		.amdhsa_enable_private_segment 0
		.amdhsa_system_sgpr_workgroup_id_x 1
		.amdhsa_system_sgpr_workgroup_id_y 0
		.amdhsa_system_sgpr_workgroup_id_z 0
		.amdhsa_system_sgpr_workgroup_info 0
		.amdhsa_system_vgpr_workitem_id 0
		.amdhsa_next_free_vgpr 10
		.amdhsa_next_free_sgpr 17
		.amdhsa_reserve_vcc 1
		.amdhsa_float_round_mode_32 0
		.amdhsa_float_round_mode_16_64 0
		.amdhsa_float_denorm_mode_32 3
		.amdhsa_float_denorm_mode_16_64 3
		.amdhsa_dx10_clamp 1
		.amdhsa_ieee_mode 1
		.amdhsa_fp16_overflow 0
		.amdhsa_workgroup_processor_mode 1
		.amdhsa_memory_ordered 1
		.amdhsa_forward_progress 0
		.amdhsa_shared_vgpr_count 0
		.amdhsa_exception_fp_ieee_invalid_op 0
		.amdhsa_exception_fp_denorm_src 0
		.amdhsa_exception_fp_ieee_div_zero 0
		.amdhsa_exception_fp_ieee_overflow 0
		.amdhsa_exception_fp_ieee_underflow 0
		.amdhsa_exception_fp_ieee_inexact 0
		.amdhsa_exception_int_div_zero 0
	.end_amdhsa_kernel
	.section	.text._ZN9rocsparseL20bsrxmvn_17_32_kernelILj22EfiiaafEEvT2_20rocsparse_direction_NS_24const_host_device_scalarIT0_EES1_PKS1_PKT1_SA_S7_PKT3_PKT4_S5_PT5_21rocsparse_index_base_b,"axG",@progbits,_ZN9rocsparseL20bsrxmvn_17_32_kernelILj22EfiiaafEEvT2_20rocsparse_direction_NS_24const_host_device_scalarIT0_EES1_PKS1_PKT1_SA_S7_PKT3_PKT4_S5_PT5_21rocsparse_index_base_b,comdat
.Lfunc_end245:
	.size	_ZN9rocsparseL20bsrxmvn_17_32_kernelILj22EfiiaafEEvT2_20rocsparse_direction_NS_24const_host_device_scalarIT0_EES1_PKS1_PKT1_SA_S7_PKT3_PKT4_S5_PT5_21rocsparse_index_base_b, .Lfunc_end245-_ZN9rocsparseL20bsrxmvn_17_32_kernelILj22EfiiaafEEvT2_20rocsparse_direction_NS_24const_host_device_scalarIT0_EES1_PKS1_PKT1_SA_S7_PKT3_PKT4_S5_PT5_21rocsparse_index_base_b
                                        ; -- End function
	.section	.AMDGPU.csdata,"",@progbits
; Kernel info:
; codeLenInByte = 1536
; NumSgprs: 19
; NumVgprs: 10
; ScratchSize: 0
; MemoryBound: 0
; FloatMode: 240
; IeeeMode: 1
; LDSByteSize: 1936 bytes/workgroup (compile time only)
; SGPRBlocks: 2
; VGPRBlocks: 1
; NumSGPRsForWavesPerEU: 19
; NumVGPRsForWavesPerEU: 10
; Occupancy: 16
; WaveLimiterHint : 1
; COMPUTE_PGM_RSRC2:SCRATCH_EN: 0
; COMPUTE_PGM_RSRC2:USER_SGPR: 15
; COMPUTE_PGM_RSRC2:TRAP_HANDLER: 0
; COMPUTE_PGM_RSRC2:TGID_X_EN: 1
; COMPUTE_PGM_RSRC2:TGID_Y_EN: 0
; COMPUTE_PGM_RSRC2:TGID_Z_EN: 0
; COMPUTE_PGM_RSRC2:TIDIG_COMP_CNT: 0
	.section	.text._ZN9rocsparseL20bsrxmvn_17_32_kernelILj23EfiiaafEEvT2_20rocsparse_direction_NS_24const_host_device_scalarIT0_EES1_PKS1_PKT1_SA_S7_PKT3_PKT4_S5_PT5_21rocsparse_index_base_b,"axG",@progbits,_ZN9rocsparseL20bsrxmvn_17_32_kernelILj23EfiiaafEEvT2_20rocsparse_direction_NS_24const_host_device_scalarIT0_EES1_PKS1_PKT1_SA_S7_PKT3_PKT4_S5_PT5_21rocsparse_index_base_b,comdat
	.globl	_ZN9rocsparseL20bsrxmvn_17_32_kernelILj23EfiiaafEEvT2_20rocsparse_direction_NS_24const_host_device_scalarIT0_EES1_PKS1_PKT1_SA_S7_PKT3_PKT4_S5_PT5_21rocsparse_index_base_b ; -- Begin function _ZN9rocsparseL20bsrxmvn_17_32_kernelILj23EfiiaafEEvT2_20rocsparse_direction_NS_24const_host_device_scalarIT0_EES1_PKS1_PKT1_SA_S7_PKT3_PKT4_S5_PT5_21rocsparse_index_base_b
	.p2align	8
	.type	_ZN9rocsparseL20bsrxmvn_17_32_kernelILj23EfiiaafEEvT2_20rocsparse_direction_NS_24const_host_device_scalarIT0_EES1_PKS1_PKT1_SA_S7_PKT3_PKT4_S5_PT5_21rocsparse_index_base_b,@function
_ZN9rocsparseL20bsrxmvn_17_32_kernelILj23EfiiaafEEvT2_20rocsparse_direction_NS_24const_host_device_scalarIT0_EES1_PKS1_PKT1_SA_S7_PKT3_PKT4_S5_PT5_21rocsparse_index_base_b: ; @_ZN9rocsparseL20bsrxmvn_17_32_kernelILj23EfiiaafEEvT2_20rocsparse_direction_NS_24const_host_device_scalarIT0_EES1_PKS1_PKT1_SA_S7_PKT3_PKT4_S5_PT5_21rocsparse_index_base_b
; %bb.0:
	s_mov_b32 s8, s15
	s_clause 0x2
	s_load_b64 s[14:15], s[0:1], 0x58
	s_load_b64 s[10:11], s[0:1], 0x8
	;; [unrolled: 1-line block ×3, first 2 shown]
	s_waitcnt lgkmcnt(0)
	s_bitcmp1_b32 s15, 0
	s_cselect_b32 s4, -1, 0
	s_delay_alu instid0(SALU_CYCLE_1)
	s_and_b32 vcc_lo, exec_lo, s4
	s_xor_b32 s4, s4, -1
	s_cbranch_vccnz .LBB246_2
; %bb.1:
	s_load_b32 s10, s[10:11], 0x0
.LBB246_2:
	s_and_not1_b32 vcc_lo, exec_lo, s4
	s_cbranch_vccnz .LBB246_4
; %bb.3:
	s_load_b32 s2, s[2:3], 0x0
.LBB246_4:
	s_waitcnt lgkmcnt(0)
	v_cmp_neq_f32_e64 s3, s10, 0
	v_cmp_neq_f32_e64 s4, s2, 1.0
	s_delay_alu instid0(VALU_DEP_1) | instskip(NEXT) | instid1(SALU_CYCLE_1)
	s_or_b32 s3, s3, s4
	s_and_not1_b32 vcc_lo, exec_lo, s3
	s_cbranch_vccnz .LBB246_42
; %bb.5:
	s_clause 0x1
	s_load_b128 s[4:7], s[0:1], 0x18
	s_load_b64 s[12:13], s[0:1], 0x28
	s_waitcnt lgkmcnt(0)
	s_cmp_eq_u64 s[4:5], 0
	s_cbranch_scc1 .LBB246_7
; %bb.6:
	s_ashr_i32 s9, s8, 31
	s_delay_alu instid0(SALU_CYCLE_1) | instskip(NEXT) | instid1(SALU_CYCLE_1)
	s_lshl_b64 s[8:9], s[8:9], 2
	s_add_u32 s4, s4, s8
	s_addc_u32 s5, s5, s9
	s_load_b32 s3, s[4:5], 0x0
	s_waitcnt lgkmcnt(0)
	s_sub_i32 s8, s3, s14
.LBB246_7:
	s_load_b32 s3, s[0:1], 0x4
	v_mul_u32_u24_e32 v1, 0xb22, v0
	v_mov_b32_e32 v6, 0
	s_delay_alu instid0(VALU_DEP_2) | instskip(NEXT) | instid1(VALU_DEP_1)
	v_lshrrev_b32_e32 v1, 16, v1
	v_mul_lo_u16 v2, v1, 23
	s_delay_alu instid0(VALU_DEP_1)
	v_sub_nc_u16 v7, v0, v2
	s_waitcnt lgkmcnt(0)
	s_cmp_eq_u32 s3, 1
	s_cselect_b32 vcc_lo, -1, 0
	s_cmp_lg_u32 s3, 1
	s_cselect_b32 s3, -1, 0
	s_ashr_i32 s9, s8, 31
	s_delay_alu instid0(SALU_CYCLE_1) | instskip(NEXT) | instid1(SALU_CYCLE_1)
	s_lshl_b64 s[4:5], s[8:9], 2
	s_add_u32 s6, s6, s4
	s_addc_u32 s7, s7, s5
	s_add_u32 s9, s6, 4
	s_addc_u32 s11, s7, 0
	;; [unrolled: 2-line block ×3, first 2 shown]
	s_cmp_eq_u64 s[12:13], 0
	s_load_b64 s[12:13], s[0:1], 0x50
	s_cselect_b32 s5, s11, s5
	s_cselect_b32 s4, s9, s4
	s_load_b32 s9, s[6:7], 0x0
	s_load_b32 s11, s[4:5], 0x0
	s_waitcnt lgkmcnt(0)
	s_cmp_ge_i32 s9, s11
	s_cbranch_scc1 .LBB246_12
; %bb.8:
	s_clause 0x1
	s_load_b128 s[4:7], s[0:1], 0x30
	s_load_b64 s[16:17], s[0:1], 0x40
	v_dual_mov_b32 v6, 0 :: v_dual_and_b32 v1, 0xffff, v1
	v_cmp_gt_u32_e64 s0, 0x211, v0
	v_and_b32_e32 v3, 0xffff, v7
	s_sub_i32 s1, s11, s14
	s_delay_alu instid0(VALU_DEP_3) | instskip(NEXT) | instid1(VALU_DEP_1)
	v_subrev_nc_u32_e32 v2, 23, v1
	v_cndmask_b32_e64 v1, v2, v1, s0
	s_sub_i32 s0, s9, s14
	s_delay_alu instid0(SALU_CYCLE_1) | instskip(SKIP_1) | instid1(VALU_DEP_1)
	s_mul_i32 s11, s0, 0x211
	s_mul_hi_i32 s9, s0, 0x211
	v_cndmask_b32_e32 v1, v3, v1, vcc_lo
	v_cmp_lt_u32_e32 vcc_lo, 0x210, v0
	s_waitcnt lgkmcnt(0)
	s_add_u32 s6, s6, s11
	s_addc_u32 s7, s7, s9
	v_add_co_u32 v2, s6, s6, v0
	s_delay_alu instid0(VALU_DEP_1)
	v_add_co_ci_u32_e64 v3, null, s7, 0, s6
	v_cndmask_b32_e64 v8, 0, 1, vcc_lo
	s_set_inst_prefetch_distance 0x1
	s_branch .LBB246_10
	.p2align	6
.LBB246_9:                              ;   in Loop: Header=BB246_10 Depth=1
	s_or_b32 exec_lo, exec_lo, s6
	s_add_i32 s0, s0, 1
	s_delay_alu instid0(SALU_CYCLE_1)
	s_cmp_lt_i32 s0, s1
	s_cbranch_scc0 .LBB246_12
.LBB246_10:                             ; =>This Inner Loop Header: Depth=1
	s_delay_alu instid0(VALU_DEP_1) | instskip(SKIP_1) | instid1(VALU_DEP_1)
	v_add_nc_u32_e32 v4, s0, v8
	s_mov_b32 s6, exec_lo
	v_cmpx_gt_i32_e64 s1, v4
	s_cbranch_execz .LBB246_9
; %bb.11:                               ;   in Loop: Header=BB246_10 Depth=1
	v_ashrrev_i32_e32 v5, 31, v4
	s_delay_alu instid0(VALU_DEP_1) | instskip(NEXT) | instid1(VALU_DEP_1)
	v_lshlrev_b64 v[4:5], 2, v[4:5]
	v_add_co_u32 v4, vcc_lo, s4, v4
	s_delay_alu instid0(VALU_DEP_2) | instskip(SKIP_3) | instid1(VALU_DEP_1)
	v_add_co_ci_u32_e32 v5, vcc_lo, s5, v5, vcc_lo
	global_load_b32 v4, v[4:5], off
	s_waitcnt vmcnt(0)
	v_subrev_nc_u32_e32 v9, s14, v4
	v_mad_u64_u32 v[4:5], null, v9, 23, v[1:2]
	s_delay_alu instid0(VALU_DEP_1) | instskip(SKIP_1) | instid1(VALU_DEP_2)
	v_ashrrev_i32_e32 v5, 31, v4
	v_add_co_u32 v4, vcc_lo, s16, v4
	v_add_co_ci_u32_e32 v5, vcc_lo, s17, v5, vcc_lo
	global_load_i8 v9, v[2:3], off
	global_load_i8 v4, v[4:5], off
	v_add_co_u32 v2, vcc_lo, 0x211, v2
	v_add_co_ci_u32_e32 v3, vcc_lo, 0, v3, vcc_lo
	s_waitcnt vmcnt(1)
	v_cvt_f32_i32_e32 v5, v9
	s_waitcnt vmcnt(0)
	v_cvt_f32_i32_e32 v4, v4
	s_delay_alu instid0(VALU_DEP_1)
	v_fmac_f32_e32 v6, v5, v4
	s_branch .LBB246_9
.LBB246_12:
	s_set_inst_prefetch_distance 0x2
	v_lshlrev_b32_e32 v1, 2, v0
	s_and_b32 vcc_lo, exec_lo, s3
	ds_store_b32 v1, v6
	s_waitcnt lgkmcnt(0)
	s_barrier
	buffer_gl0_inv
	s_cbranch_vccz .LBB246_24
; %bb.13:
	s_mov_b32 s0, exec_lo
	v_cmpx_gt_u16_e32 7, v7
	s_cbranch_execz .LBB246_15
; %bb.14:
	ds_load_2addr_b32 v[2:3], v1 offset1:16
	s_waitcnt lgkmcnt(0)
	v_add_f32_e32 v2, v3, v2
	ds_store_b32 v1, v2
.LBB246_15:
	s_or_b32 exec_lo, exec_lo, s0
	s_delay_alu instid0(SALU_CYCLE_1)
	s_mov_b32 s0, exec_lo
	s_waitcnt lgkmcnt(0)
	s_barrier
	buffer_gl0_inv
	v_cmpx_gt_u16_e32 8, v7
	s_cbranch_execz .LBB246_17
; %bb.16:
	ds_load_2addr_b32 v[2:3], v1 offset1:8
	s_waitcnt lgkmcnt(0)
	v_add_f32_e32 v2, v3, v2
	ds_store_b32 v1, v2
.LBB246_17:
	s_or_b32 exec_lo, exec_lo, s0
	s_delay_alu instid0(SALU_CYCLE_1)
	s_mov_b32 s0, exec_lo
	s_waitcnt lgkmcnt(0)
	s_barrier
	buffer_gl0_inv
	v_cmpx_gt_u16_e32 4, v7
	s_cbranch_execz .LBB246_19
; %bb.18:
	ds_load_2addr_b32 v[2:3], v1 offset1:4
	s_waitcnt lgkmcnt(0)
	v_add_f32_e32 v2, v3, v2
	ds_store_b32 v1, v2
.LBB246_19:
	s_or_b32 exec_lo, exec_lo, s0
	s_delay_alu instid0(SALU_CYCLE_1)
	s_mov_b32 s0, exec_lo
	s_waitcnt lgkmcnt(0)
	s_barrier
	buffer_gl0_inv
	v_cmpx_gt_u16_e32 2, v7
	s_cbranch_execz .LBB246_21
; %bb.20:
	ds_load_2addr_b32 v[2:3], v1 offset1:2
	s_waitcnt lgkmcnt(0)
	v_add_f32_e32 v2, v3, v2
	ds_store_b32 v1, v2
.LBB246_21:
	s_or_b32 exec_lo, exec_lo, s0
	s_mov_b32 s1, 0
	s_mov_b32 s0, 0
	s_mov_b32 s3, exec_lo
	s_waitcnt lgkmcnt(0)
	s_barrier
	buffer_gl0_inv
                                        ; implicit-def: $vgpr2
                                        ; implicit-def: $vgpr3
	v_cmpx_gt_u32_e32 23, v0
	s_xor_b32 s3, exec_lo, s3
; %bb.22:
	v_mad_u32_u24 v2, v0, 23, 1
	v_mad_u32_u24 v3, 0x58, v0, v1
	s_mov_b32 s0, exec_lo
; %bb.23:
	s_or_b32 exec_lo, exec_lo, s3
	s_delay_alu instid0(SALU_CYCLE_1)
	s_and_b32 vcc_lo, exec_lo, s1
	s_cbranch_vccnz .LBB246_25
	s_branch .LBB246_36
.LBB246_24:
	s_mov_b32 s0, 0
                                        ; implicit-def: $vgpr2
                                        ; implicit-def: $vgpr3
	s_cbranch_execz .LBB246_36
.LBB246_25:
	s_mov_b32 s1, exec_lo
	v_cmpx_gt_u32_e32 0xa1, v0
	s_cbranch_execz .LBB246_27
; %bb.26:
	ds_load_b32 v2, v1 offset:1472
	ds_load_b32 v3, v1
	s_waitcnt lgkmcnt(0)
	v_add_f32_e32 v2, v2, v3
	ds_store_b32 v1, v2
.LBB246_27:
	s_or_b32 exec_lo, exec_lo, s1
	s_delay_alu instid0(SALU_CYCLE_1)
	s_mov_b32 s1, exec_lo
	s_waitcnt lgkmcnt(0)
	s_barrier
	buffer_gl0_inv
	v_cmpx_gt_u32_e32 0xb8, v0
	s_cbranch_execz .LBB246_29
; %bb.28:
	ds_load_2addr_b32 v[2:3], v1 offset1:184
	s_waitcnt lgkmcnt(0)
	v_add_f32_e32 v2, v3, v2
	ds_store_b32 v1, v2
.LBB246_29:
	s_or_b32 exec_lo, exec_lo, s1
	s_delay_alu instid0(SALU_CYCLE_1)
	s_mov_b32 s1, exec_lo
	s_waitcnt lgkmcnt(0)
	s_barrier
	buffer_gl0_inv
	v_cmpx_gt_u32_e32 0x5c, v0
	s_cbranch_execz .LBB246_31
; %bb.30:
	ds_load_2addr_b32 v[2:3], v1 offset1:92
	s_waitcnt lgkmcnt(0)
	v_add_f32_e32 v2, v3, v2
	ds_store_b32 v1, v2
.LBB246_31:
	;; [unrolled: 14-line block ×3, first 2 shown]
	s_or_b32 exec_lo, exec_lo, s1
	s_delay_alu instid0(SALU_CYCLE_1)
	s_mov_b32 s1, exec_lo
	s_waitcnt lgkmcnt(0)
	buffer_gl0_inv
                                        ; implicit-def: $vgpr2
	v_cmpx_gt_u32_e32 23, v0
; %bb.34:
	v_add_nc_u32_e32 v2, 23, v0
	s_or_b32 s0, s0, exec_lo
                                        ; implicit-def: $vgpr6
; %bb.35:
	s_or_b32 exec_lo, exec_lo, s1
	v_mov_b32_e32 v3, v1
.LBB246_36:
	s_and_saveexec_b32 s1, s0
	s_cbranch_execz .LBB246_38
; %bb.37:
	v_lshlrev_b32_e32 v1, 2, v2
	ds_load_b32 v2, v3
	ds_load_b32 v1, v1
	s_waitcnt lgkmcnt(0)
	v_add_f32_e32 v6, v2, v1
.LBB246_38:
	s_or_b32 exec_lo, exec_lo, s1
	s_delay_alu instid0(SALU_CYCLE_1)
	s_mov_b32 s0, exec_lo
	v_cmpx_gt_u32_e32 23, v0
	s_cbranch_execz .LBB246_42
; %bb.39:
	v_cmp_eq_f32_e64 s0, s2, 0
	v_mul_f32_e32 v1, s10, v6
	s_delay_alu instid0(VALU_DEP_2)
	s_and_b32 vcc_lo, exec_lo, s0
	s_mov_b32 s0, 0
	s_cbranch_vccz .LBB246_43
; %bb.40:
	s_delay_alu instid0(VALU_DEP_1) | instskip(SKIP_1) | instid1(VALU_DEP_1)
	v_mad_u64_u32 v[2:3], null, s8, 23, v[0:1]
	v_mov_b32_e32 v3, 0
	v_lshlrev_b64 v[2:3], 2, v[2:3]
	s_delay_alu instid0(VALU_DEP_1) | instskip(NEXT) | instid1(VALU_DEP_2)
	v_add_co_u32 v2, vcc_lo, s12, v2
	v_add_co_ci_u32_e32 v3, vcc_lo, s13, v3, vcc_lo
	global_store_b32 v[2:3], v1, off
	s_and_not1_b32 vcc_lo, exec_lo, s0
	s_cbranch_vccnz .LBB246_42
.LBB246_41:
	v_mad_u64_u32 v[2:3], null, s8, 23, v[0:1]
	v_mov_b32_e32 v3, 0
	s_delay_alu instid0(VALU_DEP_1) | instskip(NEXT) | instid1(VALU_DEP_1)
	v_lshlrev_b64 v[2:3], 2, v[2:3]
	v_add_co_u32 v2, vcc_lo, s12, v2
	s_delay_alu instid0(VALU_DEP_2)
	v_add_co_ci_u32_e32 v3, vcc_lo, s13, v3, vcc_lo
	global_load_b32 v0, v[2:3], off
	s_waitcnt vmcnt(0)
	v_fmac_f32_e32 v1, s2, v0
	global_store_b32 v[2:3], v1, off
.LBB246_42:
	s_nop 0
	s_sendmsg sendmsg(MSG_DEALLOC_VGPRS)
	s_endpgm
.LBB246_43:
	s_branch .LBB246_41
	.section	.rodata,"a",@progbits
	.p2align	6, 0x0
	.amdhsa_kernel _ZN9rocsparseL20bsrxmvn_17_32_kernelILj23EfiiaafEEvT2_20rocsparse_direction_NS_24const_host_device_scalarIT0_EES1_PKS1_PKT1_SA_S7_PKT3_PKT4_S5_PT5_21rocsparse_index_base_b
		.amdhsa_group_segment_fixed_size 2116
		.amdhsa_private_segment_fixed_size 0
		.amdhsa_kernarg_size 96
		.amdhsa_user_sgpr_count 15
		.amdhsa_user_sgpr_dispatch_ptr 0
		.amdhsa_user_sgpr_queue_ptr 0
		.amdhsa_user_sgpr_kernarg_segment_ptr 1
		.amdhsa_user_sgpr_dispatch_id 0
		.amdhsa_user_sgpr_private_segment_size 0
		.amdhsa_wavefront_size32 1
		.amdhsa_uses_dynamic_stack 0
		.amdhsa_enable_private_segment 0
		.amdhsa_system_sgpr_workgroup_id_x 1
		.amdhsa_system_sgpr_workgroup_id_y 0
		.amdhsa_system_sgpr_workgroup_id_z 0
		.amdhsa_system_sgpr_workgroup_info 0
		.amdhsa_system_vgpr_workitem_id 0
		.amdhsa_next_free_vgpr 10
		.amdhsa_next_free_sgpr 18
		.amdhsa_reserve_vcc 1
		.amdhsa_float_round_mode_32 0
		.amdhsa_float_round_mode_16_64 0
		.amdhsa_float_denorm_mode_32 3
		.amdhsa_float_denorm_mode_16_64 3
		.amdhsa_dx10_clamp 1
		.amdhsa_ieee_mode 1
		.amdhsa_fp16_overflow 0
		.amdhsa_workgroup_processor_mode 1
		.amdhsa_memory_ordered 1
		.amdhsa_forward_progress 0
		.amdhsa_shared_vgpr_count 0
		.amdhsa_exception_fp_ieee_invalid_op 0
		.amdhsa_exception_fp_denorm_src 0
		.amdhsa_exception_fp_ieee_div_zero 0
		.amdhsa_exception_fp_ieee_overflow 0
		.amdhsa_exception_fp_ieee_underflow 0
		.amdhsa_exception_fp_ieee_inexact 0
		.amdhsa_exception_int_div_zero 0
	.end_amdhsa_kernel
	.section	.text._ZN9rocsparseL20bsrxmvn_17_32_kernelILj23EfiiaafEEvT2_20rocsparse_direction_NS_24const_host_device_scalarIT0_EES1_PKS1_PKT1_SA_S7_PKT3_PKT4_S5_PT5_21rocsparse_index_base_b,"axG",@progbits,_ZN9rocsparseL20bsrxmvn_17_32_kernelILj23EfiiaafEEvT2_20rocsparse_direction_NS_24const_host_device_scalarIT0_EES1_PKS1_PKT1_SA_S7_PKT3_PKT4_S5_PT5_21rocsparse_index_base_b,comdat
.Lfunc_end246:
	.size	_ZN9rocsparseL20bsrxmvn_17_32_kernelILj23EfiiaafEEvT2_20rocsparse_direction_NS_24const_host_device_scalarIT0_EES1_PKS1_PKT1_SA_S7_PKT3_PKT4_S5_PT5_21rocsparse_index_base_b, .Lfunc_end246-_ZN9rocsparseL20bsrxmvn_17_32_kernelILj23EfiiaafEEvT2_20rocsparse_direction_NS_24const_host_device_scalarIT0_EES1_PKS1_PKT1_SA_S7_PKT3_PKT4_S5_PT5_21rocsparse_index_base_b
                                        ; -- End function
	.section	.AMDGPU.csdata,"",@progbits
; Kernel info:
; codeLenInByte = 1524
; NumSgprs: 20
; NumVgprs: 10
; ScratchSize: 0
; MemoryBound: 0
; FloatMode: 240
; IeeeMode: 1
; LDSByteSize: 2116 bytes/workgroup (compile time only)
; SGPRBlocks: 2
; VGPRBlocks: 1
; NumSGPRsForWavesPerEU: 20
; NumVGPRsForWavesPerEU: 10
; Occupancy: 13
; WaveLimiterHint : 1
; COMPUTE_PGM_RSRC2:SCRATCH_EN: 0
; COMPUTE_PGM_RSRC2:USER_SGPR: 15
; COMPUTE_PGM_RSRC2:TRAP_HANDLER: 0
; COMPUTE_PGM_RSRC2:TGID_X_EN: 1
; COMPUTE_PGM_RSRC2:TGID_Y_EN: 0
; COMPUTE_PGM_RSRC2:TGID_Z_EN: 0
; COMPUTE_PGM_RSRC2:TIDIG_COMP_CNT: 0
	.section	.text._ZN9rocsparseL20bsrxmvn_17_32_kernelILj24EfiiaafEEvT2_20rocsparse_direction_NS_24const_host_device_scalarIT0_EES1_PKS1_PKT1_SA_S7_PKT3_PKT4_S5_PT5_21rocsparse_index_base_b,"axG",@progbits,_ZN9rocsparseL20bsrxmvn_17_32_kernelILj24EfiiaafEEvT2_20rocsparse_direction_NS_24const_host_device_scalarIT0_EES1_PKS1_PKT1_SA_S7_PKT3_PKT4_S5_PT5_21rocsparse_index_base_b,comdat
	.globl	_ZN9rocsparseL20bsrxmvn_17_32_kernelILj24EfiiaafEEvT2_20rocsparse_direction_NS_24const_host_device_scalarIT0_EES1_PKS1_PKT1_SA_S7_PKT3_PKT4_S5_PT5_21rocsparse_index_base_b ; -- Begin function _ZN9rocsparseL20bsrxmvn_17_32_kernelILj24EfiiaafEEvT2_20rocsparse_direction_NS_24const_host_device_scalarIT0_EES1_PKS1_PKT1_SA_S7_PKT3_PKT4_S5_PT5_21rocsparse_index_base_b
	.p2align	8
	.type	_ZN9rocsparseL20bsrxmvn_17_32_kernelILj24EfiiaafEEvT2_20rocsparse_direction_NS_24const_host_device_scalarIT0_EES1_PKS1_PKT1_SA_S7_PKT3_PKT4_S5_PT5_21rocsparse_index_base_b,@function
_ZN9rocsparseL20bsrxmvn_17_32_kernelILj24EfiiaafEEvT2_20rocsparse_direction_NS_24const_host_device_scalarIT0_EES1_PKS1_PKT1_SA_S7_PKT3_PKT4_S5_PT5_21rocsparse_index_base_b: ; @_ZN9rocsparseL20bsrxmvn_17_32_kernelILj24EfiiaafEEvT2_20rocsparse_direction_NS_24const_host_device_scalarIT0_EES1_PKS1_PKT1_SA_S7_PKT3_PKT4_S5_PT5_21rocsparse_index_base_b
; %bb.0:
	s_mov_b32 s8, s15
	s_clause 0x2
	s_load_b64 s[14:15], s[0:1], 0x58
	s_load_b64 s[10:11], s[0:1], 0x8
	;; [unrolled: 1-line block ×3, first 2 shown]
	s_waitcnt lgkmcnt(0)
	s_bitcmp1_b32 s15, 0
	s_cselect_b32 s4, -1, 0
	s_delay_alu instid0(SALU_CYCLE_1)
	s_and_b32 vcc_lo, exec_lo, s4
	s_xor_b32 s4, s4, -1
	s_cbranch_vccnz .LBB247_2
; %bb.1:
	s_load_b32 s10, s[10:11], 0x0
.LBB247_2:
	s_and_not1_b32 vcc_lo, exec_lo, s4
	s_cbranch_vccnz .LBB247_4
; %bb.3:
	s_load_b32 s2, s[2:3], 0x0
.LBB247_4:
	s_waitcnt lgkmcnt(0)
	v_cmp_neq_f32_e64 s3, s10, 0
	v_cmp_neq_f32_e64 s4, s2, 1.0
	s_delay_alu instid0(VALU_DEP_1) | instskip(NEXT) | instid1(SALU_CYCLE_1)
	s_or_b32 s3, s3, s4
	s_and_not1_b32 vcc_lo, exec_lo, s3
	s_cbranch_vccnz .LBB247_42
; %bb.5:
	s_clause 0x1
	s_load_b128 s[4:7], s[0:1], 0x18
	s_load_b64 s[12:13], s[0:1], 0x28
	s_waitcnt lgkmcnt(0)
	s_cmp_eq_u64 s[4:5], 0
	s_cbranch_scc1 .LBB247_7
; %bb.6:
	s_ashr_i32 s9, s8, 31
	s_delay_alu instid0(SALU_CYCLE_1) | instskip(NEXT) | instid1(SALU_CYCLE_1)
	s_lshl_b64 s[8:9], s[8:9], 2
	s_add_u32 s4, s4, s8
	s_addc_u32 s5, s5, s9
	s_load_b32 s3, s[4:5], 0x0
	s_waitcnt lgkmcnt(0)
	s_sub_i32 s8, s3, s14
.LBB247_7:
	s_load_b32 s3, s[0:1], 0x4
	v_mul_u32_u24_e32 v1, 0xaab, v0
	v_mov_b32_e32 v6, 0
	s_delay_alu instid0(VALU_DEP_2) | instskip(NEXT) | instid1(VALU_DEP_1)
	v_lshrrev_b32_e32 v1, 16, v1
	v_mul_lo_u16 v2, v1, 24
	s_delay_alu instid0(VALU_DEP_1)
	v_sub_nc_u16 v7, v0, v2
	s_waitcnt lgkmcnt(0)
	s_cmp_eq_u32 s3, 1
	s_cselect_b32 vcc_lo, -1, 0
	s_cmp_lg_u32 s3, 1
	s_cselect_b32 s3, -1, 0
	s_ashr_i32 s9, s8, 31
	s_delay_alu instid0(SALU_CYCLE_1) | instskip(NEXT) | instid1(SALU_CYCLE_1)
	s_lshl_b64 s[4:5], s[8:9], 2
	s_add_u32 s6, s6, s4
	s_addc_u32 s7, s7, s5
	s_add_u32 s9, s6, 4
	s_addc_u32 s11, s7, 0
	;; [unrolled: 2-line block ×3, first 2 shown]
	s_cmp_eq_u64 s[12:13], 0
	s_load_b64 s[12:13], s[0:1], 0x50
	s_cselect_b32 s5, s11, s5
	s_cselect_b32 s4, s9, s4
	s_load_b32 s9, s[6:7], 0x0
	s_load_b32 s11, s[4:5], 0x0
	s_waitcnt lgkmcnt(0)
	s_cmp_ge_i32 s9, s11
	s_cbranch_scc1 .LBB247_12
; %bb.8:
	s_clause 0x1
	s_load_b128 s[4:7], s[0:1], 0x30
	s_load_b64 s[16:17], s[0:1], 0x40
	v_dual_mov_b32 v6, 0 :: v_dual_and_b32 v1, 0xffff, v1
	v_cmp_gt_u32_e64 s0, 0x240, v0
	v_and_b32_e32 v3, 0xffff, v7
	s_sub_i32 s1, s11, s14
	s_delay_alu instid0(VALU_DEP_3) | instskip(NEXT) | instid1(VALU_DEP_1)
	v_subrev_nc_u32_e32 v2, 24, v1
	v_cndmask_b32_e64 v1, v2, v1, s0
	s_sub_i32 s0, s9, s14
	s_delay_alu instid0(SALU_CYCLE_1) | instskip(SKIP_1) | instid1(VALU_DEP_1)
	s_mul_i32 s11, s0, 0x240
	s_mul_hi_i32 s9, s0, 0x240
	v_cndmask_b32_e32 v1, v3, v1, vcc_lo
	v_cmp_lt_u32_e32 vcc_lo, 0x23f, v0
	s_waitcnt lgkmcnt(0)
	s_add_u32 s6, s6, s11
	s_addc_u32 s7, s7, s9
	v_add_co_u32 v2, s6, s6, v0
	s_delay_alu instid0(VALU_DEP_1)
	v_add_co_ci_u32_e64 v3, null, s7, 0, s6
	v_cndmask_b32_e64 v8, 0, 1, vcc_lo
	s_set_inst_prefetch_distance 0x1
	s_branch .LBB247_10
	.p2align	6
.LBB247_9:                              ;   in Loop: Header=BB247_10 Depth=1
	s_or_b32 exec_lo, exec_lo, s6
	s_add_i32 s0, s0, 1
	s_delay_alu instid0(SALU_CYCLE_1)
	s_cmp_lt_i32 s0, s1
	s_cbranch_scc0 .LBB247_12
.LBB247_10:                             ; =>This Inner Loop Header: Depth=1
	s_delay_alu instid0(VALU_DEP_1) | instskip(SKIP_1) | instid1(VALU_DEP_1)
	v_add_nc_u32_e32 v4, s0, v8
	s_mov_b32 s6, exec_lo
	v_cmpx_gt_i32_e64 s1, v4
	s_cbranch_execz .LBB247_9
; %bb.11:                               ;   in Loop: Header=BB247_10 Depth=1
	v_ashrrev_i32_e32 v5, 31, v4
	s_delay_alu instid0(VALU_DEP_1) | instskip(NEXT) | instid1(VALU_DEP_1)
	v_lshlrev_b64 v[4:5], 2, v[4:5]
	v_add_co_u32 v4, vcc_lo, s4, v4
	s_delay_alu instid0(VALU_DEP_2) | instskip(SKIP_3) | instid1(VALU_DEP_1)
	v_add_co_ci_u32_e32 v5, vcc_lo, s5, v5, vcc_lo
	global_load_b32 v4, v[4:5], off
	s_waitcnt vmcnt(0)
	v_subrev_nc_u32_e32 v9, s14, v4
	v_mad_u64_u32 v[4:5], null, v9, 24, v[1:2]
	s_delay_alu instid0(VALU_DEP_1) | instskip(SKIP_1) | instid1(VALU_DEP_2)
	v_ashrrev_i32_e32 v5, 31, v4
	v_add_co_u32 v4, vcc_lo, s16, v4
	v_add_co_ci_u32_e32 v5, vcc_lo, s17, v5, vcc_lo
	global_load_i8 v9, v[2:3], off
	global_load_i8 v4, v[4:5], off
	v_add_co_u32 v2, vcc_lo, 0x240, v2
	v_add_co_ci_u32_e32 v3, vcc_lo, 0, v3, vcc_lo
	s_waitcnt vmcnt(1)
	v_cvt_f32_i32_e32 v5, v9
	s_waitcnt vmcnt(0)
	v_cvt_f32_i32_e32 v4, v4
	s_delay_alu instid0(VALU_DEP_1)
	v_fmac_f32_e32 v6, v5, v4
	s_branch .LBB247_9
.LBB247_12:
	s_set_inst_prefetch_distance 0x2
	v_lshlrev_b32_e32 v1, 2, v0
	s_and_b32 vcc_lo, exec_lo, s3
	ds_store_b32 v1, v6
	s_waitcnt lgkmcnt(0)
	s_barrier
	buffer_gl0_inv
	s_cbranch_vccz .LBB247_24
; %bb.13:
	v_cmp_gt_u16_e32 vcc_lo, 8, v7
	s_and_saveexec_b32 s0, vcc_lo
	s_cbranch_execz .LBB247_15
; %bb.14:
	ds_load_2addr_b32 v[2:3], v1 offset1:16
	s_waitcnt lgkmcnt(0)
	v_add_f32_e32 v2, v3, v2
	ds_store_b32 v1, v2
.LBB247_15:
	s_or_b32 exec_lo, exec_lo, s0
	s_waitcnt lgkmcnt(0)
	s_barrier
	buffer_gl0_inv
	s_and_saveexec_b32 s0, vcc_lo
	s_cbranch_execz .LBB247_17
; %bb.16:
	ds_load_2addr_b32 v[2:3], v1 offset1:8
	s_waitcnt lgkmcnt(0)
	v_add_f32_e32 v2, v3, v2
	ds_store_b32 v1, v2
.LBB247_17:
	s_or_b32 exec_lo, exec_lo, s0
	s_delay_alu instid0(SALU_CYCLE_1)
	s_mov_b32 s0, exec_lo
	s_waitcnt lgkmcnt(0)
	s_barrier
	buffer_gl0_inv
	v_cmpx_gt_u16_e32 4, v7
	s_cbranch_execz .LBB247_19
; %bb.18:
	ds_load_2addr_b32 v[2:3], v1 offset1:4
	s_waitcnt lgkmcnt(0)
	v_add_f32_e32 v2, v3, v2
	ds_store_b32 v1, v2
.LBB247_19:
	s_or_b32 exec_lo, exec_lo, s0
	s_delay_alu instid0(SALU_CYCLE_1)
	s_mov_b32 s0, exec_lo
	s_waitcnt lgkmcnt(0)
	s_barrier
	buffer_gl0_inv
	v_cmpx_gt_u16_e32 2, v7
	s_cbranch_execz .LBB247_21
; %bb.20:
	ds_load_2addr_b32 v[2:3], v1 offset1:2
	s_waitcnt lgkmcnt(0)
	v_add_f32_e32 v2, v3, v2
	ds_store_b32 v1, v2
.LBB247_21:
	s_or_b32 exec_lo, exec_lo, s0
	s_mov_b32 s1, 0
	s_mov_b32 s0, 0
	s_mov_b32 s3, exec_lo
	s_waitcnt lgkmcnt(0)
	s_barrier
	buffer_gl0_inv
                                        ; implicit-def: $vgpr2
                                        ; implicit-def: $vgpr3
	v_cmpx_gt_u32_e32 24, v0
	s_xor_b32 s3, exec_lo, s3
; %bb.22:
	v_mul_u32_u24_e32 v2, 24, v0
	v_mad_u32_u24 v3, 0x5c, v0, v1
	s_mov_b32 s0, exec_lo
	s_delay_alu instid0(VALU_DEP_2)
	v_or_b32_e32 v2, 1, v2
; %bb.23:
	s_or_b32 exec_lo, exec_lo, s3
	s_delay_alu instid0(SALU_CYCLE_1)
	s_and_b32 vcc_lo, exec_lo, s1
	s_cbranch_vccnz .LBB247_25
	s_branch .LBB247_36
.LBB247_24:
	s_mov_b32 s0, 0
                                        ; implicit-def: $vgpr2
                                        ; implicit-def: $vgpr3
	s_cbranch_execz .LBB247_36
.LBB247_25:
	v_cmp_gt_u32_e32 vcc_lo, 0xc0, v0
	s_and_saveexec_b32 s1, vcc_lo
	s_cbranch_execz .LBB247_27
; %bb.26:
	ds_load_2addr_stride64_b32 v[2:3], v1 offset1:6
	s_waitcnt lgkmcnt(0)
	v_add_f32_e32 v2, v3, v2
	ds_store_b32 v1, v2
.LBB247_27:
	s_or_b32 exec_lo, exec_lo, s1
	s_waitcnt lgkmcnt(0)
	s_barrier
	buffer_gl0_inv
	s_and_saveexec_b32 s1, vcc_lo
	s_cbranch_execz .LBB247_29
; %bb.28:
	ds_load_2addr_stride64_b32 v[2:3], v1 offset1:3
	s_waitcnt lgkmcnt(0)
	v_add_f32_e32 v2, v3, v2
	ds_store_b32 v1, v2
.LBB247_29:
	s_or_b32 exec_lo, exec_lo, s1
	s_delay_alu instid0(SALU_CYCLE_1)
	s_mov_b32 s1, exec_lo
	s_waitcnt lgkmcnt(0)
	s_barrier
	buffer_gl0_inv
	v_cmpx_gt_u32_e32 0x60, v0
	s_cbranch_execz .LBB247_31
; %bb.30:
	ds_load_2addr_b32 v[2:3], v1 offset1:96
	s_waitcnt lgkmcnt(0)
	v_add_f32_e32 v2, v3, v2
	ds_store_b32 v1, v2
.LBB247_31:
	s_or_b32 exec_lo, exec_lo, s1
	s_delay_alu instid0(SALU_CYCLE_1)
	s_mov_b32 s1, exec_lo
	s_waitcnt lgkmcnt(0)
	s_barrier
	buffer_gl0_inv
	v_cmpx_gt_u32_e32 48, v0
	s_cbranch_execz .LBB247_33
; %bb.32:
	ds_load_2addr_b32 v[2:3], v1 offset1:48
	s_waitcnt lgkmcnt(0)
	v_add_f32_e32 v2, v3, v2
	ds_store_b32 v1, v2
.LBB247_33:
	s_or_b32 exec_lo, exec_lo, s1
	s_delay_alu instid0(SALU_CYCLE_1)
	s_mov_b32 s1, exec_lo
	s_waitcnt lgkmcnt(0)
	buffer_gl0_inv
                                        ; implicit-def: $vgpr2
	v_cmpx_gt_u32_e32 24, v0
; %bb.34:
	v_add_nc_u32_e32 v2, 24, v0
	s_or_b32 s0, s0, exec_lo
                                        ; implicit-def: $vgpr6
; %bb.35:
	s_or_b32 exec_lo, exec_lo, s1
	v_mov_b32_e32 v3, v1
.LBB247_36:
	s_and_saveexec_b32 s1, s0
	s_cbranch_execz .LBB247_38
; %bb.37:
	v_lshlrev_b32_e32 v1, 2, v2
	ds_load_b32 v2, v3
	ds_load_b32 v1, v1
	s_waitcnt lgkmcnt(0)
	v_add_f32_e32 v6, v2, v1
.LBB247_38:
	s_or_b32 exec_lo, exec_lo, s1
	s_delay_alu instid0(SALU_CYCLE_1)
	s_mov_b32 s0, exec_lo
	v_cmpx_gt_u32_e32 24, v0
	s_cbranch_execz .LBB247_42
; %bb.39:
	v_cmp_eq_f32_e64 s0, s2, 0
	v_mul_f32_e32 v1, s10, v6
	s_delay_alu instid0(VALU_DEP_2)
	s_and_b32 vcc_lo, exec_lo, s0
	s_mov_b32 s0, 0
	s_cbranch_vccz .LBB247_43
; %bb.40:
	s_delay_alu instid0(VALU_DEP_1) | instskip(SKIP_1) | instid1(VALU_DEP_1)
	v_mad_u64_u32 v[2:3], null, s8, 24, v[0:1]
	v_mov_b32_e32 v3, 0
	v_lshlrev_b64 v[2:3], 2, v[2:3]
	s_delay_alu instid0(VALU_DEP_1) | instskip(NEXT) | instid1(VALU_DEP_2)
	v_add_co_u32 v2, vcc_lo, s12, v2
	v_add_co_ci_u32_e32 v3, vcc_lo, s13, v3, vcc_lo
	global_store_b32 v[2:3], v1, off
	s_and_not1_b32 vcc_lo, exec_lo, s0
	s_cbranch_vccnz .LBB247_42
.LBB247_41:
	v_mad_u64_u32 v[2:3], null, s8, 24, v[0:1]
	v_mov_b32_e32 v3, 0
	s_delay_alu instid0(VALU_DEP_1) | instskip(NEXT) | instid1(VALU_DEP_1)
	v_lshlrev_b64 v[2:3], 2, v[2:3]
	v_add_co_u32 v2, vcc_lo, s12, v2
	s_delay_alu instid0(VALU_DEP_2)
	v_add_co_ci_u32_e32 v3, vcc_lo, s13, v3, vcc_lo
	global_load_b32 v0, v[2:3], off
	s_waitcnt vmcnt(0)
	v_fmac_f32_e32 v1, s2, v0
	global_store_b32 v[2:3], v1, off
.LBB247_42:
	s_nop 0
	s_sendmsg sendmsg(MSG_DEALLOC_VGPRS)
	s_endpgm
.LBB247_43:
	s_branch .LBB247_41
	.section	.rodata,"a",@progbits
	.p2align	6, 0x0
	.amdhsa_kernel _ZN9rocsparseL20bsrxmvn_17_32_kernelILj24EfiiaafEEvT2_20rocsparse_direction_NS_24const_host_device_scalarIT0_EES1_PKS1_PKT1_SA_S7_PKT3_PKT4_S5_PT5_21rocsparse_index_base_b
		.amdhsa_group_segment_fixed_size 2304
		.amdhsa_private_segment_fixed_size 0
		.amdhsa_kernarg_size 96
		.amdhsa_user_sgpr_count 15
		.amdhsa_user_sgpr_dispatch_ptr 0
		.amdhsa_user_sgpr_queue_ptr 0
		.amdhsa_user_sgpr_kernarg_segment_ptr 1
		.amdhsa_user_sgpr_dispatch_id 0
		.amdhsa_user_sgpr_private_segment_size 0
		.amdhsa_wavefront_size32 1
		.amdhsa_uses_dynamic_stack 0
		.amdhsa_enable_private_segment 0
		.amdhsa_system_sgpr_workgroup_id_x 1
		.amdhsa_system_sgpr_workgroup_id_y 0
		.amdhsa_system_sgpr_workgroup_id_z 0
		.amdhsa_system_sgpr_workgroup_info 0
		.amdhsa_system_vgpr_workitem_id 0
		.amdhsa_next_free_vgpr 10
		.amdhsa_next_free_sgpr 18
		.amdhsa_reserve_vcc 1
		.amdhsa_float_round_mode_32 0
		.amdhsa_float_round_mode_16_64 0
		.amdhsa_float_denorm_mode_32 3
		.amdhsa_float_denorm_mode_16_64 3
		.amdhsa_dx10_clamp 1
		.amdhsa_ieee_mode 1
		.amdhsa_fp16_overflow 0
		.amdhsa_workgroup_processor_mode 1
		.amdhsa_memory_ordered 1
		.amdhsa_forward_progress 0
		.amdhsa_shared_vgpr_count 0
		.amdhsa_exception_fp_ieee_invalid_op 0
		.amdhsa_exception_fp_denorm_src 0
		.amdhsa_exception_fp_ieee_div_zero 0
		.amdhsa_exception_fp_ieee_overflow 0
		.amdhsa_exception_fp_ieee_underflow 0
		.amdhsa_exception_fp_ieee_inexact 0
		.amdhsa_exception_int_div_zero 0
	.end_amdhsa_kernel
	.section	.text._ZN9rocsparseL20bsrxmvn_17_32_kernelILj24EfiiaafEEvT2_20rocsparse_direction_NS_24const_host_device_scalarIT0_EES1_PKS1_PKT1_SA_S7_PKT3_PKT4_S5_PT5_21rocsparse_index_base_b,"axG",@progbits,_ZN9rocsparseL20bsrxmvn_17_32_kernelILj24EfiiaafEEvT2_20rocsparse_direction_NS_24const_host_device_scalarIT0_EES1_PKS1_PKT1_SA_S7_PKT3_PKT4_S5_PT5_21rocsparse_index_base_b,comdat
.Lfunc_end247:
	.size	_ZN9rocsparseL20bsrxmvn_17_32_kernelILj24EfiiaafEEvT2_20rocsparse_direction_NS_24const_host_device_scalarIT0_EES1_PKS1_PKT1_SA_S7_PKT3_PKT4_S5_PT5_21rocsparse_index_base_b, .Lfunc_end247-_ZN9rocsparseL20bsrxmvn_17_32_kernelILj24EfiiaafEEvT2_20rocsparse_direction_NS_24const_host_device_scalarIT0_EES1_PKS1_PKT1_SA_S7_PKT3_PKT4_S5_PT5_21rocsparse_index_base_b
                                        ; -- End function
	.section	.AMDGPU.csdata,"",@progbits
; Kernel info:
; codeLenInByte = 1500
; NumSgprs: 20
; NumVgprs: 10
; ScratchSize: 0
; MemoryBound: 0
; FloatMode: 240
; IeeeMode: 1
; LDSByteSize: 2304 bytes/workgroup (compile time only)
; SGPRBlocks: 2
; VGPRBlocks: 1
; NumSGPRsForWavesPerEU: 20
; NumVGPRsForWavesPerEU: 10
; Occupancy: 14
; WaveLimiterHint : 1
; COMPUTE_PGM_RSRC2:SCRATCH_EN: 0
; COMPUTE_PGM_RSRC2:USER_SGPR: 15
; COMPUTE_PGM_RSRC2:TRAP_HANDLER: 0
; COMPUTE_PGM_RSRC2:TGID_X_EN: 1
; COMPUTE_PGM_RSRC2:TGID_Y_EN: 0
; COMPUTE_PGM_RSRC2:TGID_Z_EN: 0
; COMPUTE_PGM_RSRC2:TIDIG_COMP_CNT: 0
	.section	.text._ZN9rocsparseL20bsrxmvn_17_32_kernelILj25EfiiaafEEvT2_20rocsparse_direction_NS_24const_host_device_scalarIT0_EES1_PKS1_PKT1_SA_S7_PKT3_PKT4_S5_PT5_21rocsparse_index_base_b,"axG",@progbits,_ZN9rocsparseL20bsrxmvn_17_32_kernelILj25EfiiaafEEvT2_20rocsparse_direction_NS_24const_host_device_scalarIT0_EES1_PKS1_PKT1_SA_S7_PKT3_PKT4_S5_PT5_21rocsparse_index_base_b,comdat
	.globl	_ZN9rocsparseL20bsrxmvn_17_32_kernelILj25EfiiaafEEvT2_20rocsparse_direction_NS_24const_host_device_scalarIT0_EES1_PKS1_PKT1_SA_S7_PKT3_PKT4_S5_PT5_21rocsparse_index_base_b ; -- Begin function _ZN9rocsparseL20bsrxmvn_17_32_kernelILj25EfiiaafEEvT2_20rocsparse_direction_NS_24const_host_device_scalarIT0_EES1_PKS1_PKT1_SA_S7_PKT3_PKT4_S5_PT5_21rocsparse_index_base_b
	.p2align	8
	.type	_ZN9rocsparseL20bsrxmvn_17_32_kernelILj25EfiiaafEEvT2_20rocsparse_direction_NS_24const_host_device_scalarIT0_EES1_PKS1_PKT1_SA_S7_PKT3_PKT4_S5_PT5_21rocsparse_index_base_b,@function
_ZN9rocsparseL20bsrxmvn_17_32_kernelILj25EfiiaafEEvT2_20rocsparse_direction_NS_24const_host_device_scalarIT0_EES1_PKS1_PKT1_SA_S7_PKT3_PKT4_S5_PT5_21rocsparse_index_base_b: ; @_ZN9rocsparseL20bsrxmvn_17_32_kernelILj25EfiiaafEEvT2_20rocsparse_direction_NS_24const_host_device_scalarIT0_EES1_PKS1_PKT1_SA_S7_PKT3_PKT4_S5_PT5_21rocsparse_index_base_b
; %bb.0:
	s_mov_b32 s8, s15
	s_clause 0x2
	s_load_b64 s[14:15], s[0:1], 0x58
	s_load_b64 s[10:11], s[0:1], 0x8
	;; [unrolled: 1-line block ×3, first 2 shown]
	s_waitcnt lgkmcnt(0)
	s_bitcmp1_b32 s15, 0
	s_cselect_b32 s4, -1, 0
	s_delay_alu instid0(SALU_CYCLE_1)
	s_and_b32 vcc_lo, exec_lo, s4
	s_xor_b32 s4, s4, -1
	s_cbranch_vccnz .LBB248_2
; %bb.1:
	s_load_b32 s10, s[10:11], 0x0
.LBB248_2:
	s_and_not1_b32 vcc_lo, exec_lo, s4
	s_cbranch_vccnz .LBB248_4
; %bb.3:
	s_load_b32 s2, s[2:3], 0x0
.LBB248_4:
	s_waitcnt lgkmcnt(0)
	v_cmp_neq_f32_e64 s3, s10, 0
	v_cmp_neq_f32_e64 s4, s2, 1.0
	s_delay_alu instid0(VALU_DEP_1) | instskip(NEXT) | instid1(SALU_CYCLE_1)
	s_or_b32 s3, s3, s4
	s_and_not1_b32 vcc_lo, exec_lo, s3
	s_cbranch_vccnz .LBB248_42
; %bb.5:
	s_clause 0x1
	s_load_b128 s[4:7], s[0:1], 0x18
	s_load_b64 s[12:13], s[0:1], 0x28
	s_waitcnt lgkmcnt(0)
	s_cmp_eq_u64 s[4:5], 0
	s_cbranch_scc1 .LBB248_7
; %bb.6:
	s_ashr_i32 s9, s8, 31
	s_delay_alu instid0(SALU_CYCLE_1) | instskip(NEXT) | instid1(SALU_CYCLE_1)
	s_lshl_b64 s[8:9], s[8:9], 2
	s_add_u32 s4, s4, s8
	s_addc_u32 s5, s5, s9
	s_load_b32 s3, s[4:5], 0x0
	s_waitcnt lgkmcnt(0)
	s_sub_i32 s8, s3, s14
.LBB248_7:
	s_load_b32 s3, s[0:1], 0x4
	v_mul_u32_u24_e32 v1, 0xa3e, v0
	v_mov_b32_e32 v6, 0
	s_delay_alu instid0(VALU_DEP_2) | instskip(NEXT) | instid1(VALU_DEP_1)
	v_lshrrev_b32_e32 v1, 16, v1
	v_mul_lo_u16 v2, v1, 25
	s_delay_alu instid0(VALU_DEP_1)
	v_sub_nc_u16 v7, v0, v2
	s_waitcnt lgkmcnt(0)
	s_cmp_eq_u32 s3, 1
	s_cselect_b32 vcc_lo, -1, 0
	s_cmp_lg_u32 s3, 1
	s_cselect_b32 s3, -1, 0
	s_ashr_i32 s9, s8, 31
	s_delay_alu instid0(SALU_CYCLE_1) | instskip(NEXT) | instid1(SALU_CYCLE_1)
	s_lshl_b64 s[4:5], s[8:9], 2
	s_add_u32 s6, s6, s4
	s_addc_u32 s7, s7, s5
	s_add_u32 s9, s6, 4
	s_addc_u32 s11, s7, 0
	;; [unrolled: 2-line block ×3, first 2 shown]
	s_cmp_eq_u64 s[12:13], 0
	s_load_b64 s[12:13], s[0:1], 0x50
	s_cselect_b32 s5, s11, s5
	s_cselect_b32 s4, s9, s4
	s_load_b32 s9, s[6:7], 0x0
	s_load_b32 s11, s[4:5], 0x0
	s_waitcnt lgkmcnt(0)
	s_cmp_ge_i32 s9, s11
	s_cbranch_scc1 .LBB248_12
; %bb.8:
	s_clause 0x1
	s_load_b128 s[4:7], s[0:1], 0x30
	s_load_b64 s[16:17], s[0:1], 0x40
	v_dual_mov_b32 v6, 0 :: v_dual_and_b32 v1, 0xffff, v1
	v_cmp_gt_u32_e64 s0, 0x271, v0
	v_and_b32_e32 v3, 0xffff, v7
	s_sub_i32 s1, s11, s14
	s_delay_alu instid0(VALU_DEP_3) | instskip(NEXT) | instid1(VALU_DEP_1)
	v_subrev_nc_u32_e32 v2, 25, v1
	v_cndmask_b32_e64 v1, v2, v1, s0
	s_sub_i32 s0, s9, s14
	s_delay_alu instid0(SALU_CYCLE_1) | instskip(SKIP_1) | instid1(VALU_DEP_1)
	s_mul_i32 s11, s0, 0x271
	s_mul_hi_i32 s9, s0, 0x271
	v_cndmask_b32_e32 v1, v3, v1, vcc_lo
	v_cmp_lt_u32_e32 vcc_lo, 0x270, v0
	s_waitcnt lgkmcnt(0)
	s_add_u32 s6, s6, s11
	s_addc_u32 s7, s7, s9
	v_add_co_u32 v2, s6, s6, v0
	s_delay_alu instid0(VALU_DEP_1)
	v_add_co_ci_u32_e64 v3, null, s7, 0, s6
	v_cndmask_b32_e64 v8, 0, 1, vcc_lo
	s_set_inst_prefetch_distance 0x1
	s_branch .LBB248_10
	.p2align	6
.LBB248_9:                              ;   in Loop: Header=BB248_10 Depth=1
	s_or_b32 exec_lo, exec_lo, s6
	s_add_i32 s0, s0, 1
	s_delay_alu instid0(SALU_CYCLE_1)
	s_cmp_lt_i32 s0, s1
	s_cbranch_scc0 .LBB248_12
.LBB248_10:                             ; =>This Inner Loop Header: Depth=1
	s_delay_alu instid0(VALU_DEP_1) | instskip(SKIP_1) | instid1(VALU_DEP_1)
	v_add_nc_u32_e32 v4, s0, v8
	s_mov_b32 s6, exec_lo
	v_cmpx_gt_i32_e64 s1, v4
	s_cbranch_execz .LBB248_9
; %bb.11:                               ;   in Loop: Header=BB248_10 Depth=1
	v_ashrrev_i32_e32 v5, 31, v4
	s_delay_alu instid0(VALU_DEP_1) | instskip(NEXT) | instid1(VALU_DEP_1)
	v_lshlrev_b64 v[4:5], 2, v[4:5]
	v_add_co_u32 v4, vcc_lo, s4, v4
	s_delay_alu instid0(VALU_DEP_2) | instskip(SKIP_3) | instid1(VALU_DEP_1)
	v_add_co_ci_u32_e32 v5, vcc_lo, s5, v5, vcc_lo
	global_load_b32 v4, v[4:5], off
	s_waitcnt vmcnt(0)
	v_subrev_nc_u32_e32 v9, s14, v4
	v_mad_u64_u32 v[4:5], null, v9, 25, v[1:2]
	s_delay_alu instid0(VALU_DEP_1) | instskip(SKIP_1) | instid1(VALU_DEP_2)
	v_ashrrev_i32_e32 v5, 31, v4
	v_add_co_u32 v4, vcc_lo, s16, v4
	v_add_co_ci_u32_e32 v5, vcc_lo, s17, v5, vcc_lo
	global_load_i8 v9, v[2:3], off
	global_load_i8 v4, v[4:5], off
	v_add_co_u32 v2, vcc_lo, 0x271, v2
	v_add_co_ci_u32_e32 v3, vcc_lo, 0, v3, vcc_lo
	s_waitcnt vmcnt(1)
	v_cvt_f32_i32_e32 v5, v9
	s_waitcnt vmcnt(0)
	v_cvt_f32_i32_e32 v4, v4
	s_delay_alu instid0(VALU_DEP_1)
	v_fmac_f32_e32 v6, v5, v4
	s_branch .LBB248_9
.LBB248_12:
	s_set_inst_prefetch_distance 0x2
	v_lshlrev_b32_e32 v1, 2, v0
	s_and_b32 vcc_lo, exec_lo, s3
	ds_store_b32 v1, v6
	s_waitcnt lgkmcnt(0)
	s_barrier
	buffer_gl0_inv
	s_cbranch_vccz .LBB248_24
; %bb.13:
	s_mov_b32 s0, exec_lo
	v_cmpx_gt_u16_e32 9, v7
	s_cbranch_execz .LBB248_15
; %bb.14:
	ds_load_2addr_b32 v[2:3], v1 offset1:16
	s_waitcnt lgkmcnt(0)
	v_add_f32_e32 v2, v3, v2
	ds_store_b32 v1, v2
.LBB248_15:
	s_or_b32 exec_lo, exec_lo, s0
	s_delay_alu instid0(SALU_CYCLE_1)
	s_mov_b32 s0, exec_lo
	s_waitcnt lgkmcnt(0)
	s_barrier
	buffer_gl0_inv
	v_cmpx_gt_u16_e32 8, v7
	s_cbranch_execz .LBB248_17
; %bb.16:
	ds_load_2addr_b32 v[2:3], v1 offset1:8
	s_waitcnt lgkmcnt(0)
	v_add_f32_e32 v2, v3, v2
	ds_store_b32 v1, v2
.LBB248_17:
	s_or_b32 exec_lo, exec_lo, s0
	s_delay_alu instid0(SALU_CYCLE_1)
	s_mov_b32 s0, exec_lo
	s_waitcnt lgkmcnt(0)
	s_barrier
	buffer_gl0_inv
	;; [unrolled: 14-line block ×3, first 2 shown]
	v_cmpx_gt_u16_e32 2, v7
	s_cbranch_execz .LBB248_21
; %bb.20:
	ds_load_2addr_b32 v[2:3], v1 offset1:2
	s_waitcnt lgkmcnt(0)
	v_add_f32_e32 v2, v3, v2
	ds_store_b32 v1, v2
.LBB248_21:
	s_or_b32 exec_lo, exec_lo, s0
	s_mov_b32 s1, 0
	s_mov_b32 s0, 0
	s_mov_b32 s3, exec_lo
	s_waitcnt lgkmcnt(0)
	s_barrier
	buffer_gl0_inv
                                        ; implicit-def: $vgpr2
                                        ; implicit-def: $vgpr3
	v_cmpx_gt_u32_e32 25, v0
	s_xor_b32 s3, exec_lo, s3
; %bb.22:
	v_mad_u32_u24 v2, v0, 25, 1
	v_mad_u32_u24 v3, 0x60, v0, v1
	s_mov_b32 s0, exec_lo
; %bb.23:
	s_or_b32 exec_lo, exec_lo, s3
	s_delay_alu instid0(SALU_CYCLE_1)
	s_and_b32 vcc_lo, exec_lo, s1
	s_cbranch_vccnz .LBB248_25
	s_branch .LBB248_36
.LBB248_24:
	s_mov_b32 s0, 0
                                        ; implicit-def: $vgpr2
                                        ; implicit-def: $vgpr3
	s_cbranch_execz .LBB248_36
.LBB248_25:
	s_mov_b32 s1, exec_lo
	v_cmpx_gt_u32_e32 0xe1, v0
	s_cbranch_execz .LBB248_27
; %bb.26:
	ds_load_b32 v2, v1 offset:1600
	ds_load_b32 v3, v1
	s_waitcnt lgkmcnt(0)
	v_add_f32_e32 v2, v2, v3
	ds_store_b32 v1, v2
.LBB248_27:
	s_or_b32 exec_lo, exec_lo, s1
	s_delay_alu instid0(SALU_CYCLE_1)
	s_mov_b32 s1, exec_lo
	s_waitcnt lgkmcnt(0)
	s_barrier
	buffer_gl0_inv
	v_cmpx_gt_u32_e32 0xc8, v0
	s_cbranch_execz .LBB248_29
; %bb.28:
	ds_load_2addr_b32 v[2:3], v1 offset1:200
	s_waitcnt lgkmcnt(0)
	v_add_f32_e32 v2, v3, v2
	ds_store_b32 v1, v2
.LBB248_29:
	s_or_b32 exec_lo, exec_lo, s1
	s_delay_alu instid0(SALU_CYCLE_1)
	s_mov_b32 s1, exec_lo
	s_waitcnt lgkmcnt(0)
	s_barrier
	buffer_gl0_inv
	v_cmpx_gt_u32_e32 0x64, v0
	s_cbranch_execz .LBB248_31
; %bb.30:
	ds_load_2addr_b32 v[2:3], v1 offset1:100
	s_waitcnt lgkmcnt(0)
	v_add_f32_e32 v2, v3, v2
	ds_store_b32 v1, v2
.LBB248_31:
	s_or_b32 exec_lo, exec_lo, s1
	s_delay_alu instid0(SALU_CYCLE_1)
	s_mov_b32 s1, exec_lo
	s_waitcnt lgkmcnt(0)
	s_barrier
	buffer_gl0_inv
	v_cmpx_gt_u32_e32 50, v0
	s_cbranch_execz .LBB248_33
; %bb.32:
	ds_load_2addr_b32 v[2:3], v1 offset1:50
	s_waitcnt lgkmcnt(0)
	v_add_f32_e32 v2, v3, v2
	ds_store_b32 v1, v2
.LBB248_33:
	s_or_b32 exec_lo, exec_lo, s1
	s_delay_alu instid0(SALU_CYCLE_1)
	s_mov_b32 s1, exec_lo
	s_waitcnt lgkmcnt(0)
	buffer_gl0_inv
                                        ; implicit-def: $vgpr2
	v_cmpx_gt_u32_e32 25, v0
; %bb.34:
	v_add_nc_u32_e32 v2, 25, v0
	s_or_b32 s0, s0, exec_lo
                                        ; implicit-def: $vgpr6
; %bb.35:
	s_or_b32 exec_lo, exec_lo, s1
	v_mov_b32_e32 v3, v1
.LBB248_36:
	s_and_saveexec_b32 s1, s0
	s_cbranch_execz .LBB248_38
; %bb.37:
	v_lshlrev_b32_e32 v1, 2, v2
	ds_load_b32 v2, v3
	ds_load_b32 v1, v1
	s_waitcnt lgkmcnt(0)
	v_add_f32_e32 v6, v2, v1
.LBB248_38:
	s_or_b32 exec_lo, exec_lo, s1
	s_delay_alu instid0(SALU_CYCLE_1)
	s_mov_b32 s0, exec_lo
	v_cmpx_gt_u32_e32 25, v0
	s_cbranch_execz .LBB248_42
; %bb.39:
	v_cmp_eq_f32_e64 s0, s2, 0
	v_mul_f32_e32 v1, s10, v6
	s_delay_alu instid0(VALU_DEP_2)
	s_and_b32 vcc_lo, exec_lo, s0
	s_mov_b32 s0, 0
	s_cbranch_vccz .LBB248_43
; %bb.40:
	s_delay_alu instid0(VALU_DEP_1) | instskip(SKIP_1) | instid1(VALU_DEP_1)
	v_mad_u64_u32 v[2:3], null, s8, 25, v[0:1]
	v_mov_b32_e32 v3, 0
	v_lshlrev_b64 v[2:3], 2, v[2:3]
	s_delay_alu instid0(VALU_DEP_1) | instskip(NEXT) | instid1(VALU_DEP_2)
	v_add_co_u32 v2, vcc_lo, s12, v2
	v_add_co_ci_u32_e32 v3, vcc_lo, s13, v3, vcc_lo
	global_store_b32 v[2:3], v1, off
	s_and_not1_b32 vcc_lo, exec_lo, s0
	s_cbranch_vccnz .LBB248_42
.LBB248_41:
	v_mad_u64_u32 v[2:3], null, s8, 25, v[0:1]
	v_mov_b32_e32 v3, 0
	s_delay_alu instid0(VALU_DEP_1) | instskip(NEXT) | instid1(VALU_DEP_1)
	v_lshlrev_b64 v[2:3], 2, v[2:3]
	v_add_co_u32 v2, vcc_lo, s12, v2
	s_delay_alu instid0(VALU_DEP_2)
	v_add_co_ci_u32_e32 v3, vcc_lo, s13, v3, vcc_lo
	global_load_b32 v0, v[2:3], off
	s_waitcnt vmcnt(0)
	v_fmac_f32_e32 v1, s2, v0
	global_store_b32 v[2:3], v1, off
.LBB248_42:
	s_nop 0
	s_sendmsg sendmsg(MSG_DEALLOC_VGPRS)
	s_endpgm
.LBB248_43:
	s_branch .LBB248_41
	.section	.rodata,"a",@progbits
	.p2align	6, 0x0
	.amdhsa_kernel _ZN9rocsparseL20bsrxmvn_17_32_kernelILj25EfiiaafEEvT2_20rocsparse_direction_NS_24const_host_device_scalarIT0_EES1_PKS1_PKT1_SA_S7_PKT3_PKT4_S5_PT5_21rocsparse_index_base_b
		.amdhsa_group_segment_fixed_size 2500
		.amdhsa_private_segment_fixed_size 0
		.amdhsa_kernarg_size 96
		.amdhsa_user_sgpr_count 15
		.amdhsa_user_sgpr_dispatch_ptr 0
		.amdhsa_user_sgpr_queue_ptr 0
		.amdhsa_user_sgpr_kernarg_segment_ptr 1
		.amdhsa_user_sgpr_dispatch_id 0
		.amdhsa_user_sgpr_private_segment_size 0
		.amdhsa_wavefront_size32 1
		.amdhsa_uses_dynamic_stack 0
		.amdhsa_enable_private_segment 0
		.amdhsa_system_sgpr_workgroup_id_x 1
		.amdhsa_system_sgpr_workgroup_id_y 0
		.amdhsa_system_sgpr_workgroup_id_z 0
		.amdhsa_system_sgpr_workgroup_info 0
		.amdhsa_system_vgpr_workitem_id 0
		.amdhsa_next_free_vgpr 10
		.amdhsa_next_free_sgpr 18
		.amdhsa_reserve_vcc 1
		.amdhsa_float_round_mode_32 0
		.amdhsa_float_round_mode_16_64 0
		.amdhsa_float_denorm_mode_32 3
		.amdhsa_float_denorm_mode_16_64 3
		.amdhsa_dx10_clamp 1
		.amdhsa_ieee_mode 1
		.amdhsa_fp16_overflow 0
		.amdhsa_workgroup_processor_mode 1
		.amdhsa_memory_ordered 1
		.amdhsa_forward_progress 0
		.amdhsa_shared_vgpr_count 0
		.amdhsa_exception_fp_ieee_invalid_op 0
		.amdhsa_exception_fp_denorm_src 0
		.amdhsa_exception_fp_ieee_div_zero 0
		.amdhsa_exception_fp_ieee_overflow 0
		.amdhsa_exception_fp_ieee_underflow 0
		.amdhsa_exception_fp_ieee_inexact 0
		.amdhsa_exception_int_div_zero 0
	.end_amdhsa_kernel
	.section	.text._ZN9rocsparseL20bsrxmvn_17_32_kernelILj25EfiiaafEEvT2_20rocsparse_direction_NS_24const_host_device_scalarIT0_EES1_PKS1_PKT1_SA_S7_PKT3_PKT4_S5_PT5_21rocsparse_index_base_b,"axG",@progbits,_ZN9rocsparseL20bsrxmvn_17_32_kernelILj25EfiiaafEEvT2_20rocsparse_direction_NS_24const_host_device_scalarIT0_EES1_PKS1_PKT1_SA_S7_PKT3_PKT4_S5_PT5_21rocsparse_index_base_b,comdat
.Lfunc_end248:
	.size	_ZN9rocsparseL20bsrxmvn_17_32_kernelILj25EfiiaafEEvT2_20rocsparse_direction_NS_24const_host_device_scalarIT0_EES1_PKS1_PKT1_SA_S7_PKT3_PKT4_S5_PT5_21rocsparse_index_base_b, .Lfunc_end248-_ZN9rocsparseL20bsrxmvn_17_32_kernelILj25EfiiaafEEvT2_20rocsparse_direction_NS_24const_host_device_scalarIT0_EES1_PKS1_PKT1_SA_S7_PKT3_PKT4_S5_PT5_21rocsparse_index_base_b
                                        ; -- End function
	.section	.AMDGPU.csdata,"",@progbits
; Kernel info:
; codeLenInByte = 1524
; NumSgprs: 20
; NumVgprs: 10
; ScratchSize: 0
; MemoryBound: 0
; FloatMode: 240
; IeeeMode: 1
; LDSByteSize: 2500 bytes/workgroup (compile time only)
; SGPRBlocks: 2
; VGPRBlocks: 1
; NumSGPRsForWavesPerEU: 20
; NumVGPRsForWavesPerEU: 10
; Occupancy: 15
; WaveLimiterHint : 1
; COMPUTE_PGM_RSRC2:SCRATCH_EN: 0
; COMPUTE_PGM_RSRC2:USER_SGPR: 15
; COMPUTE_PGM_RSRC2:TRAP_HANDLER: 0
; COMPUTE_PGM_RSRC2:TGID_X_EN: 1
; COMPUTE_PGM_RSRC2:TGID_Y_EN: 0
; COMPUTE_PGM_RSRC2:TGID_Z_EN: 0
; COMPUTE_PGM_RSRC2:TIDIG_COMP_CNT: 0
	.section	.text._ZN9rocsparseL20bsrxmvn_17_32_kernelILj26EfiiaafEEvT2_20rocsparse_direction_NS_24const_host_device_scalarIT0_EES1_PKS1_PKT1_SA_S7_PKT3_PKT4_S5_PT5_21rocsparse_index_base_b,"axG",@progbits,_ZN9rocsparseL20bsrxmvn_17_32_kernelILj26EfiiaafEEvT2_20rocsparse_direction_NS_24const_host_device_scalarIT0_EES1_PKS1_PKT1_SA_S7_PKT3_PKT4_S5_PT5_21rocsparse_index_base_b,comdat
	.globl	_ZN9rocsparseL20bsrxmvn_17_32_kernelILj26EfiiaafEEvT2_20rocsparse_direction_NS_24const_host_device_scalarIT0_EES1_PKS1_PKT1_SA_S7_PKT3_PKT4_S5_PT5_21rocsparse_index_base_b ; -- Begin function _ZN9rocsparseL20bsrxmvn_17_32_kernelILj26EfiiaafEEvT2_20rocsparse_direction_NS_24const_host_device_scalarIT0_EES1_PKS1_PKT1_SA_S7_PKT3_PKT4_S5_PT5_21rocsparse_index_base_b
	.p2align	8
	.type	_ZN9rocsparseL20bsrxmvn_17_32_kernelILj26EfiiaafEEvT2_20rocsparse_direction_NS_24const_host_device_scalarIT0_EES1_PKS1_PKT1_SA_S7_PKT3_PKT4_S5_PT5_21rocsparse_index_base_b,@function
_ZN9rocsparseL20bsrxmvn_17_32_kernelILj26EfiiaafEEvT2_20rocsparse_direction_NS_24const_host_device_scalarIT0_EES1_PKS1_PKT1_SA_S7_PKT3_PKT4_S5_PT5_21rocsparse_index_base_b: ; @_ZN9rocsparseL20bsrxmvn_17_32_kernelILj26EfiiaafEEvT2_20rocsparse_direction_NS_24const_host_device_scalarIT0_EES1_PKS1_PKT1_SA_S7_PKT3_PKT4_S5_PT5_21rocsparse_index_base_b
; %bb.0:
	s_mov_b32 s8, s15
	s_clause 0x2
	s_load_b64 s[14:15], s[0:1], 0x58
	s_load_b64 s[10:11], s[0:1], 0x8
	;; [unrolled: 1-line block ×3, first 2 shown]
	s_waitcnt lgkmcnt(0)
	s_bitcmp1_b32 s15, 0
	s_cselect_b32 s4, -1, 0
	s_delay_alu instid0(SALU_CYCLE_1)
	s_and_b32 vcc_lo, exec_lo, s4
	s_xor_b32 s4, s4, -1
	s_cbranch_vccnz .LBB249_2
; %bb.1:
	s_load_b32 s10, s[10:11], 0x0
.LBB249_2:
	s_and_not1_b32 vcc_lo, exec_lo, s4
	s_cbranch_vccnz .LBB249_4
; %bb.3:
	s_load_b32 s2, s[2:3], 0x0
.LBB249_4:
	s_waitcnt lgkmcnt(0)
	v_cmp_neq_f32_e64 s3, s10, 0
	v_cmp_neq_f32_e64 s4, s2, 1.0
	s_delay_alu instid0(VALU_DEP_1) | instskip(NEXT) | instid1(SALU_CYCLE_1)
	s_or_b32 s3, s3, s4
	s_and_not1_b32 vcc_lo, exec_lo, s3
	s_cbranch_vccnz .LBB249_42
; %bb.5:
	s_clause 0x1
	s_load_b128 s[4:7], s[0:1], 0x18
	s_load_b64 s[12:13], s[0:1], 0x28
	s_waitcnt lgkmcnt(0)
	s_cmp_eq_u64 s[4:5], 0
	s_cbranch_scc1 .LBB249_7
; %bb.6:
	s_ashr_i32 s9, s8, 31
	s_delay_alu instid0(SALU_CYCLE_1) | instskip(NEXT) | instid1(SALU_CYCLE_1)
	s_lshl_b64 s[8:9], s[8:9], 2
	s_add_u32 s4, s4, s8
	s_addc_u32 s5, s5, s9
	s_load_b32 s3, s[4:5], 0x0
	s_waitcnt lgkmcnt(0)
	s_sub_i32 s8, s3, s14
.LBB249_7:
	s_load_b32 s3, s[0:1], 0x4
	v_mul_u32_u24_e32 v1, 0x9d9, v0
	v_mov_b32_e32 v6, 0
	s_delay_alu instid0(VALU_DEP_2) | instskip(NEXT) | instid1(VALU_DEP_1)
	v_lshrrev_b32_e32 v1, 16, v1
	v_mul_lo_u16 v2, v1, 26
	s_delay_alu instid0(VALU_DEP_1)
	v_sub_nc_u16 v7, v0, v2
	s_waitcnt lgkmcnt(0)
	s_cmp_eq_u32 s3, 1
	s_cselect_b32 vcc_lo, -1, 0
	s_cmp_lg_u32 s3, 1
	s_cselect_b32 s3, -1, 0
	s_ashr_i32 s9, s8, 31
	s_delay_alu instid0(SALU_CYCLE_1) | instskip(NEXT) | instid1(SALU_CYCLE_1)
	s_lshl_b64 s[4:5], s[8:9], 2
	s_add_u32 s6, s6, s4
	s_addc_u32 s7, s7, s5
	s_add_u32 s9, s6, 4
	s_addc_u32 s11, s7, 0
	s_add_u32 s4, s12, s4
	s_addc_u32 s5, s13, s5
	s_cmp_eq_u64 s[12:13], 0
	s_load_b64 s[12:13], s[0:1], 0x50
	s_cselect_b32 s5, s11, s5
	s_cselect_b32 s4, s9, s4
	s_load_b32 s9, s[6:7], 0x0
	s_load_b32 s11, s[4:5], 0x0
	s_waitcnt lgkmcnt(0)
	s_cmp_ge_i32 s9, s11
	s_cbranch_scc1 .LBB249_12
; %bb.8:
	s_clause 0x1
	s_load_b128 s[4:7], s[0:1], 0x30
	s_load_b64 s[16:17], s[0:1], 0x40
	v_dual_mov_b32 v6, 0 :: v_dual_and_b32 v1, 0xffff, v1
	v_cmp_gt_u32_e64 s0, 0x2a4, v0
	v_and_b32_e32 v3, 0xffff, v7
	s_sub_i32 s1, s11, s14
	s_delay_alu instid0(VALU_DEP_3) | instskip(NEXT) | instid1(VALU_DEP_1)
	v_subrev_nc_u32_e32 v2, 26, v1
	v_cndmask_b32_e64 v1, v2, v1, s0
	s_sub_i32 s0, s9, s14
	s_delay_alu instid0(SALU_CYCLE_1) | instskip(SKIP_1) | instid1(VALU_DEP_1)
	s_mul_i32 s11, s0, 0x2a4
	s_mul_hi_i32 s9, s0, 0x2a4
	v_cndmask_b32_e32 v1, v3, v1, vcc_lo
	v_cmp_lt_u32_e32 vcc_lo, 0x2a3, v0
	s_waitcnt lgkmcnt(0)
	s_add_u32 s6, s6, s11
	s_addc_u32 s7, s7, s9
	v_add_co_u32 v2, s6, s6, v0
	s_delay_alu instid0(VALU_DEP_1)
	v_add_co_ci_u32_e64 v3, null, s7, 0, s6
	v_cndmask_b32_e64 v8, 0, 1, vcc_lo
	s_set_inst_prefetch_distance 0x1
	s_branch .LBB249_10
	.p2align	6
.LBB249_9:                              ;   in Loop: Header=BB249_10 Depth=1
	s_or_b32 exec_lo, exec_lo, s6
	s_add_i32 s0, s0, 1
	s_delay_alu instid0(SALU_CYCLE_1)
	s_cmp_lt_i32 s0, s1
	s_cbranch_scc0 .LBB249_12
.LBB249_10:                             ; =>This Inner Loop Header: Depth=1
	s_delay_alu instid0(VALU_DEP_1) | instskip(SKIP_1) | instid1(VALU_DEP_1)
	v_add_nc_u32_e32 v4, s0, v8
	s_mov_b32 s6, exec_lo
	v_cmpx_gt_i32_e64 s1, v4
	s_cbranch_execz .LBB249_9
; %bb.11:                               ;   in Loop: Header=BB249_10 Depth=1
	v_ashrrev_i32_e32 v5, 31, v4
	s_delay_alu instid0(VALU_DEP_1) | instskip(NEXT) | instid1(VALU_DEP_1)
	v_lshlrev_b64 v[4:5], 2, v[4:5]
	v_add_co_u32 v4, vcc_lo, s4, v4
	s_delay_alu instid0(VALU_DEP_2) | instskip(SKIP_3) | instid1(VALU_DEP_1)
	v_add_co_ci_u32_e32 v5, vcc_lo, s5, v5, vcc_lo
	global_load_b32 v4, v[4:5], off
	s_waitcnt vmcnt(0)
	v_subrev_nc_u32_e32 v9, s14, v4
	v_mad_u64_u32 v[4:5], null, v9, 26, v[1:2]
	s_delay_alu instid0(VALU_DEP_1) | instskip(SKIP_1) | instid1(VALU_DEP_2)
	v_ashrrev_i32_e32 v5, 31, v4
	v_add_co_u32 v4, vcc_lo, s16, v4
	v_add_co_ci_u32_e32 v5, vcc_lo, s17, v5, vcc_lo
	global_load_i8 v9, v[2:3], off
	global_load_i8 v4, v[4:5], off
	v_add_co_u32 v2, vcc_lo, 0x2a4, v2
	v_add_co_ci_u32_e32 v3, vcc_lo, 0, v3, vcc_lo
	s_waitcnt vmcnt(1)
	v_cvt_f32_i32_e32 v5, v9
	s_waitcnt vmcnt(0)
	v_cvt_f32_i32_e32 v4, v4
	s_delay_alu instid0(VALU_DEP_1)
	v_fmac_f32_e32 v6, v5, v4
	s_branch .LBB249_9
.LBB249_12:
	s_set_inst_prefetch_distance 0x2
	v_lshlrev_b32_e32 v1, 2, v0
	s_and_b32 vcc_lo, exec_lo, s3
	ds_store_b32 v1, v6
	s_waitcnt lgkmcnt(0)
	s_barrier
	buffer_gl0_inv
	s_cbranch_vccz .LBB249_24
; %bb.13:
	s_mov_b32 s0, exec_lo
	v_cmpx_gt_u16_e32 10, v7
	s_cbranch_execz .LBB249_15
; %bb.14:
	ds_load_2addr_b32 v[2:3], v1 offset1:16
	s_waitcnt lgkmcnt(0)
	v_add_f32_e32 v2, v3, v2
	ds_store_b32 v1, v2
.LBB249_15:
	s_or_b32 exec_lo, exec_lo, s0
	s_delay_alu instid0(SALU_CYCLE_1)
	s_mov_b32 s0, exec_lo
	s_waitcnt lgkmcnt(0)
	s_barrier
	buffer_gl0_inv
	v_cmpx_gt_u16_e32 8, v7
	s_cbranch_execz .LBB249_17
; %bb.16:
	ds_load_2addr_b32 v[2:3], v1 offset1:8
	s_waitcnt lgkmcnt(0)
	v_add_f32_e32 v2, v3, v2
	ds_store_b32 v1, v2
.LBB249_17:
	s_or_b32 exec_lo, exec_lo, s0
	s_delay_alu instid0(SALU_CYCLE_1)
	s_mov_b32 s0, exec_lo
	s_waitcnt lgkmcnt(0)
	s_barrier
	buffer_gl0_inv
	;; [unrolled: 14-line block ×3, first 2 shown]
	v_cmpx_gt_u16_e32 2, v7
	s_cbranch_execz .LBB249_21
; %bb.20:
	ds_load_2addr_b32 v[2:3], v1 offset1:2
	s_waitcnt lgkmcnt(0)
	v_add_f32_e32 v2, v3, v2
	ds_store_b32 v1, v2
.LBB249_21:
	s_or_b32 exec_lo, exec_lo, s0
	s_mov_b32 s1, 0
	s_mov_b32 s0, 0
	s_mov_b32 s3, exec_lo
	s_waitcnt lgkmcnt(0)
	s_barrier
	buffer_gl0_inv
                                        ; implicit-def: $vgpr2
                                        ; implicit-def: $vgpr3
	v_cmpx_gt_u32_e32 26, v0
	s_xor_b32 s3, exec_lo, s3
; %bb.22:
	v_mul_u32_u24_e32 v2, 26, v0
	v_mad_u32_u24 v3, 0x64, v0, v1
	s_mov_b32 s0, exec_lo
	s_delay_alu instid0(VALU_DEP_2)
	v_or_b32_e32 v2, 1, v2
; %bb.23:
	s_or_b32 exec_lo, exec_lo, s3
	s_delay_alu instid0(SALU_CYCLE_1)
	s_and_b32 vcc_lo, exec_lo, s1
	s_cbranch_vccnz .LBB249_25
	s_branch .LBB249_36
.LBB249_24:
	s_mov_b32 s0, 0
                                        ; implicit-def: $vgpr2
                                        ; implicit-def: $vgpr3
	s_cbranch_execz .LBB249_36
.LBB249_25:
	s_mov_b32 s1, exec_lo
	v_cmpx_gt_u32_e32 0x104, v0
	s_cbranch_execz .LBB249_27
; %bb.26:
	ds_load_b32 v2, v1 offset:1664
	ds_load_b32 v3, v1
	s_waitcnt lgkmcnt(0)
	v_add_f32_e32 v2, v2, v3
	ds_store_b32 v1, v2
.LBB249_27:
	s_or_b32 exec_lo, exec_lo, s1
	s_delay_alu instid0(SALU_CYCLE_1)
	s_mov_b32 s1, exec_lo
	s_waitcnt lgkmcnt(0)
	s_barrier
	buffer_gl0_inv
	v_cmpx_gt_u32_e32 0xd0, v0
	s_cbranch_execz .LBB249_29
; %bb.28:
	ds_load_2addr_b32 v[2:3], v1 offset1:208
	s_waitcnt lgkmcnt(0)
	v_add_f32_e32 v2, v3, v2
	ds_store_b32 v1, v2
.LBB249_29:
	s_or_b32 exec_lo, exec_lo, s1
	s_delay_alu instid0(SALU_CYCLE_1)
	s_mov_b32 s1, exec_lo
	s_waitcnt lgkmcnt(0)
	s_barrier
	buffer_gl0_inv
	v_cmpx_gt_u32_e32 0x68, v0
	s_cbranch_execz .LBB249_31
; %bb.30:
	ds_load_2addr_b32 v[2:3], v1 offset1:104
	s_waitcnt lgkmcnt(0)
	v_add_f32_e32 v2, v3, v2
	ds_store_b32 v1, v2
.LBB249_31:
	s_or_b32 exec_lo, exec_lo, s1
	s_delay_alu instid0(SALU_CYCLE_1)
	s_mov_b32 s1, exec_lo
	s_waitcnt lgkmcnt(0)
	s_barrier
	buffer_gl0_inv
	v_cmpx_gt_u32_e32 52, v0
	s_cbranch_execz .LBB249_33
; %bb.32:
	ds_load_2addr_b32 v[2:3], v1 offset1:52
	s_waitcnt lgkmcnt(0)
	v_add_f32_e32 v2, v3, v2
	ds_store_b32 v1, v2
.LBB249_33:
	s_or_b32 exec_lo, exec_lo, s1
	s_delay_alu instid0(SALU_CYCLE_1)
	s_mov_b32 s1, exec_lo
	s_waitcnt lgkmcnt(0)
	buffer_gl0_inv
                                        ; implicit-def: $vgpr2
	v_cmpx_gt_u32_e32 26, v0
; %bb.34:
	v_add_nc_u32_e32 v2, 26, v0
	s_or_b32 s0, s0, exec_lo
                                        ; implicit-def: $vgpr6
; %bb.35:
	s_or_b32 exec_lo, exec_lo, s1
	v_mov_b32_e32 v3, v1
.LBB249_36:
	s_and_saveexec_b32 s1, s0
	s_cbranch_execz .LBB249_38
; %bb.37:
	v_lshlrev_b32_e32 v1, 2, v2
	ds_load_b32 v2, v3
	ds_load_b32 v1, v1
	s_waitcnt lgkmcnt(0)
	v_add_f32_e32 v6, v2, v1
.LBB249_38:
	s_or_b32 exec_lo, exec_lo, s1
	s_delay_alu instid0(SALU_CYCLE_1)
	s_mov_b32 s0, exec_lo
	v_cmpx_gt_u32_e32 26, v0
	s_cbranch_execz .LBB249_42
; %bb.39:
	v_cmp_eq_f32_e64 s0, s2, 0
	v_mul_f32_e32 v1, s10, v6
	s_delay_alu instid0(VALU_DEP_2)
	s_and_b32 vcc_lo, exec_lo, s0
	s_mov_b32 s0, 0
	s_cbranch_vccz .LBB249_43
; %bb.40:
	s_delay_alu instid0(VALU_DEP_1) | instskip(SKIP_1) | instid1(VALU_DEP_1)
	v_mad_u64_u32 v[2:3], null, s8, 26, v[0:1]
	v_mov_b32_e32 v3, 0
	v_lshlrev_b64 v[2:3], 2, v[2:3]
	s_delay_alu instid0(VALU_DEP_1) | instskip(NEXT) | instid1(VALU_DEP_2)
	v_add_co_u32 v2, vcc_lo, s12, v2
	v_add_co_ci_u32_e32 v3, vcc_lo, s13, v3, vcc_lo
	global_store_b32 v[2:3], v1, off
	s_and_not1_b32 vcc_lo, exec_lo, s0
	s_cbranch_vccnz .LBB249_42
.LBB249_41:
	v_mad_u64_u32 v[2:3], null, s8, 26, v[0:1]
	v_mov_b32_e32 v3, 0
	s_delay_alu instid0(VALU_DEP_1) | instskip(NEXT) | instid1(VALU_DEP_1)
	v_lshlrev_b64 v[2:3], 2, v[2:3]
	v_add_co_u32 v2, vcc_lo, s12, v2
	s_delay_alu instid0(VALU_DEP_2)
	v_add_co_ci_u32_e32 v3, vcc_lo, s13, v3, vcc_lo
	global_load_b32 v0, v[2:3], off
	s_waitcnt vmcnt(0)
	v_fmac_f32_e32 v1, s2, v0
	global_store_b32 v[2:3], v1, off
.LBB249_42:
	s_nop 0
	s_sendmsg sendmsg(MSG_DEALLOC_VGPRS)
	s_endpgm
.LBB249_43:
	s_branch .LBB249_41
	.section	.rodata,"a",@progbits
	.p2align	6, 0x0
	.amdhsa_kernel _ZN9rocsparseL20bsrxmvn_17_32_kernelILj26EfiiaafEEvT2_20rocsparse_direction_NS_24const_host_device_scalarIT0_EES1_PKS1_PKT1_SA_S7_PKT3_PKT4_S5_PT5_21rocsparse_index_base_b
		.amdhsa_group_segment_fixed_size 2704
		.amdhsa_private_segment_fixed_size 0
		.amdhsa_kernarg_size 96
		.amdhsa_user_sgpr_count 15
		.amdhsa_user_sgpr_dispatch_ptr 0
		.amdhsa_user_sgpr_queue_ptr 0
		.amdhsa_user_sgpr_kernarg_segment_ptr 1
		.amdhsa_user_sgpr_dispatch_id 0
		.amdhsa_user_sgpr_private_segment_size 0
		.amdhsa_wavefront_size32 1
		.amdhsa_uses_dynamic_stack 0
		.amdhsa_enable_private_segment 0
		.amdhsa_system_sgpr_workgroup_id_x 1
		.amdhsa_system_sgpr_workgroup_id_y 0
		.amdhsa_system_sgpr_workgroup_id_z 0
		.amdhsa_system_sgpr_workgroup_info 0
		.amdhsa_system_vgpr_workitem_id 0
		.amdhsa_next_free_vgpr 10
		.amdhsa_next_free_sgpr 18
		.amdhsa_reserve_vcc 1
		.amdhsa_float_round_mode_32 0
		.amdhsa_float_round_mode_16_64 0
		.amdhsa_float_denorm_mode_32 3
		.amdhsa_float_denorm_mode_16_64 3
		.amdhsa_dx10_clamp 1
		.amdhsa_ieee_mode 1
		.amdhsa_fp16_overflow 0
		.amdhsa_workgroup_processor_mode 1
		.amdhsa_memory_ordered 1
		.amdhsa_forward_progress 0
		.amdhsa_shared_vgpr_count 0
		.amdhsa_exception_fp_ieee_invalid_op 0
		.amdhsa_exception_fp_denorm_src 0
		.amdhsa_exception_fp_ieee_div_zero 0
		.amdhsa_exception_fp_ieee_overflow 0
		.amdhsa_exception_fp_ieee_underflow 0
		.amdhsa_exception_fp_ieee_inexact 0
		.amdhsa_exception_int_div_zero 0
	.end_amdhsa_kernel
	.section	.text._ZN9rocsparseL20bsrxmvn_17_32_kernelILj26EfiiaafEEvT2_20rocsparse_direction_NS_24const_host_device_scalarIT0_EES1_PKS1_PKT1_SA_S7_PKT3_PKT4_S5_PT5_21rocsparse_index_base_b,"axG",@progbits,_ZN9rocsparseL20bsrxmvn_17_32_kernelILj26EfiiaafEEvT2_20rocsparse_direction_NS_24const_host_device_scalarIT0_EES1_PKS1_PKT1_SA_S7_PKT3_PKT4_S5_PT5_21rocsparse_index_base_b,comdat
.Lfunc_end249:
	.size	_ZN9rocsparseL20bsrxmvn_17_32_kernelILj26EfiiaafEEvT2_20rocsparse_direction_NS_24const_host_device_scalarIT0_EES1_PKS1_PKT1_SA_S7_PKT3_PKT4_S5_PT5_21rocsparse_index_base_b, .Lfunc_end249-_ZN9rocsparseL20bsrxmvn_17_32_kernelILj26EfiiaafEEvT2_20rocsparse_direction_NS_24const_host_device_scalarIT0_EES1_PKS1_PKT1_SA_S7_PKT3_PKT4_S5_PT5_21rocsparse_index_base_b
                                        ; -- End function
	.section	.AMDGPU.csdata,"",@progbits
; Kernel info:
; codeLenInByte = 1528
; NumSgprs: 20
; NumVgprs: 10
; ScratchSize: 0
; MemoryBound: 0
; FloatMode: 240
; IeeeMode: 1
; LDSByteSize: 2704 bytes/workgroup (compile time only)
; SGPRBlocks: 2
; VGPRBlocks: 1
; NumSGPRsForWavesPerEU: 20
; NumVGPRsForWavesPerEU: 10
; Occupancy: 11
; WaveLimiterHint : 1
; COMPUTE_PGM_RSRC2:SCRATCH_EN: 0
; COMPUTE_PGM_RSRC2:USER_SGPR: 15
; COMPUTE_PGM_RSRC2:TRAP_HANDLER: 0
; COMPUTE_PGM_RSRC2:TGID_X_EN: 1
; COMPUTE_PGM_RSRC2:TGID_Y_EN: 0
; COMPUTE_PGM_RSRC2:TGID_Z_EN: 0
; COMPUTE_PGM_RSRC2:TIDIG_COMP_CNT: 0
	.section	.text._ZN9rocsparseL20bsrxmvn_17_32_kernelILj27EfiiaafEEvT2_20rocsparse_direction_NS_24const_host_device_scalarIT0_EES1_PKS1_PKT1_SA_S7_PKT3_PKT4_S5_PT5_21rocsparse_index_base_b,"axG",@progbits,_ZN9rocsparseL20bsrxmvn_17_32_kernelILj27EfiiaafEEvT2_20rocsparse_direction_NS_24const_host_device_scalarIT0_EES1_PKS1_PKT1_SA_S7_PKT3_PKT4_S5_PT5_21rocsparse_index_base_b,comdat
	.globl	_ZN9rocsparseL20bsrxmvn_17_32_kernelILj27EfiiaafEEvT2_20rocsparse_direction_NS_24const_host_device_scalarIT0_EES1_PKS1_PKT1_SA_S7_PKT3_PKT4_S5_PT5_21rocsparse_index_base_b ; -- Begin function _ZN9rocsparseL20bsrxmvn_17_32_kernelILj27EfiiaafEEvT2_20rocsparse_direction_NS_24const_host_device_scalarIT0_EES1_PKS1_PKT1_SA_S7_PKT3_PKT4_S5_PT5_21rocsparse_index_base_b
	.p2align	8
	.type	_ZN9rocsparseL20bsrxmvn_17_32_kernelILj27EfiiaafEEvT2_20rocsparse_direction_NS_24const_host_device_scalarIT0_EES1_PKS1_PKT1_SA_S7_PKT3_PKT4_S5_PT5_21rocsparse_index_base_b,@function
_ZN9rocsparseL20bsrxmvn_17_32_kernelILj27EfiiaafEEvT2_20rocsparse_direction_NS_24const_host_device_scalarIT0_EES1_PKS1_PKT1_SA_S7_PKT3_PKT4_S5_PT5_21rocsparse_index_base_b: ; @_ZN9rocsparseL20bsrxmvn_17_32_kernelILj27EfiiaafEEvT2_20rocsparse_direction_NS_24const_host_device_scalarIT0_EES1_PKS1_PKT1_SA_S7_PKT3_PKT4_S5_PT5_21rocsparse_index_base_b
; %bb.0:
	s_mov_b32 s8, s15
	s_clause 0x2
	s_load_b64 s[14:15], s[0:1], 0x58
	s_load_b64 s[10:11], s[0:1], 0x8
	s_load_b64 s[2:3], s[0:1], 0x48
	s_waitcnt lgkmcnt(0)
	s_bitcmp1_b32 s15, 0
	s_cselect_b32 s4, -1, 0
	s_delay_alu instid0(SALU_CYCLE_1)
	s_and_b32 vcc_lo, exec_lo, s4
	s_xor_b32 s4, s4, -1
	s_cbranch_vccnz .LBB250_2
; %bb.1:
	s_load_b32 s10, s[10:11], 0x0
.LBB250_2:
	s_and_not1_b32 vcc_lo, exec_lo, s4
	s_cbranch_vccnz .LBB250_4
; %bb.3:
	s_load_b32 s2, s[2:3], 0x0
.LBB250_4:
	s_waitcnt lgkmcnt(0)
	v_cmp_neq_f32_e64 s3, s10, 0
	v_cmp_neq_f32_e64 s4, s2, 1.0
	s_delay_alu instid0(VALU_DEP_1) | instskip(NEXT) | instid1(SALU_CYCLE_1)
	s_or_b32 s3, s3, s4
	s_and_not1_b32 vcc_lo, exec_lo, s3
	s_cbranch_vccnz .LBB250_42
; %bb.5:
	s_clause 0x1
	s_load_b128 s[4:7], s[0:1], 0x18
	s_load_b64 s[12:13], s[0:1], 0x28
	s_waitcnt lgkmcnt(0)
	s_cmp_eq_u64 s[4:5], 0
	s_cbranch_scc1 .LBB250_7
; %bb.6:
	s_ashr_i32 s9, s8, 31
	s_delay_alu instid0(SALU_CYCLE_1) | instskip(NEXT) | instid1(SALU_CYCLE_1)
	s_lshl_b64 s[8:9], s[8:9], 2
	s_add_u32 s4, s4, s8
	s_addc_u32 s5, s5, s9
	s_load_b32 s3, s[4:5], 0x0
	s_waitcnt lgkmcnt(0)
	s_sub_i32 s8, s3, s14
.LBB250_7:
	s_load_b32 s3, s[0:1], 0x4
	v_mul_u32_u24_e32 v1, 0x97c, v0
	v_mov_b32_e32 v6, 0
	s_delay_alu instid0(VALU_DEP_2) | instskip(NEXT) | instid1(VALU_DEP_1)
	v_lshrrev_b32_e32 v1, 16, v1
	v_mul_lo_u16 v2, v1, 27
	s_delay_alu instid0(VALU_DEP_1)
	v_sub_nc_u16 v7, v0, v2
	s_waitcnt lgkmcnt(0)
	s_cmp_eq_u32 s3, 1
	s_cselect_b32 vcc_lo, -1, 0
	s_cmp_lg_u32 s3, 1
	s_cselect_b32 s3, -1, 0
	s_ashr_i32 s9, s8, 31
	s_delay_alu instid0(SALU_CYCLE_1) | instskip(NEXT) | instid1(SALU_CYCLE_1)
	s_lshl_b64 s[4:5], s[8:9], 2
	s_add_u32 s6, s6, s4
	s_addc_u32 s7, s7, s5
	s_add_u32 s9, s6, 4
	s_addc_u32 s11, s7, 0
	;; [unrolled: 2-line block ×3, first 2 shown]
	s_cmp_eq_u64 s[12:13], 0
	s_load_b64 s[12:13], s[0:1], 0x50
	s_cselect_b32 s5, s11, s5
	s_cselect_b32 s4, s9, s4
	s_load_b32 s9, s[6:7], 0x0
	s_load_b32 s11, s[4:5], 0x0
	s_waitcnt lgkmcnt(0)
	s_cmp_ge_i32 s9, s11
	s_cbranch_scc1 .LBB250_12
; %bb.8:
	s_clause 0x1
	s_load_b128 s[4:7], s[0:1], 0x30
	s_load_b64 s[16:17], s[0:1], 0x40
	v_dual_mov_b32 v6, 0 :: v_dual_and_b32 v1, 0xffff, v1
	v_cmp_gt_u32_e64 s0, 0x2d9, v0
	v_and_b32_e32 v3, 0xffff, v7
	s_sub_i32 s1, s11, s14
	s_delay_alu instid0(VALU_DEP_3) | instskip(NEXT) | instid1(VALU_DEP_1)
	v_subrev_nc_u32_e32 v2, 27, v1
	v_cndmask_b32_e64 v1, v2, v1, s0
	s_sub_i32 s0, s9, s14
	s_delay_alu instid0(SALU_CYCLE_1) | instskip(SKIP_1) | instid1(VALU_DEP_1)
	s_mul_i32 s11, s0, 0x2d9
	s_mul_hi_i32 s9, s0, 0x2d9
	v_cndmask_b32_e32 v1, v3, v1, vcc_lo
	v_cmp_lt_u32_e32 vcc_lo, 0x2d8, v0
	s_waitcnt lgkmcnt(0)
	s_add_u32 s6, s6, s11
	s_addc_u32 s7, s7, s9
	v_add_co_u32 v2, s6, s6, v0
	s_delay_alu instid0(VALU_DEP_1)
	v_add_co_ci_u32_e64 v3, null, s7, 0, s6
	v_cndmask_b32_e64 v8, 0, 1, vcc_lo
	s_set_inst_prefetch_distance 0x1
	s_branch .LBB250_10
	.p2align	6
.LBB250_9:                              ;   in Loop: Header=BB250_10 Depth=1
	s_or_b32 exec_lo, exec_lo, s6
	s_add_i32 s0, s0, 1
	s_delay_alu instid0(SALU_CYCLE_1)
	s_cmp_lt_i32 s0, s1
	s_cbranch_scc0 .LBB250_12
.LBB250_10:                             ; =>This Inner Loop Header: Depth=1
	s_delay_alu instid0(VALU_DEP_1) | instskip(SKIP_1) | instid1(VALU_DEP_1)
	v_add_nc_u32_e32 v4, s0, v8
	s_mov_b32 s6, exec_lo
	v_cmpx_gt_i32_e64 s1, v4
	s_cbranch_execz .LBB250_9
; %bb.11:                               ;   in Loop: Header=BB250_10 Depth=1
	v_ashrrev_i32_e32 v5, 31, v4
	s_delay_alu instid0(VALU_DEP_1) | instskip(NEXT) | instid1(VALU_DEP_1)
	v_lshlrev_b64 v[4:5], 2, v[4:5]
	v_add_co_u32 v4, vcc_lo, s4, v4
	s_delay_alu instid0(VALU_DEP_2) | instskip(SKIP_3) | instid1(VALU_DEP_1)
	v_add_co_ci_u32_e32 v5, vcc_lo, s5, v5, vcc_lo
	global_load_b32 v4, v[4:5], off
	s_waitcnt vmcnt(0)
	v_subrev_nc_u32_e32 v9, s14, v4
	v_mad_u64_u32 v[4:5], null, v9, 27, v[1:2]
	s_delay_alu instid0(VALU_DEP_1) | instskip(SKIP_1) | instid1(VALU_DEP_2)
	v_ashrrev_i32_e32 v5, 31, v4
	v_add_co_u32 v4, vcc_lo, s16, v4
	v_add_co_ci_u32_e32 v5, vcc_lo, s17, v5, vcc_lo
	global_load_i8 v9, v[2:3], off
	global_load_i8 v4, v[4:5], off
	v_add_co_u32 v2, vcc_lo, 0x2d9, v2
	v_add_co_ci_u32_e32 v3, vcc_lo, 0, v3, vcc_lo
	s_waitcnt vmcnt(1)
	v_cvt_f32_i32_e32 v5, v9
	s_waitcnt vmcnt(0)
	v_cvt_f32_i32_e32 v4, v4
	s_delay_alu instid0(VALU_DEP_1)
	v_fmac_f32_e32 v6, v5, v4
	s_branch .LBB250_9
.LBB250_12:
	s_set_inst_prefetch_distance 0x2
	v_lshlrev_b32_e32 v1, 2, v0
	s_and_b32 vcc_lo, exec_lo, s3
	ds_store_b32 v1, v6
	s_waitcnt lgkmcnt(0)
	s_barrier
	buffer_gl0_inv
	s_cbranch_vccz .LBB250_24
; %bb.13:
	s_mov_b32 s0, exec_lo
	v_cmpx_gt_u16_e32 11, v7
	s_cbranch_execz .LBB250_15
; %bb.14:
	ds_load_2addr_b32 v[2:3], v1 offset1:16
	s_waitcnt lgkmcnt(0)
	v_add_f32_e32 v2, v3, v2
	ds_store_b32 v1, v2
.LBB250_15:
	s_or_b32 exec_lo, exec_lo, s0
	s_delay_alu instid0(SALU_CYCLE_1)
	s_mov_b32 s0, exec_lo
	s_waitcnt lgkmcnt(0)
	s_barrier
	buffer_gl0_inv
	v_cmpx_gt_u16_e32 8, v7
	s_cbranch_execz .LBB250_17
; %bb.16:
	ds_load_2addr_b32 v[2:3], v1 offset1:8
	s_waitcnt lgkmcnt(0)
	v_add_f32_e32 v2, v3, v2
	ds_store_b32 v1, v2
.LBB250_17:
	s_or_b32 exec_lo, exec_lo, s0
	s_delay_alu instid0(SALU_CYCLE_1)
	s_mov_b32 s0, exec_lo
	s_waitcnt lgkmcnt(0)
	s_barrier
	buffer_gl0_inv
	;; [unrolled: 14-line block ×3, first 2 shown]
	v_cmpx_gt_u16_e32 2, v7
	s_cbranch_execz .LBB250_21
; %bb.20:
	ds_load_2addr_b32 v[2:3], v1 offset1:2
	s_waitcnt lgkmcnt(0)
	v_add_f32_e32 v2, v3, v2
	ds_store_b32 v1, v2
.LBB250_21:
	s_or_b32 exec_lo, exec_lo, s0
	s_mov_b32 s1, 0
	s_mov_b32 s0, 0
	s_mov_b32 s3, exec_lo
	s_waitcnt lgkmcnt(0)
	s_barrier
	buffer_gl0_inv
                                        ; implicit-def: $vgpr2
                                        ; implicit-def: $vgpr3
	v_cmpx_gt_u32_e32 27, v0
	s_xor_b32 s3, exec_lo, s3
; %bb.22:
	v_mad_u32_u24 v2, v0, 27, 1
	v_mad_u32_u24 v3, 0x68, v0, v1
	s_mov_b32 s0, exec_lo
; %bb.23:
	s_or_b32 exec_lo, exec_lo, s3
	s_delay_alu instid0(SALU_CYCLE_1)
	s_and_b32 vcc_lo, exec_lo, s1
	s_cbranch_vccnz .LBB250_25
	s_branch .LBB250_36
.LBB250_24:
	s_mov_b32 s0, 0
                                        ; implicit-def: $vgpr2
                                        ; implicit-def: $vgpr3
	s_cbranch_execz .LBB250_36
.LBB250_25:
	s_mov_b32 s1, exec_lo
	v_cmpx_gt_u32_e32 0x129, v0
	s_cbranch_execz .LBB250_27
; %bb.26:
	ds_load_b32 v2, v1 offset:1728
	ds_load_b32 v3, v1
	s_waitcnt lgkmcnt(0)
	v_add_f32_e32 v2, v2, v3
	ds_store_b32 v1, v2
.LBB250_27:
	s_or_b32 exec_lo, exec_lo, s1
	s_delay_alu instid0(SALU_CYCLE_1)
	s_mov_b32 s1, exec_lo
	s_waitcnt lgkmcnt(0)
	s_barrier
	buffer_gl0_inv
	v_cmpx_gt_u32_e32 0xd8, v0
	s_cbranch_execz .LBB250_29
; %bb.28:
	ds_load_2addr_b32 v[2:3], v1 offset1:216
	s_waitcnt lgkmcnt(0)
	v_add_f32_e32 v2, v3, v2
	ds_store_b32 v1, v2
.LBB250_29:
	s_or_b32 exec_lo, exec_lo, s1
	s_delay_alu instid0(SALU_CYCLE_1)
	s_mov_b32 s1, exec_lo
	s_waitcnt lgkmcnt(0)
	s_barrier
	buffer_gl0_inv
	v_cmpx_gt_u32_e32 0x6c, v0
	s_cbranch_execz .LBB250_31
; %bb.30:
	ds_load_2addr_b32 v[2:3], v1 offset1:108
	s_waitcnt lgkmcnt(0)
	v_add_f32_e32 v2, v3, v2
	ds_store_b32 v1, v2
.LBB250_31:
	;; [unrolled: 14-line block ×3, first 2 shown]
	s_or_b32 exec_lo, exec_lo, s1
	s_delay_alu instid0(SALU_CYCLE_1)
	s_mov_b32 s1, exec_lo
	s_waitcnt lgkmcnt(0)
	buffer_gl0_inv
                                        ; implicit-def: $vgpr2
	v_cmpx_gt_u32_e32 27, v0
; %bb.34:
	v_add_nc_u32_e32 v2, 27, v0
	s_or_b32 s0, s0, exec_lo
                                        ; implicit-def: $vgpr6
; %bb.35:
	s_or_b32 exec_lo, exec_lo, s1
	v_mov_b32_e32 v3, v1
.LBB250_36:
	s_and_saveexec_b32 s1, s0
	s_cbranch_execz .LBB250_38
; %bb.37:
	v_lshlrev_b32_e32 v1, 2, v2
	ds_load_b32 v2, v3
	ds_load_b32 v1, v1
	s_waitcnt lgkmcnt(0)
	v_add_f32_e32 v6, v2, v1
.LBB250_38:
	s_or_b32 exec_lo, exec_lo, s1
	s_delay_alu instid0(SALU_CYCLE_1)
	s_mov_b32 s0, exec_lo
	v_cmpx_gt_u32_e32 27, v0
	s_cbranch_execz .LBB250_42
; %bb.39:
	v_cmp_eq_f32_e64 s0, s2, 0
	v_mul_f32_e32 v1, s10, v6
	s_delay_alu instid0(VALU_DEP_2)
	s_and_b32 vcc_lo, exec_lo, s0
	s_mov_b32 s0, 0
	s_cbranch_vccz .LBB250_43
; %bb.40:
	s_delay_alu instid0(VALU_DEP_1) | instskip(SKIP_1) | instid1(VALU_DEP_1)
	v_mad_u64_u32 v[2:3], null, s8, 27, v[0:1]
	v_mov_b32_e32 v3, 0
	v_lshlrev_b64 v[2:3], 2, v[2:3]
	s_delay_alu instid0(VALU_DEP_1) | instskip(NEXT) | instid1(VALU_DEP_2)
	v_add_co_u32 v2, vcc_lo, s12, v2
	v_add_co_ci_u32_e32 v3, vcc_lo, s13, v3, vcc_lo
	global_store_b32 v[2:3], v1, off
	s_and_not1_b32 vcc_lo, exec_lo, s0
	s_cbranch_vccnz .LBB250_42
.LBB250_41:
	v_mad_u64_u32 v[2:3], null, s8, 27, v[0:1]
	v_mov_b32_e32 v3, 0
	s_delay_alu instid0(VALU_DEP_1) | instskip(NEXT) | instid1(VALU_DEP_1)
	v_lshlrev_b64 v[2:3], 2, v[2:3]
	v_add_co_u32 v2, vcc_lo, s12, v2
	s_delay_alu instid0(VALU_DEP_2)
	v_add_co_ci_u32_e32 v3, vcc_lo, s13, v3, vcc_lo
	global_load_b32 v0, v[2:3], off
	s_waitcnt vmcnt(0)
	v_fmac_f32_e32 v1, s2, v0
	global_store_b32 v[2:3], v1, off
.LBB250_42:
	s_nop 0
	s_sendmsg sendmsg(MSG_DEALLOC_VGPRS)
	s_endpgm
.LBB250_43:
	s_branch .LBB250_41
	.section	.rodata,"a",@progbits
	.p2align	6, 0x0
	.amdhsa_kernel _ZN9rocsparseL20bsrxmvn_17_32_kernelILj27EfiiaafEEvT2_20rocsparse_direction_NS_24const_host_device_scalarIT0_EES1_PKS1_PKT1_SA_S7_PKT3_PKT4_S5_PT5_21rocsparse_index_base_b
		.amdhsa_group_segment_fixed_size 2916
		.amdhsa_private_segment_fixed_size 0
		.amdhsa_kernarg_size 96
		.amdhsa_user_sgpr_count 15
		.amdhsa_user_sgpr_dispatch_ptr 0
		.amdhsa_user_sgpr_queue_ptr 0
		.amdhsa_user_sgpr_kernarg_segment_ptr 1
		.amdhsa_user_sgpr_dispatch_id 0
		.amdhsa_user_sgpr_private_segment_size 0
		.amdhsa_wavefront_size32 1
		.amdhsa_uses_dynamic_stack 0
		.amdhsa_enable_private_segment 0
		.amdhsa_system_sgpr_workgroup_id_x 1
		.amdhsa_system_sgpr_workgroup_id_y 0
		.amdhsa_system_sgpr_workgroup_id_z 0
		.amdhsa_system_sgpr_workgroup_info 0
		.amdhsa_system_vgpr_workitem_id 0
		.amdhsa_next_free_vgpr 10
		.amdhsa_next_free_sgpr 18
		.amdhsa_reserve_vcc 1
		.amdhsa_float_round_mode_32 0
		.amdhsa_float_round_mode_16_64 0
		.amdhsa_float_denorm_mode_32 3
		.amdhsa_float_denorm_mode_16_64 3
		.amdhsa_dx10_clamp 1
		.amdhsa_ieee_mode 1
		.amdhsa_fp16_overflow 0
		.amdhsa_workgroup_processor_mode 1
		.amdhsa_memory_ordered 1
		.amdhsa_forward_progress 0
		.amdhsa_shared_vgpr_count 0
		.amdhsa_exception_fp_ieee_invalid_op 0
		.amdhsa_exception_fp_denorm_src 0
		.amdhsa_exception_fp_ieee_div_zero 0
		.amdhsa_exception_fp_ieee_overflow 0
		.amdhsa_exception_fp_ieee_underflow 0
		.amdhsa_exception_fp_ieee_inexact 0
		.amdhsa_exception_int_div_zero 0
	.end_amdhsa_kernel
	.section	.text._ZN9rocsparseL20bsrxmvn_17_32_kernelILj27EfiiaafEEvT2_20rocsparse_direction_NS_24const_host_device_scalarIT0_EES1_PKS1_PKT1_SA_S7_PKT3_PKT4_S5_PT5_21rocsparse_index_base_b,"axG",@progbits,_ZN9rocsparseL20bsrxmvn_17_32_kernelILj27EfiiaafEEvT2_20rocsparse_direction_NS_24const_host_device_scalarIT0_EES1_PKS1_PKT1_SA_S7_PKT3_PKT4_S5_PT5_21rocsparse_index_base_b,comdat
.Lfunc_end250:
	.size	_ZN9rocsparseL20bsrxmvn_17_32_kernelILj27EfiiaafEEvT2_20rocsparse_direction_NS_24const_host_device_scalarIT0_EES1_PKS1_PKT1_SA_S7_PKT3_PKT4_S5_PT5_21rocsparse_index_base_b, .Lfunc_end250-_ZN9rocsparseL20bsrxmvn_17_32_kernelILj27EfiiaafEEvT2_20rocsparse_direction_NS_24const_host_device_scalarIT0_EES1_PKS1_PKT1_SA_S7_PKT3_PKT4_S5_PT5_21rocsparse_index_base_b
                                        ; -- End function
	.section	.AMDGPU.csdata,"",@progbits
; Kernel info:
; codeLenInByte = 1524
; NumSgprs: 20
; NumVgprs: 10
; ScratchSize: 0
; MemoryBound: 0
; FloatMode: 240
; IeeeMode: 1
; LDSByteSize: 2916 bytes/workgroup (compile time only)
; SGPRBlocks: 2
; VGPRBlocks: 1
; NumSGPRsForWavesPerEU: 20
; NumVGPRsForWavesPerEU: 10
; Occupancy: 12
; WaveLimiterHint : 1
; COMPUTE_PGM_RSRC2:SCRATCH_EN: 0
; COMPUTE_PGM_RSRC2:USER_SGPR: 15
; COMPUTE_PGM_RSRC2:TRAP_HANDLER: 0
; COMPUTE_PGM_RSRC2:TGID_X_EN: 1
; COMPUTE_PGM_RSRC2:TGID_Y_EN: 0
; COMPUTE_PGM_RSRC2:TGID_Z_EN: 0
; COMPUTE_PGM_RSRC2:TIDIG_COMP_CNT: 0
	.section	.text._ZN9rocsparseL20bsrxmvn_17_32_kernelILj28EfiiaafEEvT2_20rocsparse_direction_NS_24const_host_device_scalarIT0_EES1_PKS1_PKT1_SA_S7_PKT3_PKT4_S5_PT5_21rocsparse_index_base_b,"axG",@progbits,_ZN9rocsparseL20bsrxmvn_17_32_kernelILj28EfiiaafEEvT2_20rocsparse_direction_NS_24const_host_device_scalarIT0_EES1_PKS1_PKT1_SA_S7_PKT3_PKT4_S5_PT5_21rocsparse_index_base_b,comdat
	.globl	_ZN9rocsparseL20bsrxmvn_17_32_kernelILj28EfiiaafEEvT2_20rocsparse_direction_NS_24const_host_device_scalarIT0_EES1_PKS1_PKT1_SA_S7_PKT3_PKT4_S5_PT5_21rocsparse_index_base_b ; -- Begin function _ZN9rocsparseL20bsrxmvn_17_32_kernelILj28EfiiaafEEvT2_20rocsparse_direction_NS_24const_host_device_scalarIT0_EES1_PKS1_PKT1_SA_S7_PKT3_PKT4_S5_PT5_21rocsparse_index_base_b
	.p2align	8
	.type	_ZN9rocsparseL20bsrxmvn_17_32_kernelILj28EfiiaafEEvT2_20rocsparse_direction_NS_24const_host_device_scalarIT0_EES1_PKS1_PKT1_SA_S7_PKT3_PKT4_S5_PT5_21rocsparse_index_base_b,@function
_ZN9rocsparseL20bsrxmvn_17_32_kernelILj28EfiiaafEEvT2_20rocsparse_direction_NS_24const_host_device_scalarIT0_EES1_PKS1_PKT1_SA_S7_PKT3_PKT4_S5_PT5_21rocsparse_index_base_b: ; @_ZN9rocsparseL20bsrxmvn_17_32_kernelILj28EfiiaafEEvT2_20rocsparse_direction_NS_24const_host_device_scalarIT0_EES1_PKS1_PKT1_SA_S7_PKT3_PKT4_S5_PT5_21rocsparse_index_base_b
; %bb.0:
	s_mov_b32 s8, s15
	s_clause 0x2
	s_load_b64 s[14:15], s[0:1], 0x58
	s_load_b64 s[10:11], s[0:1], 0x8
	;; [unrolled: 1-line block ×3, first 2 shown]
	s_waitcnt lgkmcnt(0)
	s_bitcmp1_b32 s15, 0
	s_cselect_b32 s4, -1, 0
	s_delay_alu instid0(SALU_CYCLE_1)
	s_and_b32 vcc_lo, exec_lo, s4
	s_xor_b32 s4, s4, -1
	s_cbranch_vccnz .LBB251_2
; %bb.1:
	s_load_b32 s10, s[10:11], 0x0
.LBB251_2:
	s_and_not1_b32 vcc_lo, exec_lo, s4
	s_cbranch_vccnz .LBB251_4
; %bb.3:
	s_load_b32 s2, s[2:3], 0x0
.LBB251_4:
	s_waitcnt lgkmcnt(0)
	v_cmp_neq_f32_e64 s3, s10, 0
	v_cmp_neq_f32_e64 s4, s2, 1.0
	s_delay_alu instid0(VALU_DEP_1) | instskip(NEXT) | instid1(SALU_CYCLE_1)
	s_or_b32 s3, s3, s4
	s_and_not1_b32 vcc_lo, exec_lo, s3
	s_cbranch_vccnz .LBB251_42
; %bb.5:
	s_clause 0x1
	s_load_b128 s[4:7], s[0:1], 0x18
	s_load_b64 s[12:13], s[0:1], 0x28
	s_waitcnt lgkmcnt(0)
	s_cmp_eq_u64 s[4:5], 0
	s_cbranch_scc1 .LBB251_7
; %bb.6:
	s_ashr_i32 s9, s8, 31
	s_delay_alu instid0(SALU_CYCLE_1) | instskip(NEXT) | instid1(SALU_CYCLE_1)
	s_lshl_b64 s[8:9], s[8:9], 2
	s_add_u32 s4, s4, s8
	s_addc_u32 s5, s5, s9
	s_load_b32 s3, s[4:5], 0x0
	s_waitcnt lgkmcnt(0)
	s_sub_i32 s8, s3, s14
.LBB251_7:
	s_load_b32 s3, s[0:1], 0x4
	v_mul_u32_u24_e32 v1, 0x925, v0
	v_mov_b32_e32 v6, 0
	s_delay_alu instid0(VALU_DEP_2) | instskip(NEXT) | instid1(VALU_DEP_1)
	v_lshrrev_b32_e32 v1, 16, v1
	v_mul_lo_u16 v2, v1, 28
	s_delay_alu instid0(VALU_DEP_1)
	v_sub_nc_u16 v7, v0, v2
	s_waitcnt lgkmcnt(0)
	s_cmp_eq_u32 s3, 1
	s_cselect_b32 vcc_lo, -1, 0
	s_cmp_lg_u32 s3, 1
	s_cselect_b32 s3, -1, 0
	s_ashr_i32 s9, s8, 31
	s_delay_alu instid0(SALU_CYCLE_1) | instskip(NEXT) | instid1(SALU_CYCLE_1)
	s_lshl_b64 s[4:5], s[8:9], 2
	s_add_u32 s6, s6, s4
	s_addc_u32 s7, s7, s5
	s_add_u32 s9, s6, 4
	s_addc_u32 s11, s7, 0
	s_add_u32 s4, s12, s4
	s_addc_u32 s5, s13, s5
	s_cmp_eq_u64 s[12:13], 0
	s_load_b64 s[12:13], s[0:1], 0x50
	s_cselect_b32 s5, s11, s5
	s_cselect_b32 s4, s9, s4
	s_load_b32 s9, s[6:7], 0x0
	s_load_b32 s11, s[4:5], 0x0
	s_waitcnt lgkmcnt(0)
	s_cmp_ge_i32 s9, s11
	s_cbranch_scc1 .LBB251_12
; %bb.8:
	s_clause 0x1
	s_load_b128 s[4:7], s[0:1], 0x30
	s_load_b64 s[16:17], s[0:1], 0x40
	v_dual_mov_b32 v6, 0 :: v_dual_and_b32 v1, 0xffff, v1
	v_cmp_gt_u32_e64 s0, 0x310, v0
	v_and_b32_e32 v3, 0xffff, v7
	s_sub_i32 s1, s11, s14
	s_delay_alu instid0(VALU_DEP_3) | instskip(NEXT) | instid1(VALU_DEP_1)
	v_subrev_nc_u32_e32 v2, 28, v1
	v_cndmask_b32_e64 v1, v2, v1, s0
	s_sub_i32 s0, s9, s14
	s_delay_alu instid0(SALU_CYCLE_1) | instskip(SKIP_1) | instid1(VALU_DEP_1)
	s_mul_i32 s11, s0, 0x310
	s_mul_hi_i32 s9, s0, 0x310
	v_cndmask_b32_e32 v1, v3, v1, vcc_lo
	v_cmp_lt_u32_e32 vcc_lo, 0x30f, v0
	s_waitcnt lgkmcnt(0)
	s_add_u32 s6, s6, s11
	s_addc_u32 s7, s7, s9
	v_add_co_u32 v2, s6, s6, v0
	s_delay_alu instid0(VALU_DEP_1)
	v_add_co_ci_u32_e64 v3, null, s7, 0, s6
	v_cndmask_b32_e64 v8, 0, 1, vcc_lo
	s_set_inst_prefetch_distance 0x1
	s_branch .LBB251_10
	.p2align	6
.LBB251_9:                              ;   in Loop: Header=BB251_10 Depth=1
	s_or_b32 exec_lo, exec_lo, s6
	s_add_i32 s0, s0, 1
	s_delay_alu instid0(SALU_CYCLE_1)
	s_cmp_lt_i32 s0, s1
	s_cbranch_scc0 .LBB251_12
.LBB251_10:                             ; =>This Inner Loop Header: Depth=1
	s_delay_alu instid0(VALU_DEP_1) | instskip(SKIP_1) | instid1(VALU_DEP_1)
	v_add_nc_u32_e32 v4, s0, v8
	s_mov_b32 s6, exec_lo
	v_cmpx_gt_i32_e64 s1, v4
	s_cbranch_execz .LBB251_9
; %bb.11:                               ;   in Loop: Header=BB251_10 Depth=1
	v_ashrrev_i32_e32 v5, 31, v4
	s_delay_alu instid0(VALU_DEP_1) | instskip(NEXT) | instid1(VALU_DEP_1)
	v_lshlrev_b64 v[4:5], 2, v[4:5]
	v_add_co_u32 v4, vcc_lo, s4, v4
	s_delay_alu instid0(VALU_DEP_2) | instskip(SKIP_3) | instid1(VALU_DEP_1)
	v_add_co_ci_u32_e32 v5, vcc_lo, s5, v5, vcc_lo
	global_load_b32 v4, v[4:5], off
	s_waitcnt vmcnt(0)
	v_subrev_nc_u32_e32 v9, s14, v4
	v_mad_u64_u32 v[4:5], null, v9, 28, v[1:2]
	s_delay_alu instid0(VALU_DEP_1) | instskip(SKIP_1) | instid1(VALU_DEP_2)
	v_ashrrev_i32_e32 v5, 31, v4
	v_add_co_u32 v4, vcc_lo, s16, v4
	v_add_co_ci_u32_e32 v5, vcc_lo, s17, v5, vcc_lo
	global_load_i8 v9, v[2:3], off
	global_load_i8 v4, v[4:5], off
	v_add_co_u32 v2, vcc_lo, 0x310, v2
	v_add_co_ci_u32_e32 v3, vcc_lo, 0, v3, vcc_lo
	s_waitcnt vmcnt(1)
	v_cvt_f32_i32_e32 v5, v9
	s_waitcnt vmcnt(0)
	v_cvt_f32_i32_e32 v4, v4
	s_delay_alu instid0(VALU_DEP_1)
	v_fmac_f32_e32 v6, v5, v4
	s_branch .LBB251_9
.LBB251_12:
	s_set_inst_prefetch_distance 0x2
	v_lshlrev_b32_e32 v1, 2, v0
	s_and_b32 vcc_lo, exec_lo, s3
	ds_store_b32 v1, v6
	s_waitcnt lgkmcnt(0)
	s_barrier
	buffer_gl0_inv
	s_cbranch_vccz .LBB251_24
; %bb.13:
	s_mov_b32 s0, exec_lo
	v_cmpx_gt_u16_e32 12, v7
	s_cbranch_execz .LBB251_15
; %bb.14:
	ds_load_2addr_b32 v[2:3], v1 offset1:16
	s_waitcnt lgkmcnt(0)
	v_add_f32_e32 v2, v3, v2
	ds_store_b32 v1, v2
.LBB251_15:
	s_or_b32 exec_lo, exec_lo, s0
	s_delay_alu instid0(SALU_CYCLE_1)
	s_mov_b32 s0, exec_lo
	s_waitcnt lgkmcnt(0)
	s_barrier
	buffer_gl0_inv
	v_cmpx_gt_u16_e32 8, v7
	s_cbranch_execz .LBB251_17
; %bb.16:
	ds_load_2addr_b32 v[2:3], v1 offset1:8
	s_waitcnt lgkmcnt(0)
	v_add_f32_e32 v2, v3, v2
	ds_store_b32 v1, v2
.LBB251_17:
	s_or_b32 exec_lo, exec_lo, s0
	s_delay_alu instid0(SALU_CYCLE_1)
	s_mov_b32 s0, exec_lo
	s_waitcnt lgkmcnt(0)
	s_barrier
	buffer_gl0_inv
	;; [unrolled: 14-line block ×3, first 2 shown]
	v_cmpx_gt_u16_e32 2, v7
	s_cbranch_execz .LBB251_21
; %bb.20:
	ds_load_2addr_b32 v[2:3], v1 offset1:2
	s_waitcnt lgkmcnt(0)
	v_add_f32_e32 v2, v3, v2
	ds_store_b32 v1, v2
.LBB251_21:
	s_or_b32 exec_lo, exec_lo, s0
	s_mov_b32 s1, 0
	s_mov_b32 s0, 0
	s_mov_b32 s3, exec_lo
	s_waitcnt lgkmcnt(0)
	s_barrier
	buffer_gl0_inv
                                        ; implicit-def: $vgpr2
                                        ; implicit-def: $vgpr3
	v_cmpx_gt_u32_e32 28, v0
	s_xor_b32 s3, exec_lo, s3
; %bb.22:
	v_mul_u32_u24_e32 v2, 28, v0
	v_mad_u32_u24 v3, 0x6c, v0, v1
	s_mov_b32 s0, exec_lo
	s_delay_alu instid0(VALU_DEP_2)
	v_or_b32_e32 v2, 1, v2
; %bb.23:
	s_or_b32 exec_lo, exec_lo, s3
	s_delay_alu instid0(SALU_CYCLE_1)
	s_and_b32 vcc_lo, exec_lo, s1
	s_cbranch_vccnz .LBB251_25
	s_branch .LBB251_36
.LBB251_24:
	s_mov_b32 s0, 0
                                        ; implicit-def: $vgpr2
                                        ; implicit-def: $vgpr3
	s_cbranch_execz .LBB251_36
.LBB251_25:
	s_mov_b32 s1, exec_lo
	v_cmpx_gt_u32_e32 0x150, v0
	s_cbranch_execz .LBB251_27
; %bb.26:
	ds_load_2addr_stride64_b32 v[2:3], v1 offset1:7
	s_waitcnt lgkmcnt(0)
	v_add_f32_e32 v2, v3, v2
	ds_store_b32 v1, v2
.LBB251_27:
	s_or_b32 exec_lo, exec_lo, s1
	s_delay_alu instid0(SALU_CYCLE_1)
	s_mov_b32 s1, exec_lo
	s_waitcnt lgkmcnt(0)
	s_barrier
	buffer_gl0_inv
	v_cmpx_gt_u32_e32 0xe0, v0
	s_cbranch_execz .LBB251_29
; %bb.28:
	ds_load_2addr_b32 v[2:3], v1 offset1:224
	s_waitcnt lgkmcnt(0)
	v_add_f32_e32 v2, v3, v2
	ds_store_b32 v1, v2
.LBB251_29:
	s_or_b32 exec_lo, exec_lo, s1
	s_delay_alu instid0(SALU_CYCLE_1)
	s_mov_b32 s1, exec_lo
	s_waitcnt lgkmcnt(0)
	s_barrier
	buffer_gl0_inv
	v_cmpx_gt_u32_e32 0x70, v0
	s_cbranch_execz .LBB251_31
; %bb.30:
	ds_load_2addr_b32 v[2:3], v1 offset1:112
	s_waitcnt lgkmcnt(0)
	v_add_f32_e32 v2, v3, v2
	ds_store_b32 v1, v2
.LBB251_31:
	;; [unrolled: 14-line block ×3, first 2 shown]
	s_or_b32 exec_lo, exec_lo, s1
	s_delay_alu instid0(SALU_CYCLE_1)
	s_mov_b32 s1, exec_lo
	s_waitcnt lgkmcnt(0)
	buffer_gl0_inv
                                        ; implicit-def: $vgpr2
	v_cmpx_gt_u32_e32 28, v0
; %bb.34:
	v_add_nc_u32_e32 v2, 28, v0
	s_or_b32 s0, s0, exec_lo
                                        ; implicit-def: $vgpr6
; %bb.35:
	s_or_b32 exec_lo, exec_lo, s1
	v_mov_b32_e32 v3, v1
.LBB251_36:
	s_and_saveexec_b32 s1, s0
	s_cbranch_execz .LBB251_38
; %bb.37:
	v_lshlrev_b32_e32 v1, 2, v2
	ds_load_b32 v2, v3
	ds_load_b32 v1, v1
	s_waitcnt lgkmcnt(0)
	v_add_f32_e32 v6, v2, v1
.LBB251_38:
	s_or_b32 exec_lo, exec_lo, s1
	s_delay_alu instid0(SALU_CYCLE_1)
	s_mov_b32 s0, exec_lo
	v_cmpx_gt_u32_e32 28, v0
	s_cbranch_execz .LBB251_42
; %bb.39:
	v_cmp_eq_f32_e64 s0, s2, 0
	v_mul_f32_e32 v1, s10, v6
	s_delay_alu instid0(VALU_DEP_2)
	s_and_b32 vcc_lo, exec_lo, s0
	s_mov_b32 s0, 0
	s_cbranch_vccz .LBB251_43
; %bb.40:
	s_delay_alu instid0(VALU_DEP_1) | instskip(SKIP_1) | instid1(VALU_DEP_1)
	v_mad_u64_u32 v[2:3], null, s8, 28, v[0:1]
	v_mov_b32_e32 v3, 0
	v_lshlrev_b64 v[2:3], 2, v[2:3]
	s_delay_alu instid0(VALU_DEP_1) | instskip(NEXT) | instid1(VALU_DEP_2)
	v_add_co_u32 v2, vcc_lo, s12, v2
	v_add_co_ci_u32_e32 v3, vcc_lo, s13, v3, vcc_lo
	global_store_b32 v[2:3], v1, off
	s_and_not1_b32 vcc_lo, exec_lo, s0
	s_cbranch_vccnz .LBB251_42
.LBB251_41:
	v_mad_u64_u32 v[2:3], null, s8, 28, v[0:1]
	v_mov_b32_e32 v3, 0
	s_delay_alu instid0(VALU_DEP_1) | instskip(NEXT) | instid1(VALU_DEP_1)
	v_lshlrev_b64 v[2:3], 2, v[2:3]
	v_add_co_u32 v2, vcc_lo, s12, v2
	s_delay_alu instid0(VALU_DEP_2)
	v_add_co_ci_u32_e32 v3, vcc_lo, s13, v3, vcc_lo
	global_load_b32 v0, v[2:3], off
	s_waitcnt vmcnt(0)
	v_fmac_f32_e32 v1, s2, v0
	global_store_b32 v[2:3], v1, off
.LBB251_42:
	s_nop 0
	s_sendmsg sendmsg(MSG_DEALLOC_VGPRS)
	s_endpgm
.LBB251_43:
	s_branch .LBB251_41
	.section	.rodata,"a",@progbits
	.p2align	6, 0x0
	.amdhsa_kernel _ZN9rocsparseL20bsrxmvn_17_32_kernelILj28EfiiaafEEvT2_20rocsparse_direction_NS_24const_host_device_scalarIT0_EES1_PKS1_PKT1_SA_S7_PKT3_PKT4_S5_PT5_21rocsparse_index_base_b
		.amdhsa_group_segment_fixed_size 3136
		.amdhsa_private_segment_fixed_size 0
		.amdhsa_kernarg_size 96
		.amdhsa_user_sgpr_count 15
		.amdhsa_user_sgpr_dispatch_ptr 0
		.amdhsa_user_sgpr_queue_ptr 0
		.amdhsa_user_sgpr_kernarg_segment_ptr 1
		.amdhsa_user_sgpr_dispatch_id 0
		.amdhsa_user_sgpr_private_segment_size 0
		.amdhsa_wavefront_size32 1
		.amdhsa_uses_dynamic_stack 0
		.amdhsa_enable_private_segment 0
		.amdhsa_system_sgpr_workgroup_id_x 1
		.amdhsa_system_sgpr_workgroup_id_y 0
		.amdhsa_system_sgpr_workgroup_id_z 0
		.amdhsa_system_sgpr_workgroup_info 0
		.amdhsa_system_vgpr_workitem_id 0
		.amdhsa_next_free_vgpr 10
		.amdhsa_next_free_sgpr 18
		.amdhsa_reserve_vcc 1
		.amdhsa_float_round_mode_32 0
		.amdhsa_float_round_mode_16_64 0
		.amdhsa_float_denorm_mode_32 3
		.amdhsa_float_denorm_mode_16_64 3
		.amdhsa_dx10_clamp 1
		.amdhsa_ieee_mode 1
		.amdhsa_fp16_overflow 0
		.amdhsa_workgroup_processor_mode 1
		.amdhsa_memory_ordered 1
		.amdhsa_forward_progress 0
		.amdhsa_shared_vgpr_count 0
		.amdhsa_exception_fp_ieee_invalid_op 0
		.amdhsa_exception_fp_denorm_src 0
		.amdhsa_exception_fp_ieee_div_zero 0
		.amdhsa_exception_fp_ieee_overflow 0
		.amdhsa_exception_fp_ieee_underflow 0
		.amdhsa_exception_fp_ieee_inexact 0
		.amdhsa_exception_int_div_zero 0
	.end_amdhsa_kernel
	.section	.text._ZN9rocsparseL20bsrxmvn_17_32_kernelILj28EfiiaafEEvT2_20rocsparse_direction_NS_24const_host_device_scalarIT0_EES1_PKS1_PKT1_SA_S7_PKT3_PKT4_S5_PT5_21rocsparse_index_base_b,"axG",@progbits,_ZN9rocsparseL20bsrxmvn_17_32_kernelILj28EfiiaafEEvT2_20rocsparse_direction_NS_24const_host_device_scalarIT0_EES1_PKS1_PKT1_SA_S7_PKT3_PKT4_S5_PT5_21rocsparse_index_base_b,comdat
.Lfunc_end251:
	.size	_ZN9rocsparseL20bsrxmvn_17_32_kernelILj28EfiiaafEEvT2_20rocsparse_direction_NS_24const_host_device_scalarIT0_EES1_PKS1_PKT1_SA_S7_PKT3_PKT4_S5_PT5_21rocsparse_index_base_b, .Lfunc_end251-_ZN9rocsparseL20bsrxmvn_17_32_kernelILj28EfiiaafEEvT2_20rocsparse_direction_NS_24const_host_device_scalarIT0_EES1_PKS1_PKT1_SA_S7_PKT3_PKT4_S5_PT5_21rocsparse_index_base_b
                                        ; -- End function
	.section	.AMDGPU.csdata,"",@progbits
; Kernel info:
; codeLenInByte = 1520
; NumSgprs: 20
; NumVgprs: 10
; ScratchSize: 0
; MemoryBound: 0
; FloatMode: 240
; IeeeMode: 1
; LDSByteSize: 3136 bytes/workgroup (compile time only)
; SGPRBlocks: 2
; VGPRBlocks: 1
; NumSGPRsForWavesPerEU: 20
; NumVGPRsForWavesPerEU: 10
; Occupancy: 13
; WaveLimiterHint : 1
; COMPUTE_PGM_RSRC2:SCRATCH_EN: 0
; COMPUTE_PGM_RSRC2:USER_SGPR: 15
; COMPUTE_PGM_RSRC2:TRAP_HANDLER: 0
; COMPUTE_PGM_RSRC2:TGID_X_EN: 1
; COMPUTE_PGM_RSRC2:TGID_Y_EN: 0
; COMPUTE_PGM_RSRC2:TGID_Z_EN: 0
; COMPUTE_PGM_RSRC2:TIDIG_COMP_CNT: 0
	.section	.text._ZN9rocsparseL20bsrxmvn_17_32_kernelILj29EfiiaafEEvT2_20rocsparse_direction_NS_24const_host_device_scalarIT0_EES1_PKS1_PKT1_SA_S7_PKT3_PKT4_S5_PT5_21rocsparse_index_base_b,"axG",@progbits,_ZN9rocsparseL20bsrxmvn_17_32_kernelILj29EfiiaafEEvT2_20rocsparse_direction_NS_24const_host_device_scalarIT0_EES1_PKS1_PKT1_SA_S7_PKT3_PKT4_S5_PT5_21rocsparse_index_base_b,comdat
	.globl	_ZN9rocsparseL20bsrxmvn_17_32_kernelILj29EfiiaafEEvT2_20rocsparse_direction_NS_24const_host_device_scalarIT0_EES1_PKS1_PKT1_SA_S7_PKT3_PKT4_S5_PT5_21rocsparse_index_base_b ; -- Begin function _ZN9rocsparseL20bsrxmvn_17_32_kernelILj29EfiiaafEEvT2_20rocsparse_direction_NS_24const_host_device_scalarIT0_EES1_PKS1_PKT1_SA_S7_PKT3_PKT4_S5_PT5_21rocsparse_index_base_b
	.p2align	8
	.type	_ZN9rocsparseL20bsrxmvn_17_32_kernelILj29EfiiaafEEvT2_20rocsparse_direction_NS_24const_host_device_scalarIT0_EES1_PKS1_PKT1_SA_S7_PKT3_PKT4_S5_PT5_21rocsparse_index_base_b,@function
_ZN9rocsparseL20bsrxmvn_17_32_kernelILj29EfiiaafEEvT2_20rocsparse_direction_NS_24const_host_device_scalarIT0_EES1_PKS1_PKT1_SA_S7_PKT3_PKT4_S5_PT5_21rocsparse_index_base_b: ; @_ZN9rocsparseL20bsrxmvn_17_32_kernelILj29EfiiaafEEvT2_20rocsparse_direction_NS_24const_host_device_scalarIT0_EES1_PKS1_PKT1_SA_S7_PKT3_PKT4_S5_PT5_21rocsparse_index_base_b
; %bb.0:
	s_mov_b32 s8, s15
	s_clause 0x2
	s_load_b64 s[14:15], s[0:1], 0x58
	s_load_b64 s[10:11], s[0:1], 0x8
	;; [unrolled: 1-line block ×3, first 2 shown]
	s_waitcnt lgkmcnt(0)
	s_bitcmp1_b32 s15, 0
	s_cselect_b32 s4, -1, 0
	s_delay_alu instid0(SALU_CYCLE_1)
	s_and_b32 vcc_lo, exec_lo, s4
	s_xor_b32 s4, s4, -1
	s_cbranch_vccnz .LBB252_2
; %bb.1:
	s_load_b32 s10, s[10:11], 0x0
.LBB252_2:
	s_and_not1_b32 vcc_lo, exec_lo, s4
	s_cbranch_vccnz .LBB252_4
; %bb.3:
	s_load_b32 s2, s[2:3], 0x0
.LBB252_4:
	s_waitcnt lgkmcnt(0)
	v_cmp_neq_f32_e64 s3, s10, 0
	v_cmp_neq_f32_e64 s4, s2, 1.0
	s_delay_alu instid0(VALU_DEP_1) | instskip(NEXT) | instid1(SALU_CYCLE_1)
	s_or_b32 s3, s3, s4
	s_and_not1_b32 vcc_lo, exec_lo, s3
	s_cbranch_vccnz .LBB252_42
; %bb.5:
	s_clause 0x1
	s_load_b128 s[4:7], s[0:1], 0x18
	s_load_b64 s[12:13], s[0:1], 0x28
	s_waitcnt lgkmcnt(0)
	s_cmp_eq_u64 s[4:5], 0
	s_cbranch_scc1 .LBB252_7
; %bb.6:
	s_ashr_i32 s9, s8, 31
	s_delay_alu instid0(SALU_CYCLE_1) | instskip(NEXT) | instid1(SALU_CYCLE_1)
	s_lshl_b64 s[8:9], s[8:9], 2
	s_add_u32 s4, s4, s8
	s_addc_u32 s5, s5, s9
	s_load_b32 s3, s[4:5], 0x0
	s_waitcnt lgkmcnt(0)
	s_sub_i32 s8, s3, s14
.LBB252_7:
	s_load_b32 s3, s[0:1], 0x4
	v_mul_u32_u24_e32 v1, 0x8d4, v0
	v_mov_b32_e32 v6, 0
	s_delay_alu instid0(VALU_DEP_2) | instskip(NEXT) | instid1(VALU_DEP_1)
	v_lshrrev_b32_e32 v1, 16, v1
	v_mul_lo_u16 v2, v1, 29
	s_delay_alu instid0(VALU_DEP_1)
	v_sub_nc_u16 v7, v0, v2
	s_waitcnt lgkmcnt(0)
	s_cmp_eq_u32 s3, 1
	s_cselect_b32 vcc_lo, -1, 0
	s_cmp_lg_u32 s3, 1
	s_cselect_b32 s3, -1, 0
	s_ashr_i32 s9, s8, 31
	s_delay_alu instid0(SALU_CYCLE_1) | instskip(NEXT) | instid1(SALU_CYCLE_1)
	s_lshl_b64 s[4:5], s[8:9], 2
	s_add_u32 s6, s6, s4
	s_addc_u32 s7, s7, s5
	s_add_u32 s9, s6, 4
	s_addc_u32 s11, s7, 0
	;; [unrolled: 2-line block ×3, first 2 shown]
	s_cmp_eq_u64 s[12:13], 0
	s_load_b64 s[12:13], s[0:1], 0x50
	s_cselect_b32 s5, s11, s5
	s_cselect_b32 s4, s9, s4
	s_load_b32 s9, s[6:7], 0x0
	s_load_b32 s11, s[4:5], 0x0
	s_waitcnt lgkmcnt(0)
	s_cmp_ge_i32 s9, s11
	s_cbranch_scc1 .LBB252_12
; %bb.8:
	s_clause 0x1
	s_load_b128 s[4:7], s[0:1], 0x30
	s_load_b64 s[16:17], s[0:1], 0x40
	v_dual_mov_b32 v6, 0 :: v_dual_and_b32 v1, 0xffff, v1
	v_cmp_gt_u32_e64 s0, 0x349, v0
	v_and_b32_e32 v3, 0xffff, v7
	s_sub_i32 s1, s11, s14
	s_delay_alu instid0(VALU_DEP_3) | instskip(NEXT) | instid1(VALU_DEP_1)
	v_subrev_nc_u32_e32 v2, 29, v1
	v_cndmask_b32_e64 v1, v2, v1, s0
	s_sub_i32 s0, s9, s14
	s_delay_alu instid0(SALU_CYCLE_1) | instskip(SKIP_1) | instid1(VALU_DEP_1)
	s_mul_i32 s11, s0, 0x349
	s_mul_hi_i32 s9, s0, 0x349
	v_cndmask_b32_e32 v1, v3, v1, vcc_lo
	v_cmp_lt_u32_e32 vcc_lo, 0x348, v0
	s_waitcnt lgkmcnt(0)
	s_add_u32 s6, s6, s11
	s_addc_u32 s7, s7, s9
	v_add_co_u32 v2, s6, s6, v0
	s_delay_alu instid0(VALU_DEP_1)
	v_add_co_ci_u32_e64 v3, null, s7, 0, s6
	v_cndmask_b32_e64 v8, 0, 1, vcc_lo
	s_set_inst_prefetch_distance 0x1
	s_branch .LBB252_10
	.p2align	6
.LBB252_9:                              ;   in Loop: Header=BB252_10 Depth=1
	s_or_b32 exec_lo, exec_lo, s6
	s_add_i32 s0, s0, 1
	s_delay_alu instid0(SALU_CYCLE_1)
	s_cmp_lt_i32 s0, s1
	s_cbranch_scc0 .LBB252_12
.LBB252_10:                             ; =>This Inner Loop Header: Depth=1
	s_delay_alu instid0(VALU_DEP_1) | instskip(SKIP_1) | instid1(VALU_DEP_1)
	v_add_nc_u32_e32 v4, s0, v8
	s_mov_b32 s6, exec_lo
	v_cmpx_gt_i32_e64 s1, v4
	s_cbranch_execz .LBB252_9
; %bb.11:                               ;   in Loop: Header=BB252_10 Depth=1
	v_ashrrev_i32_e32 v5, 31, v4
	s_delay_alu instid0(VALU_DEP_1) | instskip(NEXT) | instid1(VALU_DEP_1)
	v_lshlrev_b64 v[4:5], 2, v[4:5]
	v_add_co_u32 v4, vcc_lo, s4, v4
	s_delay_alu instid0(VALU_DEP_2) | instskip(SKIP_3) | instid1(VALU_DEP_1)
	v_add_co_ci_u32_e32 v5, vcc_lo, s5, v5, vcc_lo
	global_load_b32 v4, v[4:5], off
	s_waitcnt vmcnt(0)
	v_subrev_nc_u32_e32 v9, s14, v4
	v_mad_u64_u32 v[4:5], null, v9, 29, v[1:2]
	s_delay_alu instid0(VALU_DEP_1) | instskip(SKIP_1) | instid1(VALU_DEP_2)
	v_ashrrev_i32_e32 v5, 31, v4
	v_add_co_u32 v4, vcc_lo, s16, v4
	v_add_co_ci_u32_e32 v5, vcc_lo, s17, v5, vcc_lo
	global_load_i8 v9, v[2:3], off
	global_load_i8 v4, v[4:5], off
	v_add_co_u32 v2, vcc_lo, 0x349, v2
	v_add_co_ci_u32_e32 v3, vcc_lo, 0, v3, vcc_lo
	s_waitcnt vmcnt(1)
	v_cvt_f32_i32_e32 v5, v9
	s_waitcnt vmcnt(0)
	v_cvt_f32_i32_e32 v4, v4
	s_delay_alu instid0(VALU_DEP_1)
	v_fmac_f32_e32 v6, v5, v4
	s_branch .LBB252_9
.LBB252_12:
	s_set_inst_prefetch_distance 0x2
	v_lshlrev_b32_e32 v1, 2, v0
	s_and_b32 vcc_lo, exec_lo, s3
	ds_store_b32 v1, v6
	s_waitcnt lgkmcnt(0)
	s_barrier
	buffer_gl0_inv
	s_cbranch_vccz .LBB252_24
; %bb.13:
	s_mov_b32 s0, exec_lo
	v_cmpx_gt_u16_e32 13, v7
	s_cbranch_execz .LBB252_15
; %bb.14:
	ds_load_2addr_b32 v[2:3], v1 offset1:16
	s_waitcnt lgkmcnt(0)
	v_add_f32_e32 v2, v3, v2
	ds_store_b32 v1, v2
.LBB252_15:
	s_or_b32 exec_lo, exec_lo, s0
	s_delay_alu instid0(SALU_CYCLE_1)
	s_mov_b32 s0, exec_lo
	s_waitcnt lgkmcnt(0)
	s_barrier
	buffer_gl0_inv
	v_cmpx_gt_u16_e32 8, v7
	s_cbranch_execz .LBB252_17
; %bb.16:
	ds_load_2addr_b32 v[2:3], v1 offset1:8
	s_waitcnt lgkmcnt(0)
	v_add_f32_e32 v2, v3, v2
	ds_store_b32 v1, v2
.LBB252_17:
	s_or_b32 exec_lo, exec_lo, s0
	s_delay_alu instid0(SALU_CYCLE_1)
	s_mov_b32 s0, exec_lo
	s_waitcnt lgkmcnt(0)
	s_barrier
	buffer_gl0_inv
	;; [unrolled: 14-line block ×3, first 2 shown]
	v_cmpx_gt_u16_e32 2, v7
	s_cbranch_execz .LBB252_21
; %bb.20:
	ds_load_2addr_b32 v[2:3], v1 offset1:2
	s_waitcnt lgkmcnt(0)
	v_add_f32_e32 v2, v3, v2
	ds_store_b32 v1, v2
.LBB252_21:
	s_or_b32 exec_lo, exec_lo, s0
	s_mov_b32 s1, 0
	s_mov_b32 s0, 0
	s_mov_b32 s3, exec_lo
	s_waitcnt lgkmcnt(0)
	s_barrier
	buffer_gl0_inv
                                        ; implicit-def: $vgpr2
                                        ; implicit-def: $vgpr3
	v_cmpx_gt_u32_e32 29, v0
	s_xor_b32 s3, exec_lo, s3
; %bb.22:
	v_mad_u32_u24 v2, v0, 29, 1
	v_mad_u32_u24 v3, 0x70, v0, v1
	s_mov_b32 s0, exec_lo
; %bb.23:
	s_or_b32 exec_lo, exec_lo, s3
	s_delay_alu instid0(SALU_CYCLE_1)
	s_and_b32 vcc_lo, exec_lo, s1
	s_cbranch_vccnz .LBB252_25
	s_branch .LBB252_36
.LBB252_24:
	s_mov_b32 s0, 0
                                        ; implicit-def: $vgpr2
                                        ; implicit-def: $vgpr3
	s_cbranch_execz .LBB252_36
.LBB252_25:
	s_mov_b32 s1, exec_lo
	v_cmpx_gt_u32_e32 0x179, v0
	s_cbranch_execz .LBB252_27
; %bb.26:
	ds_load_b32 v2, v1 offset:1856
	ds_load_b32 v3, v1
	s_waitcnt lgkmcnt(0)
	v_add_f32_e32 v2, v2, v3
	ds_store_b32 v1, v2
.LBB252_27:
	s_or_b32 exec_lo, exec_lo, s1
	s_delay_alu instid0(SALU_CYCLE_1)
	s_mov_b32 s1, exec_lo
	s_waitcnt lgkmcnt(0)
	s_barrier
	buffer_gl0_inv
	v_cmpx_gt_u32_e32 0xe8, v0
	s_cbranch_execz .LBB252_29
; %bb.28:
	ds_load_2addr_b32 v[2:3], v1 offset1:232
	s_waitcnt lgkmcnt(0)
	v_add_f32_e32 v2, v3, v2
	ds_store_b32 v1, v2
.LBB252_29:
	s_or_b32 exec_lo, exec_lo, s1
	s_delay_alu instid0(SALU_CYCLE_1)
	s_mov_b32 s1, exec_lo
	s_waitcnt lgkmcnt(0)
	s_barrier
	buffer_gl0_inv
	v_cmpx_gt_u32_e32 0x74, v0
	s_cbranch_execz .LBB252_31
; %bb.30:
	ds_load_2addr_b32 v[2:3], v1 offset1:116
	s_waitcnt lgkmcnt(0)
	v_add_f32_e32 v2, v3, v2
	ds_store_b32 v1, v2
.LBB252_31:
	;; [unrolled: 14-line block ×3, first 2 shown]
	s_or_b32 exec_lo, exec_lo, s1
	s_delay_alu instid0(SALU_CYCLE_1)
	s_mov_b32 s1, exec_lo
	s_waitcnt lgkmcnt(0)
	buffer_gl0_inv
                                        ; implicit-def: $vgpr2
	v_cmpx_gt_u32_e32 29, v0
; %bb.34:
	v_add_nc_u32_e32 v2, 29, v0
	s_or_b32 s0, s0, exec_lo
                                        ; implicit-def: $vgpr6
; %bb.35:
	s_or_b32 exec_lo, exec_lo, s1
	v_mov_b32_e32 v3, v1
.LBB252_36:
	s_and_saveexec_b32 s1, s0
	s_cbranch_execz .LBB252_38
; %bb.37:
	v_lshlrev_b32_e32 v1, 2, v2
	ds_load_b32 v2, v3
	ds_load_b32 v1, v1
	s_waitcnt lgkmcnt(0)
	v_add_f32_e32 v6, v2, v1
.LBB252_38:
	s_or_b32 exec_lo, exec_lo, s1
	s_delay_alu instid0(SALU_CYCLE_1)
	s_mov_b32 s0, exec_lo
	v_cmpx_gt_u32_e32 29, v0
	s_cbranch_execz .LBB252_42
; %bb.39:
	v_cmp_eq_f32_e64 s0, s2, 0
	v_mul_f32_e32 v1, s10, v6
	s_delay_alu instid0(VALU_DEP_2)
	s_and_b32 vcc_lo, exec_lo, s0
	s_mov_b32 s0, 0
	s_cbranch_vccz .LBB252_43
; %bb.40:
	s_delay_alu instid0(VALU_DEP_1) | instskip(SKIP_1) | instid1(VALU_DEP_1)
	v_mad_u64_u32 v[2:3], null, s8, 29, v[0:1]
	v_mov_b32_e32 v3, 0
	v_lshlrev_b64 v[2:3], 2, v[2:3]
	s_delay_alu instid0(VALU_DEP_1) | instskip(NEXT) | instid1(VALU_DEP_2)
	v_add_co_u32 v2, vcc_lo, s12, v2
	v_add_co_ci_u32_e32 v3, vcc_lo, s13, v3, vcc_lo
	global_store_b32 v[2:3], v1, off
	s_and_not1_b32 vcc_lo, exec_lo, s0
	s_cbranch_vccnz .LBB252_42
.LBB252_41:
	v_mad_u64_u32 v[2:3], null, s8, 29, v[0:1]
	v_mov_b32_e32 v3, 0
	s_delay_alu instid0(VALU_DEP_1) | instskip(NEXT) | instid1(VALU_DEP_1)
	v_lshlrev_b64 v[2:3], 2, v[2:3]
	v_add_co_u32 v2, vcc_lo, s12, v2
	s_delay_alu instid0(VALU_DEP_2)
	v_add_co_ci_u32_e32 v3, vcc_lo, s13, v3, vcc_lo
	global_load_b32 v0, v[2:3], off
	s_waitcnt vmcnt(0)
	v_fmac_f32_e32 v1, s2, v0
	global_store_b32 v[2:3], v1, off
.LBB252_42:
	s_nop 0
	s_sendmsg sendmsg(MSG_DEALLOC_VGPRS)
	s_endpgm
.LBB252_43:
	s_branch .LBB252_41
	.section	.rodata,"a",@progbits
	.p2align	6, 0x0
	.amdhsa_kernel _ZN9rocsparseL20bsrxmvn_17_32_kernelILj29EfiiaafEEvT2_20rocsparse_direction_NS_24const_host_device_scalarIT0_EES1_PKS1_PKT1_SA_S7_PKT3_PKT4_S5_PT5_21rocsparse_index_base_b
		.amdhsa_group_segment_fixed_size 3364
		.amdhsa_private_segment_fixed_size 0
		.amdhsa_kernarg_size 96
		.amdhsa_user_sgpr_count 15
		.amdhsa_user_sgpr_dispatch_ptr 0
		.amdhsa_user_sgpr_queue_ptr 0
		.amdhsa_user_sgpr_kernarg_segment_ptr 1
		.amdhsa_user_sgpr_dispatch_id 0
		.amdhsa_user_sgpr_private_segment_size 0
		.amdhsa_wavefront_size32 1
		.amdhsa_uses_dynamic_stack 0
		.amdhsa_enable_private_segment 0
		.amdhsa_system_sgpr_workgroup_id_x 1
		.amdhsa_system_sgpr_workgroup_id_y 0
		.amdhsa_system_sgpr_workgroup_id_z 0
		.amdhsa_system_sgpr_workgroup_info 0
		.amdhsa_system_vgpr_workitem_id 0
		.amdhsa_next_free_vgpr 10
		.amdhsa_next_free_sgpr 18
		.amdhsa_reserve_vcc 1
		.amdhsa_float_round_mode_32 0
		.amdhsa_float_round_mode_16_64 0
		.amdhsa_float_denorm_mode_32 3
		.amdhsa_float_denorm_mode_16_64 3
		.amdhsa_dx10_clamp 1
		.amdhsa_ieee_mode 1
		.amdhsa_fp16_overflow 0
		.amdhsa_workgroup_processor_mode 1
		.amdhsa_memory_ordered 1
		.amdhsa_forward_progress 0
		.amdhsa_shared_vgpr_count 0
		.amdhsa_exception_fp_ieee_invalid_op 0
		.amdhsa_exception_fp_denorm_src 0
		.amdhsa_exception_fp_ieee_div_zero 0
		.amdhsa_exception_fp_ieee_overflow 0
		.amdhsa_exception_fp_ieee_underflow 0
		.amdhsa_exception_fp_ieee_inexact 0
		.amdhsa_exception_int_div_zero 0
	.end_amdhsa_kernel
	.section	.text._ZN9rocsparseL20bsrxmvn_17_32_kernelILj29EfiiaafEEvT2_20rocsparse_direction_NS_24const_host_device_scalarIT0_EES1_PKS1_PKT1_SA_S7_PKT3_PKT4_S5_PT5_21rocsparse_index_base_b,"axG",@progbits,_ZN9rocsparseL20bsrxmvn_17_32_kernelILj29EfiiaafEEvT2_20rocsparse_direction_NS_24const_host_device_scalarIT0_EES1_PKS1_PKT1_SA_S7_PKT3_PKT4_S5_PT5_21rocsparse_index_base_b,comdat
.Lfunc_end252:
	.size	_ZN9rocsparseL20bsrxmvn_17_32_kernelILj29EfiiaafEEvT2_20rocsparse_direction_NS_24const_host_device_scalarIT0_EES1_PKS1_PKT1_SA_S7_PKT3_PKT4_S5_PT5_21rocsparse_index_base_b, .Lfunc_end252-_ZN9rocsparseL20bsrxmvn_17_32_kernelILj29EfiiaafEEvT2_20rocsparse_direction_NS_24const_host_device_scalarIT0_EES1_PKS1_PKT1_SA_S7_PKT3_PKT4_S5_PT5_21rocsparse_index_base_b
                                        ; -- End function
	.section	.AMDGPU.csdata,"",@progbits
; Kernel info:
; codeLenInByte = 1524
; NumSgprs: 20
; NumVgprs: 10
; ScratchSize: 0
; MemoryBound: 0
; FloatMode: 240
; IeeeMode: 1
; LDSByteSize: 3364 bytes/workgroup (compile time only)
; SGPRBlocks: 2
; VGPRBlocks: 1
; NumSGPRsForWavesPerEU: 20
; NumVGPRsForWavesPerEU: 10
; Occupancy: 14
; WaveLimiterHint : 1
; COMPUTE_PGM_RSRC2:SCRATCH_EN: 0
; COMPUTE_PGM_RSRC2:USER_SGPR: 15
; COMPUTE_PGM_RSRC2:TRAP_HANDLER: 0
; COMPUTE_PGM_RSRC2:TGID_X_EN: 1
; COMPUTE_PGM_RSRC2:TGID_Y_EN: 0
; COMPUTE_PGM_RSRC2:TGID_Z_EN: 0
; COMPUTE_PGM_RSRC2:TIDIG_COMP_CNT: 0
	.section	.text._ZN9rocsparseL20bsrxmvn_17_32_kernelILj30EfiiaafEEvT2_20rocsparse_direction_NS_24const_host_device_scalarIT0_EES1_PKS1_PKT1_SA_S7_PKT3_PKT4_S5_PT5_21rocsparse_index_base_b,"axG",@progbits,_ZN9rocsparseL20bsrxmvn_17_32_kernelILj30EfiiaafEEvT2_20rocsparse_direction_NS_24const_host_device_scalarIT0_EES1_PKS1_PKT1_SA_S7_PKT3_PKT4_S5_PT5_21rocsparse_index_base_b,comdat
	.globl	_ZN9rocsparseL20bsrxmvn_17_32_kernelILj30EfiiaafEEvT2_20rocsparse_direction_NS_24const_host_device_scalarIT0_EES1_PKS1_PKT1_SA_S7_PKT3_PKT4_S5_PT5_21rocsparse_index_base_b ; -- Begin function _ZN9rocsparseL20bsrxmvn_17_32_kernelILj30EfiiaafEEvT2_20rocsparse_direction_NS_24const_host_device_scalarIT0_EES1_PKS1_PKT1_SA_S7_PKT3_PKT4_S5_PT5_21rocsparse_index_base_b
	.p2align	8
	.type	_ZN9rocsparseL20bsrxmvn_17_32_kernelILj30EfiiaafEEvT2_20rocsparse_direction_NS_24const_host_device_scalarIT0_EES1_PKS1_PKT1_SA_S7_PKT3_PKT4_S5_PT5_21rocsparse_index_base_b,@function
_ZN9rocsparseL20bsrxmvn_17_32_kernelILj30EfiiaafEEvT2_20rocsparse_direction_NS_24const_host_device_scalarIT0_EES1_PKS1_PKT1_SA_S7_PKT3_PKT4_S5_PT5_21rocsparse_index_base_b: ; @_ZN9rocsparseL20bsrxmvn_17_32_kernelILj30EfiiaafEEvT2_20rocsparse_direction_NS_24const_host_device_scalarIT0_EES1_PKS1_PKT1_SA_S7_PKT3_PKT4_S5_PT5_21rocsparse_index_base_b
; %bb.0:
	s_mov_b32 s8, s15
	s_clause 0x2
	s_load_b64 s[14:15], s[0:1], 0x58
	s_load_b64 s[10:11], s[0:1], 0x8
	;; [unrolled: 1-line block ×3, first 2 shown]
	s_waitcnt lgkmcnt(0)
	s_bitcmp1_b32 s15, 0
	s_cselect_b32 s4, -1, 0
	s_delay_alu instid0(SALU_CYCLE_1)
	s_and_b32 vcc_lo, exec_lo, s4
	s_xor_b32 s4, s4, -1
	s_cbranch_vccnz .LBB253_2
; %bb.1:
	s_load_b32 s10, s[10:11], 0x0
.LBB253_2:
	s_and_not1_b32 vcc_lo, exec_lo, s4
	s_cbranch_vccnz .LBB253_4
; %bb.3:
	s_load_b32 s2, s[2:3], 0x0
.LBB253_4:
	s_waitcnt lgkmcnt(0)
	v_cmp_neq_f32_e64 s3, s10, 0
	v_cmp_neq_f32_e64 s4, s2, 1.0
	s_delay_alu instid0(VALU_DEP_1) | instskip(NEXT) | instid1(SALU_CYCLE_1)
	s_or_b32 s3, s3, s4
	s_and_not1_b32 vcc_lo, exec_lo, s3
	s_cbranch_vccnz .LBB253_42
; %bb.5:
	s_clause 0x1
	s_load_b128 s[4:7], s[0:1], 0x18
	s_load_b64 s[12:13], s[0:1], 0x28
	s_waitcnt lgkmcnt(0)
	s_cmp_eq_u64 s[4:5], 0
	s_cbranch_scc1 .LBB253_7
; %bb.6:
	s_ashr_i32 s9, s8, 31
	s_delay_alu instid0(SALU_CYCLE_1) | instskip(NEXT) | instid1(SALU_CYCLE_1)
	s_lshl_b64 s[8:9], s[8:9], 2
	s_add_u32 s4, s4, s8
	s_addc_u32 s5, s5, s9
	s_load_b32 s3, s[4:5], 0x0
	s_waitcnt lgkmcnt(0)
	s_sub_i32 s8, s3, s14
.LBB253_7:
	s_load_b32 s3, s[0:1], 0x4
	v_mul_u32_u24_e32 v1, 0x889, v0
	v_mov_b32_e32 v6, 0
	s_delay_alu instid0(VALU_DEP_2) | instskip(NEXT) | instid1(VALU_DEP_1)
	v_lshrrev_b32_e32 v1, 16, v1
	v_mul_lo_u16 v2, v1, 30
	s_delay_alu instid0(VALU_DEP_1)
	v_sub_nc_u16 v7, v0, v2
	s_waitcnt lgkmcnt(0)
	s_cmp_eq_u32 s3, 1
	s_cselect_b32 vcc_lo, -1, 0
	s_cmp_lg_u32 s3, 1
	s_cselect_b32 s3, -1, 0
	s_ashr_i32 s9, s8, 31
	s_delay_alu instid0(SALU_CYCLE_1) | instskip(NEXT) | instid1(SALU_CYCLE_1)
	s_lshl_b64 s[4:5], s[8:9], 2
	s_add_u32 s6, s6, s4
	s_addc_u32 s7, s7, s5
	s_add_u32 s9, s6, 4
	s_addc_u32 s11, s7, 0
	;; [unrolled: 2-line block ×3, first 2 shown]
	s_cmp_eq_u64 s[12:13], 0
	s_load_b64 s[12:13], s[0:1], 0x50
	s_cselect_b32 s5, s11, s5
	s_cselect_b32 s4, s9, s4
	s_load_b32 s9, s[6:7], 0x0
	s_load_b32 s11, s[4:5], 0x0
	s_waitcnt lgkmcnt(0)
	s_cmp_ge_i32 s9, s11
	s_cbranch_scc1 .LBB253_12
; %bb.8:
	s_clause 0x1
	s_load_b128 s[4:7], s[0:1], 0x30
	s_load_b64 s[16:17], s[0:1], 0x40
	v_dual_mov_b32 v6, 0 :: v_dual_and_b32 v1, 0xffff, v1
	v_cmp_gt_u32_e64 s0, 0x384, v0
	v_and_b32_e32 v3, 0xffff, v7
	s_sub_i32 s1, s11, s14
	s_delay_alu instid0(VALU_DEP_3) | instskip(NEXT) | instid1(VALU_DEP_1)
	v_subrev_nc_u32_e32 v2, 30, v1
	v_cndmask_b32_e64 v1, v2, v1, s0
	s_sub_i32 s0, s9, s14
	s_delay_alu instid0(SALU_CYCLE_1) | instskip(SKIP_1) | instid1(VALU_DEP_1)
	s_mul_i32 s11, s0, 0x384
	s_mul_hi_i32 s9, s0, 0x384
	v_cndmask_b32_e32 v1, v3, v1, vcc_lo
	v_cmp_lt_u32_e32 vcc_lo, 0x383, v0
	s_waitcnt lgkmcnt(0)
	s_add_u32 s6, s6, s11
	s_addc_u32 s7, s7, s9
	v_add_co_u32 v2, s6, s6, v0
	s_delay_alu instid0(VALU_DEP_1)
	v_add_co_ci_u32_e64 v3, null, s7, 0, s6
	v_cndmask_b32_e64 v8, 0, 1, vcc_lo
	s_set_inst_prefetch_distance 0x1
	s_branch .LBB253_10
	.p2align	6
.LBB253_9:                              ;   in Loop: Header=BB253_10 Depth=1
	s_or_b32 exec_lo, exec_lo, s6
	s_add_i32 s0, s0, 1
	s_delay_alu instid0(SALU_CYCLE_1)
	s_cmp_lt_i32 s0, s1
	s_cbranch_scc0 .LBB253_12
.LBB253_10:                             ; =>This Inner Loop Header: Depth=1
	s_delay_alu instid0(VALU_DEP_1) | instskip(SKIP_1) | instid1(VALU_DEP_1)
	v_add_nc_u32_e32 v4, s0, v8
	s_mov_b32 s6, exec_lo
	v_cmpx_gt_i32_e64 s1, v4
	s_cbranch_execz .LBB253_9
; %bb.11:                               ;   in Loop: Header=BB253_10 Depth=1
	v_ashrrev_i32_e32 v5, 31, v4
	s_delay_alu instid0(VALU_DEP_1) | instskip(NEXT) | instid1(VALU_DEP_1)
	v_lshlrev_b64 v[4:5], 2, v[4:5]
	v_add_co_u32 v4, vcc_lo, s4, v4
	s_delay_alu instid0(VALU_DEP_2) | instskip(SKIP_3) | instid1(VALU_DEP_1)
	v_add_co_ci_u32_e32 v5, vcc_lo, s5, v5, vcc_lo
	global_load_b32 v4, v[4:5], off
	s_waitcnt vmcnt(0)
	v_subrev_nc_u32_e32 v9, s14, v4
	v_mad_u64_u32 v[4:5], null, v9, 30, v[1:2]
	s_delay_alu instid0(VALU_DEP_1) | instskip(SKIP_1) | instid1(VALU_DEP_2)
	v_ashrrev_i32_e32 v5, 31, v4
	v_add_co_u32 v4, vcc_lo, s16, v4
	v_add_co_ci_u32_e32 v5, vcc_lo, s17, v5, vcc_lo
	global_load_i8 v9, v[2:3], off
	global_load_i8 v4, v[4:5], off
	v_add_co_u32 v2, vcc_lo, 0x384, v2
	v_add_co_ci_u32_e32 v3, vcc_lo, 0, v3, vcc_lo
	s_waitcnt vmcnt(1)
	v_cvt_f32_i32_e32 v5, v9
	s_waitcnt vmcnt(0)
	v_cvt_f32_i32_e32 v4, v4
	s_delay_alu instid0(VALU_DEP_1)
	v_fmac_f32_e32 v6, v5, v4
	s_branch .LBB253_9
.LBB253_12:
	s_set_inst_prefetch_distance 0x2
	v_lshlrev_b32_e32 v1, 2, v0
	s_and_b32 vcc_lo, exec_lo, s3
	ds_store_b32 v1, v6
	s_waitcnt lgkmcnt(0)
	s_barrier
	buffer_gl0_inv
	s_cbranch_vccz .LBB253_24
; %bb.13:
	s_mov_b32 s0, exec_lo
	v_cmpx_gt_u16_e32 14, v7
	s_cbranch_execz .LBB253_15
; %bb.14:
	ds_load_2addr_b32 v[2:3], v1 offset1:16
	s_waitcnt lgkmcnt(0)
	v_add_f32_e32 v2, v3, v2
	ds_store_b32 v1, v2
.LBB253_15:
	s_or_b32 exec_lo, exec_lo, s0
	s_delay_alu instid0(SALU_CYCLE_1)
	s_mov_b32 s0, exec_lo
	s_waitcnt lgkmcnt(0)
	s_barrier
	buffer_gl0_inv
	v_cmpx_gt_u16_e32 8, v7
	s_cbranch_execz .LBB253_17
; %bb.16:
	ds_load_2addr_b32 v[2:3], v1 offset1:8
	s_waitcnt lgkmcnt(0)
	v_add_f32_e32 v2, v3, v2
	ds_store_b32 v1, v2
.LBB253_17:
	s_or_b32 exec_lo, exec_lo, s0
	s_delay_alu instid0(SALU_CYCLE_1)
	s_mov_b32 s0, exec_lo
	s_waitcnt lgkmcnt(0)
	s_barrier
	buffer_gl0_inv
	;; [unrolled: 14-line block ×3, first 2 shown]
	v_cmpx_gt_u16_e32 2, v7
	s_cbranch_execz .LBB253_21
; %bb.20:
	ds_load_2addr_b32 v[2:3], v1 offset1:2
	s_waitcnt lgkmcnt(0)
	v_add_f32_e32 v2, v3, v2
	ds_store_b32 v1, v2
.LBB253_21:
	s_or_b32 exec_lo, exec_lo, s0
	s_mov_b32 s1, 0
	s_mov_b32 s0, 0
	s_mov_b32 s3, exec_lo
	s_waitcnt lgkmcnt(0)
	s_barrier
	buffer_gl0_inv
                                        ; implicit-def: $vgpr2
                                        ; implicit-def: $vgpr3
	v_cmpx_gt_u32_e32 30, v0
	s_xor_b32 s3, exec_lo, s3
; %bb.22:
	v_mul_u32_u24_e32 v2, 30, v0
	v_mad_u32_u24 v3, 0x74, v0, v1
	s_mov_b32 s0, exec_lo
	s_delay_alu instid0(VALU_DEP_2)
	v_or_b32_e32 v2, 1, v2
; %bb.23:
	s_or_b32 exec_lo, exec_lo, s3
	s_delay_alu instid0(SALU_CYCLE_1)
	s_and_b32 vcc_lo, exec_lo, s1
	s_cbranch_vccnz .LBB253_25
	s_branch .LBB253_36
.LBB253_24:
	s_mov_b32 s0, 0
                                        ; implicit-def: $vgpr2
                                        ; implicit-def: $vgpr3
	s_cbranch_execz .LBB253_36
.LBB253_25:
	s_mov_b32 s1, exec_lo
	v_cmpx_gt_u32_e32 0x1a4, v0
	s_cbranch_execz .LBB253_27
; %bb.26:
	ds_load_b32 v2, v1 offset:1920
	ds_load_b32 v3, v1
	s_waitcnt lgkmcnt(0)
	v_add_f32_e32 v2, v2, v3
	ds_store_b32 v1, v2
.LBB253_27:
	s_or_b32 exec_lo, exec_lo, s1
	s_delay_alu instid0(SALU_CYCLE_1)
	s_mov_b32 s1, exec_lo
	s_waitcnt lgkmcnt(0)
	s_barrier
	buffer_gl0_inv
	v_cmpx_gt_u32_e32 0xf0, v0
	s_cbranch_execz .LBB253_29
; %bb.28:
	ds_load_2addr_b32 v[2:3], v1 offset1:240
	s_waitcnt lgkmcnt(0)
	v_add_f32_e32 v2, v3, v2
	ds_store_b32 v1, v2
.LBB253_29:
	s_or_b32 exec_lo, exec_lo, s1
	s_delay_alu instid0(SALU_CYCLE_1)
	s_mov_b32 s1, exec_lo
	s_waitcnt lgkmcnt(0)
	s_barrier
	buffer_gl0_inv
	v_cmpx_gt_u32_e32 0x78, v0
	s_cbranch_execz .LBB253_31
; %bb.30:
	ds_load_2addr_b32 v[2:3], v1 offset1:120
	s_waitcnt lgkmcnt(0)
	v_add_f32_e32 v2, v3, v2
	ds_store_b32 v1, v2
.LBB253_31:
	;; [unrolled: 14-line block ×3, first 2 shown]
	s_or_b32 exec_lo, exec_lo, s1
	s_delay_alu instid0(SALU_CYCLE_1)
	s_mov_b32 s1, exec_lo
	s_waitcnt lgkmcnt(0)
	buffer_gl0_inv
                                        ; implicit-def: $vgpr2
	v_cmpx_gt_u32_e32 30, v0
; %bb.34:
	v_add_nc_u32_e32 v2, 30, v0
	s_or_b32 s0, s0, exec_lo
                                        ; implicit-def: $vgpr6
; %bb.35:
	s_or_b32 exec_lo, exec_lo, s1
	v_mov_b32_e32 v3, v1
.LBB253_36:
	s_and_saveexec_b32 s1, s0
	s_cbranch_execz .LBB253_38
; %bb.37:
	v_lshlrev_b32_e32 v1, 2, v2
	ds_load_b32 v2, v3
	ds_load_b32 v1, v1
	s_waitcnt lgkmcnt(0)
	v_add_f32_e32 v6, v2, v1
.LBB253_38:
	s_or_b32 exec_lo, exec_lo, s1
	s_delay_alu instid0(SALU_CYCLE_1)
	s_mov_b32 s0, exec_lo
	v_cmpx_gt_u32_e32 30, v0
	s_cbranch_execz .LBB253_42
; %bb.39:
	v_cmp_eq_f32_e64 s0, s2, 0
	v_mul_f32_e32 v1, s10, v6
	s_delay_alu instid0(VALU_DEP_2)
	s_and_b32 vcc_lo, exec_lo, s0
	s_mov_b32 s0, 0
	s_cbranch_vccz .LBB253_43
; %bb.40:
	s_delay_alu instid0(VALU_DEP_1) | instskip(SKIP_1) | instid1(VALU_DEP_1)
	v_mad_u64_u32 v[2:3], null, s8, 30, v[0:1]
	v_mov_b32_e32 v3, 0
	v_lshlrev_b64 v[2:3], 2, v[2:3]
	s_delay_alu instid0(VALU_DEP_1) | instskip(NEXT) | instid1(VALU_DEP_2)
	v_add_co_u32 v2, vcc_lo, s12, v2
	v_add_co_ci_u32_e32 v3, vcc_lo, s13, v3, vcc_lo
	global_store_b32 v[2:3], v1, off
	s_and_not1_b32 vcc_lo, exec_lo, s0
	s_cbranch_vccnz .LBB253_42
.LBB253_41:
	v_mad_u64_u32 v[2:3], null, s8, 30, v[0:1]
	v_mov_b32_e32 v3, 0
	s_delay_alu instid0(VALU_DEP_1) | instskip(NEXT) | instid1(VALU_DEP_1)
	v_lshlrev_b64 v[2:3], 2, v[2:3]
	v_add_co_u32 v2, vcc_lo, s12, v2
	s_delay_alu instid0(VALU_DEP_2)
	v_add_co_ci_u32_e32 v3, vcc_lo, s13, v3, vcc_lo
	global_load_b32 v0, v[2:3], off
	s_waitcnt vmcnt(0)
	v_fmac_f32_e32 v1, s2, v0
	global_store_b32 v[2:3], v1, off
.LBB253_42:
	s_nop 0
	s_sendmsg sendmsg(MSG_DEALLOC_VGPRS)
	s_endpgm
.LBB253_43:
	s_branch .LBB253_41
	.section	.rodata,"a",@progbits
	.p2align	6, 0x0
	.amdhsa_kernel _ZN9rocsparseL20bsrxmvn_17_32_kernelILj30EfiiaafEEvT2_20rocsparse_direction_NS_24const_host_device_scalarIT0_EES1_PKS1_PKT1_SA_S7_PKT3_PKT4_S5_PT5_21rocsparse_index_base_b
		.amdhsa_group_segment_fixed_size 3600
		.amdhsa_private_segment_fixed_size 0
		.amdhsa_kernarg_size 96
		.amdhsa_user_sgpr_count 15
		.amdhsa_user_sgpr_dispatch_ptr 0
		.amdhsa_user_sgpr_queue_ptr 0
		.amdhsa_user_sgpr_kernarg_segment_ptr 1
		.amdhsa_user_sgpr_dispatch_id 0
		.amdhsa_user_sgpr_private_segment_size 0
		.amdhsa_wavefront_size32 1
		.amdhsa_uses_dynamic_stack 0
		.amdhsa_enable_private_segment 0
		.amdhsa_system_sgpr_workgroup_id_x 1
		.amdhsa_system_sgpr_workgroup_id_y 0
		.amdhsa_system_sgpr_workgroup_id_z 0
		.amdhsa_system_sgpr_workgroup_info 0
		.amdhsa_system_vgpr_workitem_id 0
		.amdhsa_next_free_vgpr 10
		.amdhsa_next_free_sgpr 18
		.amdhsa_reserve_vcc 1
		.amdhsa_float_round_mode_32 0
		.amdhsa_float_round_mode_16_64 0
		.amdhsa_float_denorm_mode_32 3
		.amdhsa_float_denorm_mode_16_64 3
		.amdhsa_dx10_clamp 1
		.amdhsa_ieee_mode 1
		.amdhsa_fp16_overflow 0
		.amdhsa_workgroup_processor_mode 1
		.amdhsa_memory_ordered 1
		.amdhsa_forward_progress 0
		.amdhsa_shared_vgpr_count 0
		.amdhsa_exception_fp_ieee_invalid_op 0
		.amdhsa_exception_fp_denorm_src 0
		.amdhsa_exception_fp_ieee_div_zero 0
		.amdhsa_exception_fp_ieee_overflow 0
		.amdhsa_exception_fp_ieee_underflow 0
		.amdhsa_exception_fp_ieee_inexact 0
		.amdhsa_exception_int_div_zero 0
	.end_amdhsa_kernel
	.section	.text._ZN9rocsparseL20bsrxmvn_17_32_kernelILj30EfiiaafEEvT2_20rocsparse_direction_NS_24const_host_device_scalarIT0_EES1_PKS1_PKT1_SA_S7_PKT3_PKT4_S5_PT5_21rocsparse_index_base_b,"axG",@progbits,_ZN9rocsparseL20bsrxmvn_17_32_kernelILj30EfiiaafEEvT2_20rocsparse_direction_NS_24const_host_device_scalarIT0_EES1_PKS1_PKT1_SA_S7_PKT3_PKT4_S5_PT5_21rocsparse_index_base_b,comdat
.Lfunc_end253:
	.size	_ZN9rocsparseL20bsrxmvn_17_32_kernelILj30EfiiaafEEvT2_20rocsparse_direction_NS_24const_host_device_scalarIT0_EES1_PKS1_PKT1_SA_S7_PKT3_PKT4_S5_PT5_21rocsparse_index_base_b, .Lfunc_end253-_ZN9rocsparseL20bsrxmvn_17_32_kernelILj30EfiiaafEEvT2_20rocsparse_direction_NS_24const_host_device_scalarIT0_EES1_PKS1_PKT1_SA_S7_PKT3_PKT4_S5_PT5_21rocsparse_index_base_b
                                        ; -- End function
	.section	.AMDGPU.csdata,"",@progbits
; Kernel info:
; codeLenInByte = 1528
; NumSgprs: 20
; NumVgprs: 10
; ScratchSize: 0
; MemoryBound: 0
; FloatMode: 240
; IeeeMode: 1
; LDSByteSize: 3600 bytes/workgroup (compile time only)
; SGPRBlocks: 2
; VGPRBlocks: 1
; NumSGPRsForWavesPerEU: 20
; NumVGPRsForWavesPerEU: 10
; Occupancy: 15
; WaveLimiterHint : 1
; COMPUTE_PGM_RSRC2:SCRATCH_EN: 0
; COMPUTE_PGM_RSRC2:USER_SGPR: 15
; COMPUTE_PGM_RSRC2:TRAP_HANDLER: 0
; COMPUTE_PGM_RSRC2:TGID_X_EN: 1
; COMPUTE_PGM_RSRC2:TGID_Y_EN: 0
; COMPUTE_PGM_RSRC2:TGID_Z_EN: 0
; COMPUTE_PGM_RSRC2:TIDIG_COMP_CNT: 0
	.section	.text._ZN9rocsparseL20bsrxmvn_17_32_kernelILj31EfiiaafEEvT2_20rocsparse_direction_NS_24const_host_device_scalarIT0_EES1_PKS1_PKT1_SA_S7_PKT3_PKT4_S5_PT5_21rocsparse_index_base_b,"axG",@progbits,_ZN9rocsparseL20bsrxmvn_17_32_kernelILj31EfiiaafEEvT2_20rocsparse_direction_NS_24const_host_device_scalarIT0_EES1_PKS1_PKT1_SA_S7_PKT3_PKT4_S5_PT5_21rocsparse_index_base_b,comdat
	.globl	_ZN9rocsparseL20bsrxmvn_17_32_kernelILj31EfiiaafEEvT2_20rocsparse_direction_NS_24const_host_device_scalarIT0_EES1_PKS1_PKT1_SA_S7_PKT3_PKT4_S5_PT5_21rocsparse_index_base_b ; -- Begin function _ZN9rocsparseL20bsrxmvn_17_32_kernelILj31EfiiaafEEvT2_20rocsparse_direction_NS_24const_host_device_scalarIT0_EES1_PKS1_PKT1_SA_S7_PKT3_PKT4_S5_PT5_21rocsparse_index_base_b
	.p2align	8
	.type	_ZN9rocsparseL20bsrxmvn_17_32_kernelILj31EfiiaafEEvT2_20rocsparse_direction_NS_24const_host_device_scalarIT0_EES1_PKS1_PKT1_SA_S7_PKT3_PKT4_S5_PT5_21rocsparse_index_base_b,@function
_ZN9rocsparseL20bsrxmvn_17_32_kernelILj31EfiiaafEEvT2_20rocsparse_direction_NS_24const_host_device_scalarIT0_EES1_PKS1_PKT1_SA_S7_PKT3_PKT4_S5_PT5_21rocsparse_index_base_b: ; @_ZN9rocsparseL20bsrxmvn_17_32_kernelILj31EfiiaafEEvT2_20rocsparse_direction_NS_24const_host_device_scalarIT0_EES1_PKS1_PKT1_SA_S7_PKT3_PKT4_S5_PT5_21rocsparse_index_base_b
; %bb.0:
	s_mov_b32 s8, s15
	s_clause 0x2
	s_load_b64 s[14:15], s[0:1], 0x58
	s_load_b64 s[10:11], s[0:1], 0x8
	;; [unrolled: 1-line block ×3, first 2 shown]
	s_waitcnt lgkmcnt(0)
	s_bitcmp1_b32 s15, 0
	s_cselect_b32 s4, -1, 0
	s_delay_alu instid0(SALU_CYCLE_1)
	s_and_b32 vcc_lo, exec_lo, s4
	s_xor_b32 s4, s4, -1
	s_cbranch_vccnz .LBB254_2
; %bb.1:
	s_load_b32 s10, s[10:11], 0x0
.LBB254_2:
	s_and_not1_b32 vcc_lo, exec_lo, s4
	s_cbranch_vccnz .LBB254_4
; %bb.3:
	s_load_b32 s2, s[2:3], 0x0
.LBB254_4:
	s_waitcnt lgkmcnt(0)
	v_cmp_neq_f32_e64 s3, s10, 0
	v_cmp_neq_f32_e64 s4, s2, 1.0
	s_delay_alu instid0(VALU_DEP_1) | instskip(NEXT) | instid1(SALU_CYCLE_1)
	s_or_b32 s3, s3, s4
	s_and_not1_b32 vcc_lo, exec_lo, s3
	s_cbranch_vccnz .LBB254_42
; %bb.5:
	s_clause 0x1
	s_load_b128 s[4:7], s[0:1], 0x18
	s_load_b64 s[12:13], s[0:1], 0x28
	s_waitcnt lgkmcnt(0)
	s_cmp_eq_u64 s[4:5], 0
	s_cbranch_scc1 .LBB254_7
; %bb.6:
	s_ashr_i32 s9, s8, 31
	s_delay_alu instid0(SALU_CYCLE_1) | instskip(NEXT) | instid1(SALU_CYCLE_1)
	s_lshl_b64 s[8:9], s[8:9], 2
	s_add_u32 s4, s4, s8
	s_addc_u32 s5, s5, s9
	s_load_b32 s3, s[4:5], 0x0
	s_waitcnt lgkmcnt(0)
	s_sub_i32 s8, s3, s14
.LBB254_7:
	s_load_b32 s3, s[0:1], 0x4
	v_mul_u32_u24_e32 v1, 0x843, v0
	v_mov_b32_e32 v6, 0
	s_delay_alu instid0(VALU_DEP_2) | instskip(NEXT) | instid1(VALU_DEP_1)
	v_lshrrev_b32_e32 v1, 16, v1
	v_mul_lo_u16 v2, v1, 31
	s_delay_alu instid0(VALU_DEP_1)
	v_sub_nc_u16 v7, v0, v2
	s_waitcnt lgkmcnt(0)
	s_cmp_eq_u32 s3, 1
	s_cselect_b32 vcc_lo, -1, 0
	s_cmp_lg_u32 s3, 1
	s_cselect_b32 s3, -1, 0
	s_ashr_i32 s9, s8, 31
	s_delay_alu instid0(SALU_CYCLE_1) | instskip(NEXT) | instid1(SALU_CYCLE_1)
	s_lshl_b64 s[4:5], s[8:9], 2
	s_add_u32 s6, s6, s4
	s_addc_u32 s7, s7, s5
	s_add_u32 s9, s6, 4
	s_addc_u32 s11, s7, 0
	;; [unrolled: 2-line block ×3, first 2 shown]
	s_cmp_eq_u64 s[12:13], 0
	s_load_b64 s[12:13], s[0:1], 0x50
	s_cselect_b32 s5, s11, s5
	s_cselect_b32 s4, s9, s4
	s_load_b32 s9, s[6:7], 0x0
	s_load_b32 s11, s[4:5], 0x0
	s_waitcnt lgkmcnt(0)
	s_cmp_ge_i32 s9, s11
	s_cbranch_scc1 .LBB254_12
; %bb.8:
	s_clause 0x1
	s_load_b128 s[4:7], s[0:1], 0x30
	s_load_b64 s[16:17], s[0:1], 0x40
	v_dual_mov_b32 v6, 0 :: v_dual_and_b32 v1, 0xffff, v1
	v_cmp_gt_u32_e64 s0, 0x3c1, v0
	v_and_b32_e32 v3, 0xffff, v7
	s_sub_i32 s1, s11, s14
	s_delay_alu instid0(VALU_DEP_3) | instskip(NEXT) | instid1(VALU_DEP_1)
	v_subrev_nc_u32_e32 v2, 31, v1
	v_cndmask_b32_e64 v1, v2, v1, s0
	s_sub_i32 s0, s9, s14
	s_delay_alu instid0(SALU_CYCLE_1) | instskip(SKIP_1) | instid1(VALU_DEP_1)
	s_mul_i32 s11, s0, 0x3c1
	s_mul_hi_i32 s9, s0, 0x3c1
	v_cndmask_b32_e32 v1, v3, v1, vcc_lo
	v_cmp_lt_u32_e32 vcc_lo, 0x3c0, v0
	s_waitcnt lgkmcnt(0)
	s_add_u32 s6, s6, s11
	s_addc_u32 s7, s7, s9
	v_add_co_u32 v2, s6, s6, v0
	s_delay_alu instid0(VALU_DEP_1)
	v_add_co_ci_u32_e64 v3, null, s7, 0, s6
	v_cndmask_b32_e64 v8, 0, 1, vcc_lo
	s_set_inst_prefetch_distance 0x1
	s_branch .LBB254_10
	.p2align	6
.LBB254_9:                              ;   in Loop: Header=BB254_10 Depth=1
	s_or_b32 exec_lo, exec_lo, s6
	s_add_i32 s0, s0, 1
	s_delay_alu instid0(SALU_CYCLE_1)
	s_cmp_lt_i32 s0, s1
	s_cbranch_scc0 .LBB254_12
.LBB254_10:                             ; =>This Inner Loop Header: Depth=1
	s_delay_alu instid0(VALU_DEP_1) | instskip(SKIP_1) | instid1(VALU_DEP_1)
	v_add_nc_u32_e32 v4, s0, v8
	s_mov_b32 s6, exec_lo
	v_cmpx_gt_i32_e64 s1, v4
	s_cbranch_execz .LBB254_9
; %bb.11:                               ;   in Loop: Header=BB254_10 Depth=1
	v_ashrrev_i32_e32 v5, 31, v4
	s_delay_alu instid0(VALU_DEP_1) | instskip(NEXT) | instid1(VALU_DEP_1)
	v_lshlrev_b64 v[4:5], 2, v[4:5]
	v_add_co_u32 v4, vcc_lo, s4, v4
	s_delay_alu instid0(VALU_DEP_2) | instskip(SKIP_3) | instid1(VALU_DEP_1)
	v_add_co_ci_u32_e32 v5, vcc_lo, s5, v5, vcc_lo
	global_load_b32 v4, v[4:5], off
	s_waitcnt vmcnt(0)
	v_subrev_nc_u32_e32 v9, s14, v4
	v_mad_u64_u32 v[4:5], null, v9, 31, v[1:2]
	s_delay_alu instid0(VALU_DEP_1) | instskip(SKIP_1) | instid1(VALU_DEP_2)
	v_ashrrev_i32_e32 v5, 31, v4
	v_add_co_u32 v4, vcc_lo, s16, v4
	v_add_co_ci_u32_e32 v5, vcc_lo, s17, v5, vcc_lo
	global_load_i8 v9, v[2:3], off
	global_load_i8 v4, v[4:5], off
	v_add_co_u32 v2, vcc_lo, 0x3c1, v2
	v_add_co_ci_u32_e32 v3, vcc_lo, 0, v3, vcc_lo
	s_waitcnt vmcnt(1)
	v_cvt_f32_i32_e32 v5, v9
	s_waitcnt vmcnt(0)
	v_cvt_f32_i32_e32 v4, v4
	s_delay_alu instid0(VALU_DEP_1)
	v_fmac_f32_e32 v6, v5, v4
	s_branch .LBB254_9
.LBB254_12:
	s_set_inst_prefetch_distance 0x2
	v_lshlrev_b32_e32 v1, 2, v0
	s_and_b32 vcc_lo, exec_lo, s3
	ds_store_b32 v1, v6
	s_waitcnt lgkmcnt(0)
	s_barrier
	buffer_gl0_inv
	s_cbranch_vccz .LBB254_24
; %bb.13:
	s_mov_b32 s0, exec_lo
	v_cmpx_gt_u16_e32 15, v7
	s_cbranch_execz .LBB254_15
; %bb.14:
	ds_load_2addr_b32 v[2:3], v1 offset1:16
	s_waitcnt lgkmcnt(0)
	v_add_f32_e32 v2, v3, v2
	ds_store_b32 v1, v2
.LBB254_15:
	s_or_b32 exec_lo, exec_lo, s0
	s_delay_alu instid0(SALU_CYCLE_1)
	s_mov_b32 s0, exec_lo
	s_waitcnt lgkmcnt(0)
	s_barrier
	buffer_gl0_inv
	v_cmpx_gt_u16_e32 8, v7
	s_cbranch_execz .LBB254_17
; %bb.16:
	ds_load_2addr_b32 v[2:3], v1 offset1:8
	s_waitcnt lgkmcnt(0)
	v_add_f32_e32 v2, v3, v2
	ds_store_b32 v1, v2
.LBB254_17:
	s_or_b32 exec_lo, exec_lo, s0
	s_delay_alu instid0(SALU_CYCLE_1)
	s_mov_b32 s0, exec_lo
	s_waitcnt lgkmcnt(0)
	s_barrier
	buffer_gl0_inv
	;; [unrolled: 14-line block ×3, first 2 shown]
	v_cmpx_gt_u16_e32 2, v7
	s_cbranch_execz .LBB254_21
; %bb.20:
	ds_load_2addr_b32 v[2:3], v1 offset1:2
	s_waitcnt lgkmcnt(0)
	v_add_f32_e32 v2, v3, v2
	ds_store_b32 v1, v2
.LBB254_21:
	s_or_b32 exec_lo, exec_lo, s0
	s_mov_b32 s1, 0
	s_mov_b32 s0, 0
	s_mov_b32 s3, exec_lo
	s_waitcnt lgkmcnt(0)
	s_barrier
	buffer_gl0_inv
                                        ; implicit-def: $vgpr2
                                        ; implicit-def: $vgpr3
	v_cmpx_gt_u32_e32 31, v0
	s_xor_b32 s3, exec_lo, s3
; %bb.22:
	v_mad_u32_u24 v2, v0, 31, 1
	v_mad_u32_u24 v3, 0x78, v0, v1
	s_mov_b32 s0, exec_lo
; %bb.23:
	s_or_b32 exec_lo, exec_lo, s3
	s_delay_alu instid0(SALU_CYCLE_1)
	s_and_b32 vcc_lo, exec_lo, s1
	s_cbranch_vccnz .LBB254_25
	s_branch .LBB254_36
.LBB254_24:
	s_mov_b32 s0, 0
                                        ; implicit-def: $vgpr2
                                        ; implicit-def: $vgpr3
	s_cbranch_execz .LBB254_36
.LBB254_25:
	s_mov_b32 s1, exec_lo
	v_cmpx_gt_u32_e32 0x1d1, v0
	s_cbranch_execz .LBB254_27
; %bb.26:
	ds_load_b32 v2, v1 offset:1984
	ds_load_b32 v3, v1
	s_waitcnt lgkmcnt(0)
	v_add_f32_e32 v2, v2, v3
	ds_store_b32 v1, v2
.LBB254_27:
	s_or_b32 exec_lo, exec_lo, s1
	s_delay_alu instid0(SALU_CYCLE_1)
	s_mov_b32 s1, exec_lo
	s_waitcnt lgkmcnt(0)
	s_barrier
	buffer_gl0_inv
	v_cmpx_gt_u32_e32 0xf8, v0
	s_cbranch_execz .LBB254_29
; %bb.28:
	ds_load_2addr_b32 v[2:3], v1 offset1:248
	s_waitcnt lgkmcnt(0)
	v_add_f32_e32 v2, v3, v2
	ds_store_b32 v1, v2
.LBB254_29:
	s_or_b32 exec_lo, exec_lo, s1
	s_delay_alu instid0(SALU_CYCLE_1)
	s_mov_b32 s1, exec_lo
	s_waitcnt lgkmcnt(0)
	s_barrier
	buffer_gl0_inv
	v_cmpx_gt_u32_e32 0x7c, v0
	s_cbranch_execz .LBB254_31
; %bb.30:
	ds_load_2addr_b32 v[2:3], v1 offset1:124
	s_waitcnt lgkmcnt(0)
	v_add_f32_e32 v2, v3, v2
	ds_store_b32 v1, v2
.LBB254_31:
	;; [unrolled: 14-line block ×3, first 2 shown]
	s_or_b32 exec_lo, exec_lo, s1
	s_delay_alu instid0(SALU_CYCLE_1)
	s_mov_b32 s1, exec_lo
	s_waitcnt lgkmcnt(0)
	buffer_gl0_inv
                                        ; implicit-def: $vgpr2
	v_cmpx_gt_u32_e32 31, v0
; %bb.34:
	v_add_nc_u32_e32 v2, 31, v0
	s_or_b32 s0, s0, exec_lo
                                        ; implicit-def: $vgpr6
; %bb.35:
	s_or_b32 exec_lo, exec_lo, s1
	v_mov_b32_e32 v3, v1
.LBB254_36:
	s_and_saveexec_b32 s1, s0
	s_cbranch_execz .LBB254_38
; %bb.37:
	v_lshlrev_b32_e32 v1, 2, v2
	ds_load_b32 v2, v3
	ds_load_b32 v1, v1
	s_waitcnt lgkmcnt(0)
	v_add_f32_e32 v6, v2, v1
.LBB254_38:
	s_or_b32 exec_lo, exec_lo, s1
	s_delay_alu instid0(SALU_CYCLE_1)
	s_mov_b32 s0, exec_lo
	v_cmpx_gt_u32_e32 31, v0
	s_cbranch_execz .LBB254_42
; %bb.39:
	v_cmp_eq_f32_e64 s0, s2, 0
	v_mul_f32_e32 v1, s10, v6
	s_delay_alu instid0(VALU_DEP_2)
	s_and_b32 vcc_lo, exec_lo, s0
	s_mov_b32 s0, 0
	s_cbranch_vccz .LBB254_43
; %bb.40:
	s_delay_alu instid0(VALU_DEP_1) | instskip(SKIP_1) | instid1(VALU_DEP_1)
	v_mad_u64_u32 v[2:3], null, s8, 31, v[0:1]
	v_mov_b32_e32 v3, 0
	v_lshlrev_b64 v[2:3], 2, v[2:3]
	s_delay_alu instid0(VALU_DEP_1) | instskip(NEXT) | instid1(VALU_DEP_2)
	v_add_co_u32 v2, vcc_lo, s12, v2
	v_add_co_ci_u32_e32 v3, vcc_lo, s13, v3, vcc_lo
	global_store_b32 v[2:3], v1, off
	s_and_not1_b32 vcc_lo, exec_lo, s0
	s_cbranch_vccnz .LBB254_42
.LBB254_41:
	v_mad_u64_u32 v[2:3], null, s8, 31, v[0:1]
	v_mov_b32_e32 v3, 0
	s_delay_alu instid0(VALU_DEP_1) | instskip(NEXT) | instid1(VALU_DEP_1)
	v_lshlrev_b64 v[2:3], 2, v[2:3]
	v_add_co_u32 v2, vcc_lo, s12, v2
	s_delay_alu instid0(VALU_DEP_2)
	v_add_co_ci_u32_e32 v3, vcc_lo, s13, v3, vcc_lo
	global_load_b32 v0, v[2:3], off
	s_waitcnt vmcnt(0)
	v_fmac_f32_e32 v1, s2, v0
	global_store_b32 v[2:3], v1, off
.LBB254_42:
	s_nop 0
	s_sendmsg sendmsg(MSG_DEALLOC_VGPRS)
	s_endpgm
.LBB254_43:
	s_branch .LBB254_41
	.section	.rodata,"a",@progbits
	.p2align	6, 0x0
	.amdhsa_kernel _ZN9rocsparseL20bsrxmvn_17_32_kernelILj31EfiiaafEEvT2_20rocsparse_direction_NS_24const_host_device_scalarIT0_EES1_PKS1_PKT1_SA_S7_PKT3_PKT4_S5_PT5_21rocsparse_index_base_b
		.amdhsa_group_segment_fixed_size 3844
		.amdhsa_private_segment_fixed_size 0
		.amdhsa_kernarg_size 96
		.amdhsa_user_sgpr_count 15
		.amdhsa_user_sgpr_dispatch_ptr 0
		.amdhsa_user_sgpr_queue_ptr 0
		.amdhsa_user_sgpr_kernarg_segment_ptr 1
		.amdhsa_user_sgpr_dispatch_id 0
		.amdhsa_user_sgpr_private_segment_size 0
		.amdhsa_wavefront_size32 1
		.amdhsa_uses_dynamic_stack 0
		.amdhsa_enable_private_segment 0
		.amdhsa_system_sgpr_workgroup_id_x 1
		.amdhsa_system_sgpr_workgroup_id_y 0
		.amdhsa_system_sgpr_workgroup_id_z 0
		.amdhsa_system_sgpr_workgroup_info 0
		.amdhsa_system_vgpr_workitem_id 0
		.amdhsa_next_free_vgpr 10
		.amdhsa_next_free_sgpr 18
		.amdhsa_reserve_vcc 1
		.amdhsa_float_round_mode_32 0
		.amdhsa_float_round_mode_16_64 0
		.amdhsa_float_denorm_mode_32 3
		.amdhsa_float_denorm_mode_16_64 3
		.amdhsa_dx10_clamp 1
		.amdhsa_ieee_mode 1
		.amdhsa_fp16_overflow 0
		.amdhsa_workgroup_processor_mode 1
		.amdhsa_memory_ordered 1
		.amdhsa_forward_progress 0
		.amdhsa_shared_vgpr_count 0
		.amdhsa_exception_fp_ieee_invalid_op 0
		.amdhsa_exception_fp_denorm_src 0
		.amdhsa_exception_fp_ieee_div_zero 0
		.amdhsa_exception_fp_ieee_overflow 0
		.amdhsa_exception_fp_ieee_underflow 0
		.amdhsa_exception_fp_ieee_inexact 0
		.amdhsa_exception_int_div_zero 0
	.end_amdhsa_kernel
	.section	.text._ZN9rocsparseL20bsrxmvn_17_32_kernelILj31EfiiaafEEvT2_20rocsparse_direction_NS_24const_host_device_scalarIT0_EES1_PKS1_PKT1_SA_S7_PKT3_PKT4_S5_PT5_21rocsparse_index_base_b,"axG",@progbits,_ZN9rocsparseL20bsrxmvn_17_32_kernelILj31EfiiaafEEvT2_20rocsparse_direction_NS_24const_host_device_scalarIT0_EES1_PKS1_PKT1_SA_S7_PKT3_PKT4_S5_PT5_21rocsparse_index_base_b,comdat
.Lfunc_end254:
	.size	_ZN9rocsparseL20bsrxmvn_17_32_kernelILj31EfiiaafEEvT2_20rocsparse_direction_NS_24const_host_device_scalarIT0_EES1_PKS1_PKT1_SA_S7_PKT3_PKT4_S5_PT5_21rocsparse_index_base_b, .Lfunc_end254-_ZN9rocsparseL20bsrxmvn_17_32_kernelILj31EfiiaafEEvT2_20rocsparse_direction_NS_24const_host_device_scalarIT0_EES1_PKS1_PKT1_SA_S7_PKT3_PKT4_S5_PT5_21rocsparse_index_base_b
                                        ; -- End function
	.section	.AMDGPU.csdata,"",@progbits
; Kernel info:
; codeLenInByte = 1524
; NumSgprs: 20
; NumVgprs: 10
; ScratchSize: 0
; MemoryBound: 0
; FloatMode: 240
; IeeeMode: 1
; LDSByteSize: 3844 bytes/workgroup (compile time only)
; SGPRBlocks: 2
; VGPRBlocks: 1
; NumSGPRsForWavesPerEU: 20
; NumVGPRsForWavesPerEU: 10
; Occupancy: 16
; WaveLimiterHint : 1
; COMPUTE_PGM_RSRC2:SCRATCH_EN: 0
; COMPUTE_PGM_RSRC2:USER_SGPR: 15
; COMPUTE_PGM_RSRC2:TRAP_HANDLER: 0
; COMPUTE_PGM_RSRC2:TGID_X_EN: 1
; COMPUTE_PGM_RSRC2:TGID_Y_EN: 0
; COMPUTE_PGM_RSRC2:TGID_Z_EN: 0
; COMPUTE_PGM_RSRC2:TIDIG_COMP_CNT: 0
	.section	.text._ZN9rocsparseL20bsrxmvn_17_32_kernelILj32EfiiaafEEvT2_20rocsparse_direction_NS_24const_host_device_scalarIT0_EES1_PKS1_PKT1_SA_S7_PKT3_PKT4_S5_PT5_21rocsparse_index_base_b,"axG",@progbits,_ZN9rocsparseL20bsrxmvn_17_32_kernelILj32EfiiaafEEvT2_20rocsparse_direction_NS_24const_host_device_scalarIT0_EES1_PKS1_PKT1_SA_S7_PKT3_PKT4_S5_PT5_21rocsparse_index_base_b,comdat
	.globl	_ZN9rocsparseL20bsrxmvn_17_32_kernelILj32EfiiaafEEvT2_20rocsparse_direction_NS_24const_host_device_scalarIT0_EES1_PKS1_PKT1_SA_S7_PKT3_PKT4_S5_PT5_21rocsparse_index_base_b ; -- Begin function _ZN9rocsparseL20bsrxmvn_17_32_kernelILj32EfiiaafEEvT2_20rocsparse_direction_NS_24const_host_device_scalarIT0_EES1_PKS1_PKT1_SA_S7_PKT3_PKT4_S5_PT5_21rocsparse_index_base_b
	.p2align	8
	.type	_ZN9rocsparseL20bsrxmvn_17_32_kernelILj32EfiiaafEEvT2_20rocsparse_direction_NS_24const_host_device_scalarIT0_EES1_PKS1_PKT1_SA_S7_PKT3_PKT4_S5_PT5_21rocsparse_index_base_b,@function
_ZN9rocsparseL20bsrxmvn_17_32_kernelILj32EfiiaafEEvT2_20rocsparse_direction_NS_24const_host_device_scalarIT0_EES1_PKS1_PKT1_SA_S7_PKT3_PKT4_S5_PT5_21rocsparse_index_base_b: ; @_ZN9rocsparseL20bsrxmvn_17_32_kernelILj32EfiiaafEEvT2_20rocsparse_direction_NS_24const_host_device_scalarIT0_EES1_PKS1_PKT1_SA_S7_PKT3_PKT4_S5_PT5_21rocsparse_index_base_b
; %bb.0:
	s_clause 0x2
	s_load_b64 s[12:13], s[0:1], 0x58
	s_load_b64 s[10:11], s[0:1], 0x8
	;; [unrolled: 1-line block ×3, first 2 shown]
	s_mov_b32 s8, s15
	s_waitcnt lgkmcnt(0)
	s_bitcmp1_b32 s13, 0
	s_cselect_b32 s4, -1, 0
	s_delay_alu instid0(SALU_CYCLE_1)
	s_and_b32 vcc_lo, exec_lo, s4
	s_xor_b32 s4, s4, -1
	s_cbranch_vccnz .LBB255_2
; %bb.1:
	s_load_b32 s10, s[10:11], 0x0
.LBB255_2:
	s_and_not1_b32 vcc_lo, exec_lo, s4
	s_cbranch_vccnz .LBB255_4
; %bb.3:
	s_load_b32 s2, s[2:3], 0x0
.LBB255_4:
	s_waitcnt lgkmcnt(0)
	v_cmp_neq_f32_e64 s3, s10, 0
	v_cmp_neq_f32_e64 s4, s2, 1.0
	s_delay_alu instid0(VALU_DEP_1) | instskip(NEXT) | instid1(SALU_CYCLE_1)
	s_or_b32 s3, s3, s4
	s_and_not1_b32 vcc_lo, exec_lo, s3
	s_cbranch_vccnz .LBB255_40
; %bb.5:
	s_clause 0x1
	s_load_b128 s[4:7], s[0:1], 0x18
	s_load_b64 s[14:15], s[0:1], 0x28
	s_waitcnt lgkmcnt(0)
	s_cmp_eq_u64 s[4:5], 0
	s_cbranch_scc1 .LBB255_7
; %bb.6:
	s_ashr_i32 s9, s8, 31
	s_delay_alu instid0(SALU_CYCLE_1) | instskip(NEXT) | instid1(SALU_CYCLE_1)
	s_lshl_b64 s[8:9], s[8:9], 2
	s_add_u32 s4, s4, s8
	s_addc_u32 s5, s5, s9
	s_load_b32 s3, s[4:5], 0x0
	s_waitcnt lgkmcnt(0)
	s_sub_i32 s8, s3, s12
.LBB255_7:
	s_load_b32 s3, s[0:1], 0x4
	v_dual_mov_b32 v3, 0 :: v_dual_and_b32 v4, 31, v0
	s_waitcnt lgkmcnt(0)
	s_cmp_eq_u32 s3, 1
	s_cselect_b32 vcc_lo, -1, 0
	s_cmp_lg_u32 s3, 1
	s_cselect_b32 s3, -1, 0
	s_ashr_i32 s9, s8, 31
	s_delay_alu instid0(SALU_CYCLE_1) | instskip(NEXT) | instid1(SALU_CYCLE_1)
	s_lshl_b64 s[4:5], s[8:9], 2
	s_add_u32 s6, s6, s4
	s_addc_u32 s7, s7, s5
	s_add_u32 s9, s6, 4
	s_addc_u32 s11, s7, 0
	;; [unrolled: 2-line block ×3, first 2 shown]
	s_cmp_eq_u64 s[14:15], 0
	s_cselect_b32 s5, s11, s5
	s_cselect_b32 s4, s9, s4
	s_load_b32 s6, s[6:7], 0x0
	s_load_b32 s9, s[4:5], 0x0
	s_load_b64 s[4:5], s[0:1], 0x50
	s_waitcnt lgkmcnt(0)
	s_cmp_ge_i32 s6, s9
	s_cbranch_scc1 .LBB255_10
; %bb.8:
	s_clause 0x1
	s_load_b128 s[16:19], s[0:1], 0x30
	s_load_b64 s[0:1], s[0:1], 0x40
	s_sub_i32 s6, s6, s12
	v_lshrrev_b32_e32 v1, 5, v0
	s_ashr_i32 s7, s6, 31
	s_delay_alu instid0(SALU_CYCLE_1)
	s_lshl_b64 s[14:15], s[6:7], 10
	s_lshl_b64 s[20:21], s[6:7], 2
	v_or_b32_e32 v2, s14, v0
	v_mov_b32_e32 v3, s15
	v_cndmask_b32_e32 v5, v4, v1, vcc_lo
	s_sub_i32 s7, s9, s12
	s_waitcnt lgkmcnt(0)
	v_add_co_u32 v1, vcc_lo, s18, v2
	v_add_co_ci_u32_e32 v2, vcc_lo, s19, v3, vcc_lo
	v_mov_b32_e32 v3, 0
	s_add_u32 s14, s16, s20
	s_addc_u32 s15, s17, s21
	.p2align	6
.LBB255_9:                              ; =>This Inner Loop Header: Depth=1
	s_load_b32 s9, s[14:15], 0x0
	s_add_i32 s6, s6, 1
	s_waitcnt lgkmcnt(0)
	s_sub_i32 s9, s9, s12
	s_add_u32 s14, s14, 4
	v_lshl_or_b32 v6, s9, 5, v5
	s_addc_u32 s15, s15, 0
	s_cmp_lt_i32 s6, s7
	s_delay_alu instid0(VALU_DEP_1) | instskip(SKIP_1) | instid1(VALU_DEP_2)
	v_ashrrev_i32_e32 v7, 31, v6
	v_add_co_u32 v6, vcc_lo, s0, v6
	v_add_co_ci_u32_e32 v7, vcc_lo, s1, v7, vcc_lo
	global_load_i8 v8, v[1:2], off
	global_load_i8 v6, v[6:7], off
	v_add_co_u32 v1, vcc_lo, 0x400, v1
	v_add_co_ci_u32_e32 v2, vcc_lo, 0, v2, vcc_lo
	s_waitcnt vmcnt(1)
	v_cvt_f32_i32_e32 v7, v8
	s_waitcnt vmcnt(0)
	v_cvt_f32_i32_e32 v6, v6
	s_delay_alu instid0(VALU_DEP_1)
	v_fmac_f32_e32 v3, v7, v6
	s_cbranch_scc1 .LBB255_9
.LBB255_10:
	v_lshlrev_b32_e32 v1, 2, v0
	s_and_b32 vcc_lo, exec_lo, s3
	ds_store_b32 v1, v3
	s_waitcnt lgkmcnt(0)
	s_barrier
	buffer_gl0_inv
	s_cbranch_vccz .LBB255_22
; %bb.11:
	s_mov_b32 s0, exec_lo
	v_cmpx_gt_u32_e32 16, v4
	s_cbranch_execz .LBB255_13
; %bb.12:
	ds_load_2addr_b32 v[5:6], v1 offset1:16
	s_waitcnt lgkmcnt(0)
	v_add_f32_e32 v2, v6, v5
	ds_store_b32 v1, v2
.LBB255_13:
	s_or_b32 exec_lo, exec_lo, s0
	s_delay_alu instid0(SALU_CYCLE_1)
	s_mov_b32 s0, exec_lo
	s_waitcnt lgkmcnt(0)
	s_barrier
	buffer_gl0_inv
	v_cmpx_gt_u32_e32 8, v4
	s_cbranch_execz .LBB255_15
; %bb.14:
	ds_load_2addr_b32 v[5:6], v1 offset1:8
	s_waitcnt lgkmcnt(0)
	v_add_f32_e32 v2, v6, v5
	ds_store_b32 v1, v2
.LBB255_15:
	s_or_b32 exec_lo, exec_lo, s0
	s_delay_alu instid0(SALU_CYCLE_1)
	s_mov_b32 s0, exec_lo
	s_waitcnt lgkmcnt(0)
	s_barrier
	buffer_gl0_inv
	;; [unrolled: 14-line block ×3, first 2 shown]
	v_cmpx_gt_u32_e32 2, v4
	s_cbranch_execz .LBB255_19
; %bb.18:
	ds_load_2addr_b32 v[4:5], v1 offset1:2
	s_waitcnt lgkmcnt(0)
	v_add_f32_e32 v2, v5, v4
	ds_store_b32 v1, v2
.LBB255_19:
	s_or_b32 exec_lo, exec_lo, s0
	s_mov_b32 s1, 0
	s_mov_b32 s0, 0
	s_mov_b32 s3, exec_lo
	s_waitcnt lgkmcnt(0)
	s_barrier
	buffer_gl0_inv
                                        ; implicit-def: $vgpr2
                                        ; implicit-def: $vgpr4
	v_cmpx_gt_u32_e32 32, v0
	s_xor_b32 s3, exec_lo, s3
; %bb.20:
	v_lshl_or_b32 v2, v0, 5, 1
	v_mad_u32_u24 v4, 0x7c, v0, v1
	s_mov_b32 s0, exec_lo
; %bb.21:
	s_or_b32 exec_lo, exec_lo, s3
	s_delay_alu instid0(SALU_CYCLE_1)
	s_and_b32 vcc_lo, exec_lo, s1
	s_cbranch_vccnz .LBB255_23
	s_branch .LBB255_34
.LBB255_22:
	s_mov_b32 s0, 0
                                        ; implicit-def: $vgpr2
                                        ; implicit-def: $vgpr4
	s_cbranch_execz .LBB255_34
.LBB255_23:
	s_mov_b32 s1, exec_lo
	v_cmpx_gt_u32_e32 0x200, v0
	s_cbranch_execz .LBB255_25
; %bb.24:
	ds_load_2addr_stride64_b32 v[4:5], v1 offset1:8
	s_waitcnt lgkmcnt(0)
	v_add_f32_e32 v2, v5, v4
	ds_store_b32 v1, v2
.LBB255_25:
	s_or_b32 exec_lo, exec_lo, s1
	s_delay_alu instid0(SALU_CYCLE_1)
	s_mov_b32 s1, exec_lo
	s_waitcnt lgkmcnt(0)
	s_barrier
	buffer_gl0_inv
	v_cmpx_gt_u32_e32 0x100, v0
	s_cbranch_execz .LBB255_27
; %bb.26:
	ds_load_2addr_stride64_b32 v[4:5], v1 offset1:4
	s_waitcnt lgkmcnt(0)
	v_add_f32_e32 v2, v5, v4
	ds_store_b32 v1, v2
.LBB255_27:
	s_or_b32 exec_lo, exec_lo, s1
	s_delay_alu instid0(SALU_CYCLE_1)
	s_mov_b32 s1, exec_lo
	s_waitcnt lgkmcnt(0)
	s_barrier
	buffer_gl0_inv
	;; [unrolled: 14-line block ×3, first 2 shown]
	v_cmpx_gt_u32_e32 64, v0
	s_cbranch_execz .LBB255_31
; %bb.30:
	ds_load_2addr_stride64_b32 v[4:5], v1 offset1:1
	s_waitcnt lgkmcnt(0)
	v_add_f32_e32 v2, v5, v4
	ds_store_b32 v1, v2
.LBB255_31:
	s_or_b32 exec_lo, exec_lo, s1
	s_delay_alu instid0(SALU_CYCLE_1)
	s_mov_b32 s1, exec_lo
	s_waitcnt lgkmcnt(0)
	buffer_gl0_inv
                                        ; implicit-def: $vgpr2
	v_cmpx_gt_u32_e32 32, v0
; %bb.32:
	v_or_b32_e32 v2, 32, v0
	s_or_b32 s0, s0, exec_lo
                                        ; implicit-def: $vgpr3
; %bb.33:
	s_or_b32 exec_lo, exec_lo, s1
	v_mov_b32_e32 v4, v1
.LBB255_34:
	s_and_saveexec_b32 s1, s0
	s_cbranch_execz .LBB255_36
; %bb.35:
	v_lshlrev_b32_e32 v1, 2, v2
	ds_load_b32 v2, v4
	ds_load_b32 v1, v1
	s_waitcnt lgkmcnt(0)
	v_add_f32_e32 v3, v2, v1
.LBB255_36:
	s_or_b32 exec_lo, exec_lo, s1
	s_delay_alu instid0(SALU_CYCLE_1)
	s_mov_b32 s0, exec_lo
	v_cmpx_gt_u32_e32 32, v0
	s_cbranch_execz .LBB255_40
; %bb.37:
	v_cmp_eq_f32_e64 s0, s2, 0
	v_mul_f32_e32 v2, s10, v3
	v_lshl_or_b32 v0, s8, 5, v0
	s_delay_alu instid0(VALU_DEP_3)
	s_and_b32 vcc_lo, exec_lo, s0
	s_mov_b32 s0, 0
	s_cbranch_vccz .LBB255_41
; %bb.38:
	v_mov_b32_e32 v1, 0
	s_delay_alu instid0(VALU_DEP_1) | instskip(NEXT) | instid1(VALU_DEP_1)
	v_lshlrev_b64 v[3:4], 2, v[0:1]
	v_add_co_u32 v3, vcc_lo, s4, v3
	s_delay_alu instid0(VALU_DEP_2)
	v_add_co_ci_u32_e32 v4, vcc_lo, s5, v4, vcc_lo
	global_store_b32 v[3:4], v2, off
	s_and_not1_b32 vcc_lo, exec_lo, s0
	s_cbranch_vccnz .LBB255_40
.LBB255_39:
	v_mov_b32_e32 v1, 0
	s_delay_alu instid0(VALU_DEP_1) | instskip(NEXT) | instid1(VALU_DEP_1)
	v_lshlrev_b64 v[0:1], 2, v[0:1]
	v_add_co_u32 v0, vcc_lo, s4, v0
	s_delay_alu instid0(VALU_DEP_2)
	v_add_co_ci_u32_e32 v1, vcc_lo, s5, v1, vcc_lo
	global_load_b32 v3, v[0:1], off
	s_waitcnt vmcnt(0)
	v_fmac_f32_e32 v2, s2, v3
	global_store_b32 v[0:1], v2, off
.LBB255_40:
	s_nop 0
	s_sendmsg sendmsg(MSG_DEALLOC_VGPRS)
	s_endpgm
.LBB255_41:
	s_branch .LBB255_39
	.section	.rodata,"a",@progbits
	.p2align	6, 0x0
	.amdhsa_kernel _ZN9rocsparseL20bsrxmvn_17_32_kernelILj32EfiiaafEEvT2_20rocsparse_direction_NS_24const_host_device_scalarIT0_EES1_PKS1_PKT1_SA_S7_PKT3_PKT4_S5_PT5_21rocsparse_index_base_b
		.amdhsa_group_segment_fixed_size 4096
		.amdhsa_private_segment_fixed_size 0
		.amdhsa_kernarg_size 96
		.amdhsa_user_sgpr_count 15
		.amdhsa_user_sgpr_dispatch_ptr 0
		.amdhsa_user_sgpr_queue_ptr 0
		.amdhsa_user_sgpr_kernarg_segment_ptr 1
		.amdhsa_user_sgpr_dispatch_id 0
		.amdhsa_user_sgpr_private_segment_size 0
		.amdhsa_wavefront_size32 1
		.amdhsa_uses_dynamic_stack 0
		.amdhsa_enable_private_segment 0
		.amdhsa_system_sgpr_workgroup_id_x 1
		.amdhsa_system_sgpr_workgroup_id_y 0
		.amdhsa_system_sgpr_workgroup_id_z 0
		.amdhsa_system_sgpr_workgroup_info 0
		.amdhsa_system_vgpr_workitem_id 0
		.amdhsa_next_free_vgpr 9
		.amdhsa_next_free_sgpr 22
		.amdhsa_reserve_vcc 1
		.amdhsa_float_round_mode_32 0
		.amdhsa_float_round_mode_16_64 0
		.amdhsa_float_denorm_mode_32 3
		.amdhsa_float_denorm_mode_16_64 3
		.amdhsa_dx10_clamp 1
		.amdhsa_ieee_mode 1
		.amdhsa_fp16_overflow 0
		.amdhsa_workgroup_processor_mode 1
		.amdhsa_memory_ordered 1
		.amdhsa_forward_progress 0
		.amdhsa_shared_vgpr_count 0
		.amdhsa_exception_fp_ieee_invalid_op 0
		.amdhsa_exception_fp_denorm_src 0
		.amdhsa_exception_fp_ieee_div_zero 0
		.amdhsa_exception_fp_ieee_overflow 0
		.amdhsa_exception_fp_ieee_underflow 0
		.amdhsa_exception_fp_ieee_inexact 0
		.amdhsa_exception_int_div_zero 0
	.end_amdhsa_kernel
	.section	.text._ZN9rocsparseL20bsrxmvn_17_32_kernelILj32EfiiaafEEvT2_20rocsparse_direction_NS_24const_host_device_scalarIT0_EES1_PKS1_PKT1_SA_S7_PKT3_PKT4_S5_PT5_21rocsparse_index_base_b,"axG",@progbits,_ZN9rocsparseL20bsrxmvn_17_32_kernelILj32EfiiaafEEvT2_20rocsparse_direction_NS_24const_host_device_scalarIT0_EES1_PKS1_PKT1_SA_S7_PKT3_PKT4_S5_PT5_21rocsparse_index_base_b,comdat
.Lfunc_end255:
	.size	_ZN9rocsparseL20bsrxmvn_17_32_kernelILj32EfiiaafEEvT2_20rocsparse_direction_NS_24const_host_device_scalarIT0_EES1_PKS1_PKT1_SA_S7_PKT3_PKT4_S5_PT5_21rocsparse_index_base_b, .Lfunc_end255-_ZN9rocsparseL20bsrxmvn_17_32_kernelILj32EfiiaafEEvT2_20rocsparse_direction_NS_24const_host_device_scalarIT0_EES1_PKS1_PKT1_SA_S7_PKT3_PKT4_S5_PT5_21rocsparse_index_base_b
                                        ; -- End function
	.section	.AMDGPU.csdata,"",@progbits
; Kernel info:
; codeLenInByte = 1344
; NumSgprs: 24
; NumVgprs: 9
; ScratchSize: 0
; MemoryBound: 0
; FloatMode: 240
; IeeeMode: 1
; LDSByteSize: 4096 bytes/workgroup (compile time only)
; SGPRBlocks: 2
; VGPRBlocks: 1
; NumSGPRsForWavesPerEU: 24
; NumVGPRsForWavesPerEU: 9
; Occupancy: 16
; WaveLimiterHint : 1
; COMPUTE_PGM_RSRC2:SCRATCH_EN: 0
; COMPUTE_PGM_RSRC2:USER_SGPR: 15
; COMPUTE_PGM_RSRC2:TRAP_HANDLER: 0
; COMPUTE_PGM_RSRC2:TGID_X_EN: 1
; COMPUTE_PGM_RSRC2:TGID_Y_EN: 0
; COMPUTE_PGM_RSRC2:TGID_Z_EN: 0
; COMPUTE_PGM_RSRC2:TIDIG_COMP_CNT: 0
	.section	.text._ZN9rocsparseL20bsrxmvn_17_32_kernelILj17EfliaafEEvT2_20rocsparse_direction_NS_24const_host_device_scalarIT0_EES1_PKS1_PKT1_SA_S7_PKT3_PKT4_S5_PT5_21rocsparse_index_base_b,"axG",@progbits,_ZN9rocsparseL20bsrxmvn_17_32_kernelILj17EfliaafEEvT2_20rocsparse_direction_NS_24const_host_device_scalarIT0_EES1_PKS1_PKT1_SA_S7_PKT3_PKT4_S5_PT5_21rocsparse_index_base_b,comdat
	.globl	_ZN9rocsparseL20bsrxmvn_17_32_kernelILj17EfliaafEEvT2_20rocsparse_direction_NS_24const_host_device_scalarIT0_EES1_PKS1_PKT1_SA_S7_PKT3_PKT4_S5_PT5_21rocsparse_index_base_b ; -- Begin function _ZN9rocsparseL20bsrxmvn_17_32_kernelILj17EfliaafEEvT2_20rocsparse_direction_NS_24const_host_device_scalarIT0_EES1_PKS1_PKT1_SA_S7_PKT3_PKT4_S5_PT5_21rocsparse_index_base_b
	.p2align	8
	.type	_ZN9rocsparseL20bsrxmvn_17_32_kernelILj17EfliaafEEvT2_20rocsparse_direction_NS_24const_host_device_scalarIT0_EES1_PKS1_PKT1_SA_S7_PKT3_PKT4_S5_PT5_21rocsparse_index_base_b,@function
_ZN9rocsparseL20bsrxmvn_17_32_kernelILj17EfliaafEEvT2_20rocsparse_direction_NS_24const_host_device_scalarIT0_EES1_PKS1_PKT1_SA_S7_PKT3_PKT4_S5_PT5_21rocsparse_index_base_b: ; @_ZN9rocsparseL20bsrxmvn_17_32_kernelILj17EfliaafEEvT2_20rocsparse_direction_NS_24const_host_device_scalarIT0_EES1_PKS1_PKT1_SA_S7_PKT3_PKT4_S5_PT5_21rocsparse_index_base_b
; %bb.0:
	s_clause 0x2
	s_load_b64 s[16:17], s[0:1], 0x58
	s_load_b64 s[12:13], s[0:1], 0x8
	;; [unrolled: 1-line block ×3, first 2 shown]
	s_mov_b32 s10, s15
	s_waitcnt lgkmcnt(0)
	s_bitcmp1_b32 s17, 0
	s_cselect_b32 s2, -1, 0
	s_delay_alu instid0(SALU_CYCLE_1)
	s_and_b32 vcc_lo, exec_lo, s2
	s_xor_b32 s2, s2, -1
	s_cbranch_vccnz .LBB256_2
; %bb.1:
	s_load_b32 s12, s[12:13], 0x0
.LBB256_2:
	s_and_not1_b32 vcc_lo, exec_lo, s2
	s_cbranch_vccnz .LBB256_4
; %bb.3:
	s_load_b32 s8, s[8:9], 0x0
.LBB256_4:
	s_waitcnt lgkmcnt(0)
	v_cmp_neq_f32_e64 s2, s12, 0
	v_cmp_neq_f32_e64 s3, s8, 1.0
	s_delay_alu instid0(VALU_DEP_1) | instskip(NEXT) | instid1(SALU_CYCLE_1)
	s_or_b32 s2, s2, s3
	s_and_not1_b32 vcc_lo, exec_lo, s2
	s_cbranch_vccnz .LBB256_42
; %bb.5:
	s_clause 0x1
	s_load_b128 s[4:7], s[0:1], 0x18
	s_load_b64 s[14:15], s[0:1], 0x28
	s_waitcnt lgkmcnt(0)
	s_cmp_eq_u64 s[4:5], 0
	s_cbranch_scc1 .LBB256_7
; %bb.6:
	s_ashr_i32 s11, s10, 31
	s_delay_alu instid0(SALU_CYCLE_1) | instskip(NEXT) | instid1(SALU_CYCLE_1)
	s_lshl_b64 s[2:3], s[10:11], 2
	s_add_u32 s2, s4, s2
	s_addc_u32 s3, s5, s3
	s_load_b32 s2, s[2:3], 0x0
	s_waitcnt lgkmcnt(0)
	s_sub_i32 s10, s2, s16
.LBB256_7:
	s_load_b32 s3, s[0:1], 0x4
	v_mul_u32_u24_e32 v1, 0xf10, v0
	v_mov_b32_e32 v6, 0
	s_delay_alu instid0(VALU_DEP_2) | instskip(NEXT) | instid1(VALU_DEP_1)
	v_lshrrev_b32_e32 v1, 16, v1
	v_mul_lo_u16 v2, v1, 17
	s_delay_alu instid0(VALU_DEP_1)
	v_sub_nc_u16 v7, v0, v2
	s_waitcnt lgkmcnt(0)
	s_cmp_eq_u32 s3, 1
	s_cselect_b32 s2, -1, 0
	s_cmp_lg_u32 s3, 1
	s_cselect_b32 s3, -1, 0
	s_ashr_i32 s11, s10, 31
	s_delay_alu instid0(SALU_CYCLE_1) | instskip(NEXT) | instid1(SALU_CYCLE_1)
	s_lshl_b64 s[4:5], s[10:11], 3
	s_add_u32 s6, s6, s4
	s_addc_u32 s7, s7, s5
	s_add_u32 s9, s6, 8
	s_addc_u32 s11, s7, 0
	;; [unrolled: 2-line block ×3, first 2 shown]
	s_cmp_eq_u64 s[14:15], 0
	s_load_b64 s[14:15], s[0:1], 0x50
	s_cselect_b32 s5, s11, s5
	s_cselect_b32 s4, s9, s4
	s_load_b64 s[22:23], s[6:7], 0x0
	s_load_b64 s[18:19], s[4:5], 0x0
	s_waitcnt lgkmcnt(0)
	v_cmp_ge_i64_e64 s4, s[22:23], s[18:19]
	s_delay_alu instid0(VALU_DEP_1)
	s_and_b32 vcc_lo, exec_lo, s4
	s_cbranch_vccnz .LBB256_12
; %bb.8:
	v_mul_lo_u16 v2, v1, 31
	v_dual_mov_b32 v6, 0 :: v_dual_and_b32 v3, 0xffff, v0
	s_clause 0x1
	s_load_b128 s[4:7], s[0:1], 0x30
	s_load_b64 s[0:1], s[0:1], 0x40
	v_and_b32_e32 v4, 0xffff, v7
	v_lshrrev_b16 v2, 9, v2
	v_mul_u32_u24_e32 v3, 0xe3, v3
	s_sub_u32 s18, s18, s16
	s_subb_u32 s19, s19, 0
	s_sub_u32 s20, s22, s16
	v_mul_lo_u16 v2, v2, 17
	v_lshrrev_b32_e32 v8, 16, v3
	s_subb_u32 s21, s23, 0
	s_mul_hi_u32 s9, s20, 0x121
	s_mul_i32 s13, s21, 0x121
	v_sub_nc_u16 v1, v1, v2
	v_add_co_u32 v2, s17, s22, v8
	s_delay_alu instid0(VALU_DEP_1) | instskip(NEXT) | instid1(VALU_DEP_3)
	v_add_co_ci_u32_e64 v3, null, s23, 0, s17
	v_and_b32_e32 v1, 0xff, v1
	s_delay_alu instid0(VALU_DEP_3) | instskip(NEXT) | instid1(VALU_DEP_3)
	v_sub_co_u32 v2, vcc_lo, v2, s16
	v_subrev_co_ci_u32_e32 v3, vcc_lo, 0, v3, vcc_lo
	s_delay_alu instid0(VALU_DEP_3) | instskip(SKIP_2) | instid1(VALU_DEP_2)
	v_cndmask_b32_e64 v1, v4, v1, s2
	s_mul_i32 s11, s20, 0x121
	s_add_i32 s9, s9, s13
	v_lshlrev_b64 v[4:5], 2, v[2:3]
	s_waitcnt lgkmcnt(0)
	s_add_u32 s2, s6, s11
	s_addc_u32 s6, s7, s9
	v_add_co_u32 v2, s2, s2, v0
	s_delay_alu instid0(VALU_DEP_1)
	v_add_co_ci_u32_e64 v3, null, s6, 0, s2
	v_add_co_u32 v4, vcc_lo, s4, v4
	v_add_co_ci_u32_e32 v5, vcc_lo, s5, v5, vcc_lo
	s_set_inst_prefetch_distance 0x1
	s_branch .LBB256_10
	.p2align	6
.LBB256_9:                              ;   in Loop: Header=BB256_10 Depth=1
	s_or_b32 exec_lo, exec_lo, s2
	s_add_u32 s20, s20, 1
	s_addc_u32 s21, s21, 0
	v_add_co_u32 v4, vcc_lo, v4, 4
	v_cmp_lt_i64_e64 s2, s[20:21], s[18:19]
	v_add_co_ci_u32_e32 v5, vcc_lo, 0, v5, vcc_lo
	s_delay_alu instid0(VALU_DEP_2)
	s_and_b32 vcc_lo, exec_lo, s2
	s_cbranch_vccz .LBB256_12
.LBB256_10:                             ; =>This Inner Loop Header: Depth=1
	v_add_co_u32 v9, s2, v8, s20
	s_delay_alu instid0(VALU_DEP_1) | instskip(SKIP_1) | instid1(VALU_DEP_1)
	v_add_co_ci_u32_e64 v10, null, 0, s21, s2
	s_mov_b32 s2, exec_lo
	v_cmpx_gt_i64_e64 s[18:19], v[9:10]
	s_cbranch_execz .LBB256_9
; %bb.11:                               ;   in Loop: Header=BB256_10 Depth=1
	global_load_b32 v9, v[4:5], off
	s_waitcnt vmcnt(0)
	v_subrev_nc_u32_e32 v11, s16, v9
	s_delay_alu instid0(VALU_DEP_1) | instskip(NEXT) | instid1(VALU_DEP_1)
	v_mad_u64_u32 v[9:10], null, v11, 17, v[1:2]
	v_ashrrev_i32_e32 v10, 31, v9
	v_add_co_u32 v9, vcc_lo, s0, v9
	s_delay_alu instid0(VALU_DEP_2)
	v_add_co_ci_u32_e32 v10, vcc_lo, s1, v10, vcc_lo
	global_load_i8 v11, v[2:3], off
	global_load_i8 v9, v[9:10], off
	v_add_co_u32 v2, vcc_lo, 0x121, v2
	v_add_co_ci_u32_e32 v3, vcc_lo, 0, v3, vcc_lo
	s_waitcnt vmcnt(1)
	v_cvt_f32_i32_e32 v10, v11
	s_waitcnt vmcnt(0)
	v_cvt_f32_i32_e32 v9, v9
	s_delay_alu instid0(VALU_DEP_1)
	v_fmac_f32_e32 v6, v10, v9
	s_branch .LBB256_9
.LBB256_12:
	s_set_inst_prefetch_distance 0x2
	v_lshlrev_b32_e32 v1, 2, v0
	s_and_b32 vcc_lo, exec_lo, s3
	ds_store_b32 v1, v6
	s_waitcnt lgkmcnt(0)
	s_barrier
	buffer_gl0_inv
	s_cbranch_vccz .LBB256_24
; %bb.13:
	s_mov_b32 s0, exec_lo
	v_cmpx_eq_u16_e32 0, v7
	s_cbranch_execz .LBB256_15
; %bb.14:
	ds_load_2addr_b32 v[2:3], v1 offset1:16
	s_waitcnt lgkmcnt(0)
	v_add_f32_e32 v2, v3, v2
	ds_store_b32 v1, v2
.LBB256_15:
	s_or_b32 exec_lo, exec_lo, s0
	s_delay_alu instid0(SALU_CYCLE_1)
	s_mov_b32 s0, exec_lo
	s_waitcnt lgkmcnt(0)
	s_barrier
	buffer_gl0_inv
	v_cmpx_gt_u16_e32 8, v7
	s_cbranch_execz .LBB256_17
; %bb.16:
	ds_load_2addr_b32 v[2:3], v1 offset1:8
	s_waitcnt lgkmcnt(0)
	v_add_f32_e32 v2, v3, v2
	ds_store_b32 v1, v2
.LBB256_17:
	s_or_b32 exec_lo, exec_lo, s0
	s_delay_alu instid0(SALU_CYCLE_1)
	s_mov_b32 s0, exec_lo
	s_waitcnt lgkmcnt(0)
	s_barrier
	buffer_gl0_inv
	v_cmpx_gt_u16_e32 4, v7
	;; [unrolled: 14-line block ×3, first 2 shown]
	s_cbranch_execz .LBB256_21
; %bb.20:
	ds_load_2addr_b32 v[2:3], v1 offset1:2
	s_waitcnt lgkmcnt(0)
	v_add_f32_e32 v2, v3, v2
	ds_store_b32 v1, v2
.LBB256_21:
	s_or_b32 exec_lo, exec_lo, s0
	s_mov_b32 s0, 0
	s_mov_b32 s1, 0
	s_mov_b32 s2, exec_lo
	s_waitcnt lgkmcnt(0)
	s_barrier
	buffer_gl0_inv
                                        ; implicit-def: $vgpr2
                                        ; implicit-def: $vgpr3
	v_cmpx_gt_u32_e32 17, v0
	s_xor_b32 s2, exec_lo, s2
; %bb.22:
	v_mad_u32_u24 v2, v0, 17, 1
	v_lshl_add_u32 v3, v0, 6, v1
	s_mov_b32 s1, exec_lo
; %bb.23:
	s_or_b32 exec_lo, exec_lo, s2
	s_delay_alu instid0(SALU_CYCLE_1)
	s_and_b32 vcc_lo, exec_lo, s0
	v_cmp_gt_u32_e64 s0, 17, v0
	s_cbranch_vccnz .LBB256_25
	s_branch .LBB256_36
.LBB256_24:
	s_mov_b32 s1, 0
                                        ; implicit-def: $vgpr2
                                        ; implicit-def: $vgpr3
	v_cmp_gt_u32_e64 s0, 17, v0
	s_cbranch_execz .LBB256_36
.LBB256_25:
	s_delay_alu instid0(VALU_DEP_1)
	s_and_saveexec_b32 s2, s0
	s_cbranch_execz .LBB256_27
; %bb.26:
	ds_load_b32 v2, v1 offset:1088
	ds_load_b32 v3, v1
	s_waitcnt lgkmcnt(0)
	v_add_f32_e32 v2, v2, v3
	ds_store_b32 v1, v2
.LBB256_27:
	s_or_b32 exec_lo, exec_lo, s2
	s_delay_alu instid0(SALU_CYCLE_1)
	s_mov_b32 s2, exec_lo
	s_waitcnt lgkmcnt(0)
	s_barrier
	buffer_gl0_inv
	v_cmpx_gt_u32_e32 0x88, v0
	s_cbranch_execz .LBB256_29
; %bb.28:
	ds_load_2addr_b32 v[2:3], v1 offset1:136
	s_waitcnt lgkmcnt(0)
	v_add_f32_e32 v2, v3, v2
	ds_store_b32 v1, v2
.LBB256_29:
	s_or_b32 exec_lo, exec_lo, s2
	s_delay_alu instid0(SALU_CYCLE_1)
	s_mov_b32 s2, exec_lo
	s_waitcnt lgkmcnt(0)
	s_barrier
	buffer_gl0_inv
	v_cmpx_gt_u32_e32 0x44, v0
	s_cbranch_execz .LBB256_31
; %bb.30:
	ds_load_2addr_b32 v[2:3], v1 offset1:68
	s_waitcnt lgkmcnt(0)
	v_add_f32_e32 v2, v3, v2
	ds_store_b32 v1, v2
.LBB256_31:
	s_or_b32 exec_lo, exec_lo, s2
	s_delay_alu instid0(SALU_CYCLE_1)
	s_mov_b32 s2, exec_lo
	s_waitcnt lgkmcnt(0)
	s_barrier
	buffer_gl0_inv
	v_cmpx_gt_u32_e32 34, v0
	s_cbranch_execz .LBB256_33
; %bb.32:
	ds_load_2addr_b32 v[2:3], v1 offset1:34
	s_waitcnt lgkmcnt(0)
	v_add_f32_e32 v2, v3, v2
	ds_store_b32 v1, v2
.LBB256_33:
	s_or_b32 exec_lo, exec_lo, s2
	s_waitcnt lgkmcnt(0)
	buffer_gl0_inv
                                        ; implicit-def: $vgpr2
	s_and_saveexec_b32 s2, s0
; %bb.34:
	v_add_nc_u32_e32 v2, 17, v0
	s_or_b32 s1, s1, exec_lo
                                        ; implicit-def: $vgpr6
; %bb.35:
	s_or_b32 exec_lo, exec_lo, s2
	v_mov_b32_e32 v3, v1
.LBB256_36:
	s_and_saveexec_b32 s0, s1
	s_cbranch_execz .LBB256_38
; %bb.37:
	v_lshlrev_b32_e32 v1, 2, v2
	ds_load_b32 v2, v3
	ds_load_b32 v1, v1
	s_waitcnt lgkmcnt(0)
	v_add_f32_e32 v6, v2, v1
.LBB256_38:
	s_or_b32 exec_lo, exec_lo, s0
	s_delay_alu instid0(SALU_CYCLE_1)
	s_mov_b32 s0, exec_lo
	v_cmpx_gt_u32_e32 17, v0
	s_cbranch_execz .LBB256_42
; %bb.39:
	v_cmp_eq_f32_e64 s0, s8, 0
	v_mul_f32_e32 v1, s12, v6
	s_delay_alu instid0(VALU_DEP_2)
	s_and_b32 vcc_lo, exec_lo, s0
	s_mov_b32 s0, 0
	s_cbranch_vccz .LBB256_43
; %bb.40:
	s_delay_alu instid0(VALU_DEP_1) | instskip(SKIP_1) | instid1(VALU_DEP_1)
	v_mad_u64_u32 v[2:3], null, s10, 17, v[0:1]
	v_mov_b32_e32 v3, 0
	v_lshlrev_b64 v[2:3], 2, v[2:3]
	s_delay_alu instid0(VALU_DEP_1) | instskip(NEXT) | instid1(VALU_DEP_2)
	v_add_co_u32 v2, vcc_lo, s14, v2
	v_add_co_ci_u32_e32 v3, vcc_lo, s15, v3, vcc_lo
	global_store_b32 v[2:3], v1, off
	s_and_not1_b32 vcc_lo, exec_lo, s0
	s_cbranch_vccnz .LBB256_42
.LBB256_41:
	v_mad_u64_u32 v[2:3], null, s10, 17, v[0:1]
	v_mov_b32_e32 v3, 0
	s_delay_alu instid0(VALU_DEP_1) | instskip(NEXT) | instid1(VALU_DEP_1)
	v_lshlrev_b64 v[2:3], 2, v[2:3]
	v_add_co_u32 v2, vcc_lo, s14, v2
	s_delay_alu instid0(VALU_DEP_2)
	v_add_co_ci_u32_e32 v3, vcc_lo, s15, v3, vcc_lo
	global_load_b32 v0, v[2:3], off
	s_waitcnt vmcnt(0)
	v_fmac_f32_e32 v1, s8, v0
	global_store_b32 v[2:3], v1, off
.LBB256_42:
	s_nop 0
	s_sendmsg sendmsg(MSG_DEALLOC_VGPRS)
	s_endpgm
.LBB256_43:
	s_branch .LBB256_41
	.section	.rodata,"a",@progbits
	.p2align	6, 0x0
	.amdhsa_kernel _ZN9rocsparseL20bsrxmvn_17_32_kernelILj17EfliaafEEvT2_20rocsparse_direction_NS_24const_host_device_scalarIT0_EES1_PKS1_PKT1_SA_S7_PKT3_PKT4_S5_PT5_21rocsparse_index_base_b
		.amdhsa_group_segment_fixed_size 1156
		.amdhsa_private_segment_fixed_size 0
		.amdhsa_kernarg_size 96
		.amdhsa_user_sgpr_count 15
		.amdhsa_user_sgpr_dispatch_ptr 0
		.amdhsa_user_sgpr_queue_ptr 0
		.amdhsa_user_sgpr_kernarg_segment_ptr 1
		.amdhsa_user_sgpr_dispatch_id 0
		.amdhsa_user_sgpr_private_segment_size 0
		.amdhsa_wavefront_size32 1
		.amdhsa_uses_dynamic_stack 0
		.amdhsa_enable_private_segment 0
		.amdhsa_system_sgpr_workgroup_id_x 1
		.amdhsa_system_sgpr_workgroup_id_y 0
		.amdhsa_system_sgpr_workgroup_id_z 0
		.amdhsa_system_sgpr_workgroup_info 0
		.amdhsa_system_vgpr_workitem_id 0
		.amdhsa_next_free_vgpr 12
		.amdhsa_next_free_sgpr 24
		.amdhsa_reserve_vcc 1
		.amdhsa_float_round_mode_32 0
		.amdhsa_float_round_mode_16_64 0
		.amdhsa_float_denorm_mode_32 3
		.amdhsa_float_denorm_mode_16_64 3
		.amdhsa_dx10_clamp 1
		.amdhsa_ieee_mode 1
		.amdhsa_fp16_overflow 0
		.amdhsa_workgroup_processor_mode 1
		.amdhsa_memory_ordered 1
		.amdhsa_forward_progress 0
		.amdhsa_shared_vgpr_count 0
		.amdhsa_exception_fp_ieee_invalid_op 0
		.amdhsa_exception_fp_denorm_src 0
		.amdhsa_exception_fp_ieee_div_zero 0
		.amdhsa_exception_fp_ieee_overflow 0
		.amdhsa_exception_fp_ieee_underflow 0
		.amdhsa_exception_fp_ieee_inexact 0
		.amdhsa_exception_int_div_zero 0
	.end_amdhsa_kernel
	.section	.text._ZN9rocsparseL20bsrxmvn_17_32_kernelILj17EfliaafEEvT2_20rocsparse_direction_NS_24const_host_device_scalarIT0_EES1_PKS1_PKT1_SA_S7_PKT3_PKT4_S5_PT5_21rocsparse_index_base_b,"axG",@progbits,_ZN9rocsparseL20bsrxmvn_17_32_kernelILj17EfliaafEEvT2_20rocsparse_direction_NS_24const_host_device_scalarIT0_EES1_PKS1_PKT1_SA_S7_PKT3_PKT4_S5_PT5_21rocsparse_index_base_b,comdat
.Lfunc_end256:
	.size	_ZN9rocsparseL20bsrxmvn_17_32_kernelILj17EfliaafEEvT2_20rocsparse_direction_NS_24const_host_device_scalarIT0_EES1_PKS1_PKT1_SA_S7_PKT3_PKT4_S5_PT5_21rocsparse_index_base_b, .Lfunc_end256-_ZN9rocsparseL20bsrxmvn_17_32_kernelILj17EfliaafEEvT2_20rocsparse_direction_NS_24const_host_device_scalarIT0_EES1_PKS1_PKT1_SA_S7_PKT3_PKT4_S5_PT5_21rocsparse_index_base_b
                                        ; -- End function
	.section	.AMDGPU.csdata,"",@progbits
; Kernel info:
; codeLenInByte = 1632
; NumSgprs: 26
; NumVgprs: 12
; ScratchSize: 0
; MemoryBound: 0
; FloatMode: 240
; IeeeMode: 1
; LDSByteSize: 1156 bytes/workgroup (compile time only)
; SGPRBlocks: 3
; VGPRBlocks: 1
; NumSGPRsForWavesPerEU: 26
; NumVGPRsForWavesPerEU: 12
; Occupancy: 15
; WaveLimiterHint : 1
; COMPUTE_PGM_RSRC2:SCRATCH_EN: 0
; COMPUTE_PGM_RSRC2:USER_SGPR: 15
; COMPUTE_PGM_RSRC2:TRAP_HANDLER: 0
; COMPUTE_PGM_RSRC2:TGID_X_EN: 1
; COMPUTE_PGM_RSRC2:TGID_Y_EN: 0
; COMPUTE_PGM_RSRC2:TGID_Z_EN: 0
; COMPUTE_PGM_RSRC2:TIDIG_COMP_CNT: 0
	.section	.text._ZN9rocsparseL20bsrxmvn_17_32_kernelILj18EfliaafEEvT2_20rocsparse_direction_NS_24const_host_device_scalarIT0_EES1_PKS1_PKT1_SA_S7_PKT3_PKT4_S5_PT5_21rocsparse_index_base_b,"axG",@progbits,_ZN9rocsparseL20bsrxmvn_17_32_kernelILj18EfliaafEEvT2_20rocsparse_direction_NS_24const_host_device_scalarIT0_EES1_PKS1_PKT1_SA_S7_PKT3_PKT4_S5_PT5_21rocsparse_index_base_b,comdat
	.globl	_ZN9rocsparseL20bsrxmvn_17_32_kernelILj18EfliaafEEvT2_20rocsparse_direction_NS_24const_host_device_scalarIT0_EES1_PKS1_PKT1_SA_S7_PKT3_PKT4_S5_PT5_21rocsparse_index_base_b ; -- Begin function _ZN9rocsparseL20bsrxmvn_17_32_kernelILj18EfliaafEEvT2_20rocsparse_direction_NS_24const_host_device_scalarIT0_EES1_PKS1_PKT1_SA_S7_PKT3_PKT4_S5_PT5_21rocsparse_index_base_b
	.p2align	8
	.type	_ZN9rocsparseL20bsrxmvn_17_32_kernelILj18EfliaafEEvT2_20rocsparse_direction_NS_24const_host_device_scalarIT0_EES1_PKS1_PKT1_SA_S7_PKT3_PKT4_S5_PT5_21rocsparse_index_base_b,@function
_ZN9rocsparseL20bsrxmvn_17_32_kernelILj18EfliaafEEvT2_20rocsparse_direction_NS_24const_host_device_scalarIT0_EES1_PKS1_PKT1_SA_S7_PKT3_PKT4_S5_PT5_21rocsparse_index_base_b: ; @_ZN9rocsparseL20bsrxmvn_17_32_kernelILj18EfliaafEEvT2_20rocsparse_direction_NS_24const_host_device_scalarIT0_EES1_PKS1_PKT1_SA_S7_PKT3_PKT4_S5_PT5_21rocsparse_index_base_b
; %bb.0:
	s_clause 0x2
	s_load_b64 s[16:17], s[0:1], 0x58
	s_load_b64 s[12:13], s[0:1], 0x8
	;; [unrolled: 1-line block ×3, first 2 shown]
	s_mov_b32 s10, s15
	s_waitcnt lgkmcnt(0)
	s_bitcmp1_b32 s17, 0
	s_cselect_b32 s2, -1, 0
	s_delay_alu instid0(SALU_CYCLE_1)
	s_and_b32 vcc_lo, exec_lo, s2
	s_xor_b32 s2, s2, -1
	s_cbranch_vccnz .LBB257_2
; %bb.1:
	s_load_b32 s12, s[12:13], 0x0
.LBB257_2:
	s_and_not1_b32 vcc_lo, exec_lo, s2
	s_cbranch_vccnz .LBB257_4
; %bb.3:
	s_load_b32 s8, s[8:9], 0x0
.LBB257_4:
	s_waitcnt lgkmcnt(0)
	v_cmp_neq_f32_e64 s2, s12, 0
	v_cmp_neq_f32_e64 s3, s8, 1.0
	s_delay_alu instid0(VALU_DEP_1) | instskip(NEXT) | instid1(SALU_CYCLE_1)
	s_or_b32 s2, s2, s3
	s_and_not1_b32 vcc_lo, exec_lo, s2
	s_cbranch_vccnz .LBB257_42
; %bb.5:
	s_clause 0x1
	s_load_b128 s[4:7], s[0:1], 0x18
	s_load_b64 s[14:15], s[0:1], 0x28
	s_waitcnt lgkmcnt(0)
	s_cmp_eq_u64 s[4:5], 0
	s_cbranch_scc1 .LBB257_7
; %bb.6:
	s_ashr_i32 s11, s10, 31
	s_delay_alu instid0(SALU_CYCLE_1) | instskip(NEXT) | instid1(SALU_CYCLE_1)
	s_lshl_b64 s[2:3], s[10:11], 2
	s_add_u32 s2, s4, s2
	s_addc_u32 s3, s5, s3
	s_load_b32 s2, s[2:3], 0x0
	s_waitcnt lgkmcnt(0)
	s_sub_i32 s10, s2, s16
.LBB257_7:
	s_load_b32 s3, s[0:1], 0x4
	v_mul_u32_u24_e32 v1, 0xe39, v0
	v_mov_b32_e32 v6, 0
	s_delay_alu instid0(VALU_DEP_2) | instskip(NEXT) | instid1(VALU_DEP_1)
	v_lshrrev_b32_e32 v1, 16, v1
	v_mul_lo_u16 v2, v1, 18
	s_delay_alu instid0(VALU_DEP_1)
	v_sub_nc_u16 v7, v0, v2
	s_waitcnt lgkmcnt(0)
	s_cmp_eq_u32 s3, 1
	s_cselect_b32 s2, -1, 0
	s_cmp_lg_u32 s3, 1
	s_cselect_b32 s3, -1, 0
	s_ashr_i32 s11, s10, 31
	s_delay_alu instid0(SALU_CYCLE_1) | instskip(NEXT) | instid1(SALU_CYCLE_1)
	s_lshl_b64 s[4:5], s[10:11], 3
	s_add_u32 s6, s6, s4
	s_addc_u32 s7, s7, s5
	s_add_u32 s9, s6, 8
	s_addc_u32 s11, s7, 0
	;; [unrolled: 2-line block ×3, first 2 shown]
	s_cmp_eq_u64 s[14:15], 0
	s_load_b64 s[14:15], s[0:1], 0x50
	s_cselect_b32 s5, s11, s5
	s_cselect_b32 s4, s9, s4
	s_load_b64 s[22:23], s[6:7], 0x0
	s_load_b64 s[18:19], s[4:5], 0x0
	s_waitcnt lgkmcnt(0)
	v_cmp_ge_i64_e64 s4, s[22:23], s[18:19]
	s_delay_alu instid0(VALU_DEP_1)
	s_and_b32 vcc_lo, exec_lo, s4
	s_cbranch_vccnz .LBB257_12
; %bb.8:
	v_mul_lo_u16 v2, v1, 15
	v_dual_mov_b32 v6, 0 :: v_dual_and_b32 v3, 0xffff, v0
	s_clause 0x1
	s_load_b128 s[4:7], s[0:1], 0x30
	s_load_b64 s[0:1], s[0:1], 0x40
	v_and_b32_e32 v4, 0xffff, v7
	v_lshrrev_b16 v2, 8, v2
	v_mul_u32_u24_e32 v3, 0x195, v3
	s_sub_u32 s18, s18, s16
	s_subb_u32 s19, s19, 0
	s_sub_u32 s20, s22, s16
	v_mul_lo_u16 v2, v2, 18
	v_lshrrev_b32_e32 v8, 17, v3
	s_subb_u32 s21, s23, 0
	s_mul_hi_u32 s9, s20, 0x144
	s_mul_i32 s13, s21, 0x144
	v_sub_nc_u16 v1, v1, v2
	v_add_co_u32 v2, s17, s22, v8
	s_delay_alu instid0(VALU_DEP_1) | instskip(NEXT) | instid1(VALU_DEP_3)
	v_add_co_ci_u32_e64 v3, null, s23, 0, s17
	v_and_b32_e32 v1, 0xff, v1
	s_delay_alu instid0(VALU_DEP_3) | instskip(NEXT) | instid1(VALU_DEP_3)
	v_sub_co_u32 v2, vcc_lo, v2, s16
	v_subrev_co_ci_u32_e32 v3, vcc_lo, 0, v3, vcc_lo
	s_delay_alu instid0(VALU_DEP_3) | instskip(SKIP_2) | instid1(VALU_DEP_2)
	v_cndmask_b32_e64 v1, v4, v1, s2
	s_mul_i32 s11, s20, 0x144
	s_add_i32 s9, s9, s13
	v_lshlrev_b64 v[4:5], 2, v[2:3]
	s_waitcnt lgkmcnt(0)
	s_add_u32 s2, s6, s11
	s_addc_u32 s6, s7, s9
	v_add_co_u32 v2, s2, s2, v0
	s_delay_alu instid0(VALU_DEP_1)
	v_add_co_ci_u32_e64 v3, null, s6, 0, s2
	v_add_co_u32 v4, vcc_lo, s4, v4
	v_add_co_ci_u32_e32 v5, vcc_lo, s5, v5, vcc_lo
	s_set_inst_prefetch_distance 0x1
	s_branch .LBB257_10
	.p2align	6
.LBB257_9:                              ;   in Loop: Header=BB257_10 Depth=1
	s_or_b32 exec_lo, exec_lo, s2
	s_add_u32 s20, s20, 1
	s_addc_u32 s21, s21, 0
	v_add_co_u32 v4, vcc_lo, v4, 4
	v_cmp_lt_i64_e64 s2, s[20:21], s[18:19]
	v_add_co_ci_u32_e32 v5, vcc_lo, 0, v5, vcc_lo
	s_delay_alu instid0(VALU_DEP_2)
	s_and_b32 vcc_lo, exec_lo, s2
	s_cbranch_vccz .LBB257_12
.LBB257_10:                             ; =>This Inner Loop Header: Depth=1
	v_add_co_u32 v9, s2, v8, s20
	s_delay_alu instid0(VALU_DEP_1) | instskip(SKIP_1) | instid1(VALU_DEP_1)
	v_add_co_ci_u32_e64 v10, null, 0, s21, s2
	s_mov_b32 s2, exec_lo
	v_cmpx_gt_i64_e64 s[18:19], v[9:10]
	s_cbranch_execz .LBB257_9
; %bb.11:                               ;   in Loop: Header=BB257_10 Depth=1
	global_load_b32 v9, v[4:5], off
	s_waitcnt vmcnt(0)
	v_subrev_nc_u32_e32 v11, s16, v9
	s_delay_alu instid0(VALU_DEP_1) | instskip(NEXT) | instid1(VALU_DEP_1)
	v_mad_u64_u32 v[9:10], null, v11, 18, v[1:2]
	v_ashrrev_i32_e32 v10, 31, v9
	v_add_co_u32 v9, vcc_lo, s0, v9
	s_delay_alu instid0(VALU_DEP_2)
	v_add_co_ci_u32_e32 v10, vcc_lo, s1, v10, vcc_lo
	global_load_i8 v11, v[2:3], off
	global_load_i8 v9, v[9:10], off
	v_add_co_u32 v2, vcc_lo, 0x144, v2
	v_add_co_ci_u32_e32 v3, vcc_lo, 0, v3, vcc_lo
	s_waitcnt vmcnt(1)
	v_cvt_f32_i32_e32 v10, v11
	s_waitcnt vmcnt(0)
	v_cvt_f32_i32_e32 v9, v9
	s_delay_alu instid0(VALU_DEP_1)
	v_fmac_f32_e32 v6, v10, v9
	s_branch .LBB257_9
.LBB257_12:
	s_set_inst_prefetch_distance 0x2
	v_lshlrev_b32_e32 v1, 2, v0
	s_and_b32 vcc_lo, exec_lo, s3
	ds_store_b32 v1, v6
	s_waitcnt lgkmcnt(0)
	s_barrier
	buffer_gl0_inv
	s_cbranch_vccz .LBB257_24
; %bb.13:
	v_cmp_gt_u16_e32 vcc_lo, 2, v7
	s_and_saveexec_b32 s0, vcc_lo
	s_cbranch_execz .LBB257_15
; %bb.14:
	ds_load_2addr_b32 v[2:3], v1 offset1:16
	s_waitcnt lgkmcnt(0)
	v_add_f32_e32 v2, v3, v2
	ds_store_b32 v1, v2
.LBB257_15:
	s_or_b32 exec_lo, exec_lo, s0
	s_delay_alu instid0(SALU_CYCLE_1)
	s_mov_b32 s1, exec_lo
	s_waitcnt lgkmcnt(0)
	s_barrier
	buffer_gl0_inv
	v_cmpx_gt_u16_e32 8, v7
	s_cbranch_execz .LBB257_17
; %bb.16:
	ds_load_2addr_b32 v[2:3], v1 offset1:8
	s_waitcnt lgkmcnt(0)
	v_add_f32_e32 v2, v3, v2
	ds_store_b32 v1, v2
.LBB257_17:
	s_or_b32 exec_lo, exec_lo, s1
	s_delay_alu instid0(SALU_CYCLE_1)
	s_mov_b32 s1, exec_lo
	s_waitcnt lgkmcnt(0)
	s_barrier
	buffer_gl0_inv
	v_cmpx_gt_u16_e32 4, v7
	s_cbranch_execz .LBB257_19
; %bb.18:
	ds_load_2addr_b32 v[2:3], v1 offset1:4
	s_waitcnt lgkmcnt(0)
	v_add_f32_e32 v2, v3, v2
	ds_store_b32 v1, v2
.LBB257_19:
	s_or_b32 exec_lo, exec_lo, s1
	s_waitcnt lgkmcnt(0)
	s_barrier
	buffer_gl0_inv
	s_and_saveexec_b32 s0, vcc_lo
	s_cbranch_execz .LBB257_21
; %bb.20:
	ds_load_2addr_b32 v[2:3], v1 offset1:2
	s_waitcnt lgkmcnt(0)
	v_add_f32_e32 v2, v3, v2
	ds_store_b32 v1, v2
.LBB257_21:
	s_or_b32 exec_lo, exec_lo, s0
	s_mov_b32 s0, 0
	s_mov_b32 s1, 0
	s_mov_b32 s2, exec_lo
	s_waitcnt lgkmcnt(0)
	s_barrier
	buffer_gl0_inv
                                        ; implicit-def: $vgpr2
                                        ; implicit-def: $vgpr3
	v_cmpx_gt_u32_e32 18, v0
	s_xor_b32 s2, exec_lo, s2
; %bb.22:
	v_mul_u32_u24_e32 v2, 18, v0
	v_mad_u32_u24 v3, 0x44, v0, v1
	s_mov_b32 s1, exec_lo
	s_delay_alu instid0(VALU_DEP_2)
	v_or_b32_e32 v2, 1, v2
; %bb.23:
	s_or_b32 exec_lo, exec_lo, s2
	s_delay_alu instid0(SALU_CYCLE_1)
	s_and_b32 vcc_lo, exec_lo, s0
	s_cbranch_vccnz .LBB257_25
	s_branch .LBB257_36
.LBB257_24:
	s_mov_b32 s1, 0
                                        ; implicit-def: $vgpr2
                                        ; implicit-def: $vgpr3
	s_cbranch_execz .LBB257_36
.LBB257_25:
	v_cmp_gt_u32_e32 vcc_lo, 36, v0
	s_and_saveexec_b32 s0, vcc_lo
	s_cbranch_execz .LBB257_27
; %bb.26:
	ds_load_b32 v2, v1 offset:1152
	ds_load_b32 v3, v1
	s_waitcnt lgkmcnt(0)
	v_add_f32_e32 v2, v2, v3
	ds_store_b32 v1, v2
.LBB257_27:
	s_or_b32 exec_lo, exec_lo, s0
	s_delay_alu instid0(SALU_CYCLE_1)
	s_mov_b32 s2, exec_lo
	s_waitcnt lgkmcnt(0)
	s_barrier
	buffer_gl0_inv
	v_cmpx_gt_u32_e32 0x90, v0
	s_cbranch_execz .LBB257_29
; %bb.28:
	ds_load_2addr_b32 v[2:3], v1 offset1:144
	s_waitcnt lgkmcnt(0)
	v_add_f32_e32 v2, v3, v2
	ds_store_b32 v1, v2
.LBB257_29:
	s_or_b32 exec_lo, exec_lo, s2
	s_delay_alu instid0(SALU_CYCLE_1)
	s_mov_b32 s2, exec_lo
	s_waitcnt lgkmcnt(0)
	s_barrier
	buffer_gl0_inv
	v_cmpx_gt_u32_e32 0x48, v0
	s_cbranch_execz .LBB257_31
; %bb.30:
	ds_load_2addr_b32 v[2:3], v1 offset1:72
	s_waitcnt lgkmcnt(0)
	v_add_f32_e32 v2, v3, v2
	ds_store_b32 v1, v2
.LBB257_31:
	s_or_b32 exec_lo, exec_lo, s2
	s_waitcnt lgkmcnt(0)
	s_barrier
	buffer_gl0_inv
	s_and_saveexec_b32 s0, vcc_lo
	s_cbranch_execz .LBB257_33
; %bb.32:
	ds_load_2addr_b32 v[2:3], v1 offset1:36
	s_waitcnt lgkmcnt(0)
	v_add_f32_e32 v2, v3, v2
	ds_store_b32 v1, v2
.LBB257_33:
	s_or_b32 exec_lo, exec_lo, s0
	s_delay_alu instid0(SALU_CYCLE_1)
	s_mov_b32 s0, exec_lo
	s_waitcnt lgkmcnt(0)
	buffer_gl0_inv
                                        ; implicit-def: $vgpr2
	v_cmpx_gt_u32_e32 18, v0
; %bb.34:
	v_add_nc_u32_e32 v2, 18, v0
	s_or_b32 s1, s1, exec_lo
                                        ; implicit-def: $vgpr6
; %bb.35:
	s_or_b32 exec_lo, exec_lo, s0
	v_mov_b32_e32 v3, v1
.LBB257_36:
	s_and_saveexec_b32 s0, s1
	s_cbranch_execz .LBB257_38
; %bb.37:
	v_lshlrev_b32_e32 v1, 2, v2
	ds_load_b32 v2, v3
	ds_load_b32 v1, v1
	s_waitcnt lgkmcnt(0)
	v_add_f32_e32 v6, v2, v1
.LBB257_38:
	s_or_b32 exec_lo, exec_lo, s0
	s_delay_alu instid0(SALU_CYCLE_1)
	s_mov_b32 s0, exec_lo
	v_cmpx_gt_u32_e32 18, v0
	s_cbranch_execz .LBB257_42
; %bb.39:
	v_cmp_eq_f32_e64 s0, s8, 0
	v_mul_f32_e32 v1, s12, v6
	s_delay_alu instid0(VALU_DEP_2)
	s_and_b32 vcc_lo, exec_lo, s0
	s_mov_b32 s0, 0
	s_cbranch_vccz .LBB257_43
; %bb.40:
	s_delay_alu instid0(VALU_DEP_1) | instskip(SKIP_1) | instid1(VALU_DEP_1)
	v_mad_u64_u32 v[2:3], null, s10, 18, v[0:1]
	v_mov_b32_e32 v3, 0
	v_lshlrev_b64 v[2:3], 2, v[2:3]
	s_delay_alu instid0(VALU_DEP_1) | instskip(NEXT) | instid1(VALU_DEP_2)
	v_add_co_u32 v2, vcc_lo, s14, v2
	v_add_co_ci_u32_e32 v3, vcc_lo, s15, v3, vcc_lo
	global_store_b32 v[2:3], v1, off
	s_and_not1_b32 vcc_lo, exec_lo, s0
	s_cbranch_vccnz .LBB257_42
.LBB257_41:
	v_mad_u64_u32 v[2:3], null, s10, 18, v[0:1]
	v_mov_b32_e32 v3, 0
	s_delay_alu instid0(VALU_DEP_1) | instskip(NEXT) | instid1(VALU_DEP_1)
	v_lshlrev_b64 v[2:3], 2, v[2:3]
	v_add_co_u32 v2, vcc_lo, s14, v2
	s_delay_alu instid0(VALU_DEP_2)
	v_add_co_ci_u32_e32 v3, vcc_lo, s15, v3, vcc_lo
	global_load_b32 v0, v[2:3], off
	s_waitcnt vmcnt(0)
	v_fmac_f32_e32 v1, s8, v0
	global_store_b32 v[2:3], v1, off
.LBB257_42:
	s_nop 0
	s_sendmsg sendmsg(MSG_DEALLOC_VGPRS)
	s_endpgm
.LBB257_43:
	s_branch .LBB257_41
	.section	.rodata,"a",@progbits
	.p2align	6, 0x0
	.amdhsa_kernel _ZN9rocsparseL20bsrxmvn_17_32_kernelILj18EfliaafEEvT2_20rocsparse_direction_NS_24const_host_device_scalarIT0_EES1_PKS1_PKT1_SA_S7_PKT3_PKT4_S5_PT5_21rocsparse_index_base_b
		.amdhsa_group_segment_fixed_size 1296
		.amdhsa_private_segment_fixed_size 0
		.amdhsa_kernarg_size 96
		.amdhsa_user_sgpr_count 15
		.amdhsa_user_sgpr_dispatch_ptr 0
		.amdhsa_user_sgpr_queue_ptr 0
		.amdhsa_user_sgpr_kernarg_segment_ptr 1
		.amdhsa_user_sgpr_dispatch_id 0
		.amdhsa_user_sgpr_private_segment_size 0
		.amdhsa_wavefront_size32 1
		.amdhsa_uses_dynamic_stack 0
		.amdhsa_enable_private_segment 0
		.amdhsa_system_sgpr_workgroup_id_x 1
		.amdhsa_system_sgpr_workgroup_id_y 0
		.amdhsa_system_sgpr_workgroup_id_z 0
		.amdhsa_system_sgpr_workgroup_info 0
		.amdhsa_system_vgpr_workitem_id 0
		.amdhsa_next_free_vgpr 12
		.amdhsa_next_free_sgpr 24
		.amdhsa_reserve_vcc 1
		.amdhsa_float_round_mode_32 0
		.amdhsa_float_round_mode_16_64 0
		.amdhsa_float_denorm_mode_32 3
		.amdhsa_float_denorm_mode_16_64 3
		.amdhsa_dx10_clamp 1
		.amdhsa_ieee_mode 1
		.amdhsa_fp16_overflow 0
		.amdhsa_workgroup_processor_mode 1
		.amdhsa_memory_ordered 1
		.amdhsa_forward_progress 0
		.amdhsa_shared_vgpr_count 0
		.amdhsa_exception_fp_ieee_invalid_op 0
		.amdhsa_exception_fp_denorm_src 0
		.amdhsa_exception_fp_ieee_div_zero 0
		.amdhsa_exception_fp_ieee_overflow 0
		.amdhsa_exception_fp_ieee_underflow 0
		.amdhsa_exception_fp_ieee_inexact 0
		.amdhsa_exception_int_div_zero 0
	.end_amdhsa_kernel
	.section	.text._ZN9rocsparseL20bsrxmvn_17_32_kernelILj18EfliaafEEvT2_20rocsparse_direction_NS_24const_host_device_scalarIT0_EES1_PKS1_PKT1_SA_S7_PKT3_PKT4_S5_PT5_21rocsparse_index_base_b,"axG",@progbits,_ZN9rocsparseL20bsrxmvn_17_32_kernelILj18EfliaafEEvT2_20rocsparse_direction_NS_24const_host_device_scalarIT0_EES1_PKS1_PKT1_SA_S7_PKT3_PKT4_S5_PT5_21rocsparse_index_base_b,comdat
.Lfunc_end257:
	.size	_ZN9rocsparseL20bsrxmvn_17_32_kernelILj18EfliaafEEvT2_20rocsparse_direction_NS_24const_host_device_scalarIT0_EES1_PKS1_PKT1_SA_S7_PKT3_PKT4_S5_PT5_21rocsparse_index_base_b, .Lfunc_end257-_ZN9rocsparseL20bsrxmvn_17_32_kernelILj18EfliaafEEvT2_20rocsparse_direction_NS_24const_host_device_scalarIT0_EES1_PKS1_PKT1_SA_S7_PKT3_PKT4_S5_PT5_21rocsparse_index_base_b
                                        ; -- End function
	.section	.AMDGPU.csdata,"",@progbits
; Kernel info:
; codeLenInByte = 1616
; NumSgprs: 26
; NumVgprs: 12
; ScratchSize: 0
; MemoryBound: 0
; FloatMode: 240
; IeeeMode: 1
; LDSByteSize: 1296 bytes/workgroup (compile time only)
; SGPRBlocks: 3
; VGPRBlocks: 1
; NumSGPRsForWavesPerEU: 26
; NumVGPRsForWavesPerEU: 12
; Occupancy: 14
; WaveLimiterHint : 1
; COMPUTE_PGM_RSRC2:SCRATCH_EN: 0
; COMPUTE_PGM_RSRC2:USER_SGPR: 15
; COMPUTE_PGM_RSRC2:TRAP_HANDLER: 0
; COMPUTE_PGM_RSRC2:TGID_X_EN: 1
; COMPUTE_PGM_RSRC2:TGID_Y_EN: 0
; COMPUTE_PGM_RSRC2:TGID_Z_EN: 0
; COMPUTE_PGM_RSRC2:TIDIG_COMP_CNT: 0
	.section	.text._ZN9rocsparseL20bsrxmvn_17_32_kernelILj19EfliaafEEvT2_20rocsparse_direction_NS_24const_host_device_scalarIT0_EES1_PKS1_PKT1_SA_S7_PKT3_PKT4_S5_PT5_21rocsparse_index_base_b,"axG",@progbits,_ZN9rocsparseL20bsrxmvn_17_32_kernelILj19EfliaafEEvT2_20rocsparse_direction_NS_24const_host_device_scalarIT0_EES1_PKS1_PKT1_SA_S7_PKT3_PKT4_S5_PT5_21rocsparse_index_base_b,comdat
	.globl	_ZN9rocsparseL20bsrxmvn_17_32_kernelILj19EfliaafEEvT2_20rocsparse_direction_NS_24const_host_device_scalarIT0_EES1_PKS1_PKT1_SA_S7_PKT3_PKT4_S5_PT5_21rocsparse_index_base_b ; -- Begin function _ZN9rocsparseL20bsrxmvn_17_32_kernelILj19EfliaafEEvT2_20rocsparse_direction_NS_24const_host_device_scalarIT0_EES1_PKS1_PKT1_SA_S7_PKT3_PKT4_S5_PT5_21rocsparse_index_base_b
	.p2align	8
	.type	_ZN9rocsparseL20bsrxmvn_17_32_kernelILj19EfliaafEEvT2_20rocsparse_direction_NS_24const_host_device_scalarIT0_EES1_PKS1_PKT1_SA_S7_PKT3_PKT4_S5_PT5_21rocsparse_index_base_b,@function
_ZN9rocsparseL20bsrxmvn_17_32_kernelILj19EfliaafEEvT2_20rocsparse_direction_NS_24const_host_device_scalarIT0_EES1_PKS1_PKT1_SA_S7_PKT3_PKT4_S5_PT5_21rocsparse_index_base_b: ; @_ZN9rocsparseL20bsrxmvn_17_32_kernelILj19EfliaafEEvT2_20rocsparse_direction_NS_24const_host_device_scalarIT0_EES1_PKS1_PKT1_SA_S7_PKT3_PKT4_S5_PT5_21rocsparse_index_base_b
; %bb.0:
	s_clause 0x2
	s_load_b64 s[16:17], s[0:1], 0x58
	s_load_b64 s[12:13], s[0:1], 0x8
	s_load_b64 s[8:9], s[0:1], 0x48
	s_mov_b32 s10, s15
	s_waitcnt lgkmcnt(0)
	s_bitcmp1_b32 s17, 0
	s_cselect_b32 s2, -1, 0
	s_delay_alu instid0(SALU_CYCLE_1)
	s_and_b32 vcc_lo, exec_lo, s2
	s_xor_b32 s2, s2, -1
	s_cbranch_vccnz .LBB258_2
; %bb.1:
	s_load_b32 s12, s[12:13], 0x0
.LBB258_2:
	s_and_not1_b32 vcc_lo, exec_lo, s2
	s_cbranch_vccnz .LBB258_4
; %bb.3:
	s_load_b32 s8, s[8:9], 0x0
.LBB258_4:
	s_waitcnt lgkmcnt(0)
	v_cmp_neq_f32_e64 s2, s12, 0
	v_cmp_neq_f32_e64 s3, s8, 1.0
	s_delay_alu instid0(VALU_DEP_1) | instskip(NEXT) | instid1(SALU_CYCLE_1)
	s_or_b32 s2, s2, s3
	s_and_not1_b32 vcc_lo, exec_lo, s2
	s_cbranch_vccnz .LBB258_42
; %bb.5:
	s_clause 0x1
	s_load_b128 s[4:7], s[0:1], 0x18
	s_load_b64 s[14:15], s[0:1], 0x28
	s_waitcnt lgkmcnt(0)
	s_cmp_eq_u64 s[4:5], 0
	s_cbranch_scc1 .LBB258_7
; %bb.6:
	s_ashr_i32 s11, s10, 31
	s_delay_alu instid0(SALU_CYCLE_1) | instskip(NEXT) | instid1(SALU_CYCLE_1)
	s_lshl_b64 s[2:3], s[10:11], 2
	s_add_u32 s2, s4, s2
	s_addc_u32 s3, s5, s3
	s_load_b32 s2, s[2:3], 0x0
	s_waitcnt lgkmcnt(0)
	s_sub_i32 s10, s2, s16
.LBB258_7:
	s_load_b32 s3, s[0:1], 0x4
	v_mul_u32_u24_e32 v1, 0xd7a, v0
	v_mov_b32_e32 v6, 0
	s_delay_alu instid0(VALU_DEP_2) | instskip(NEXT) | instid1(VALU_DEP_1)
	v_lshrrev_b32_e32 v1, 16, v1
	v_mul_lo_u16 v2, v1, 19
	s_delay_alu instid0(VALU_DEP_1)
	v_sub_nc_u16 v7, v0, v2
	s_waitcnt lgkmcnt(0)
	s_cmp_eq_u32 s3, 1
	s_cselect_b32 s2, -1, 0
	s_cmp_lg_u32 s3, 1
	s_cselect_b32 s3, -1, 0
	s_ashr_i32 s11, s10, 31
	s_delay_alu instid0(SALU_CYCLE_1) | instskip(NEXT) | instid1(SALU_CYCLE_1)
	s_lshl_b64 s[4:5], s[10:11], 3
	s_add_u32 s6, s6, s4
	s_addc_u32 s7, s7, s5
	s_add_u32 s9, s6, 8
	s_addc_u32 s11, s7, 0
	;; [unrolled: 2-line block ×3, first 2 shown]
	s_cmp_eq_u64 s[14:15], 0
	s_load_b64 s[14:15], s[0:1], 0x50
	s_cselect_b32 s5, s11, s5
	s_cselect_b32 s4, s9, s4
	s_load_b64 s[22:23], s[6:7], 0x0
	s_load_b64 s[18:19], s[4:5], 0x0
	s_waitcnt lgkmcnt(0)
	v_cmp_ge_i64_e64 s4, s[22:23], s[18:19]
	s_delay_alu instid0(VALU_DEP_1)
	s_and_b32 vcc_lo, exec_lo, s4
	s_cbranch_vccnz .LBB258_12
; %bb.8:
	v_mul_lo_u16 v2, v1, 14
	v_dual_mov_b32 v6, 0 :: v_dual_and_b32 v3, 0xffff, v0
	s_clause 0x1
	s_load_b128 s[4:7], s[0:1], 0x30
	s_load_b64 s[0:1], s[0:1], 0x40
	v_and_b32_e32 v4, 0xffff, v7
	v_lshrrev_b16 v2, 8, v2
	v_mul_u32_u24_e32 v3, 0xb6, v3
	s_sub_u32 s18, s18, s16
	s_subb_u32 s19, s19, 0
	s_sub_u32 s20, s22, s16
	v_mul_lo_u16 v2, v2, 19
	v_lshrrev_b32_e32 v8, 16, v3
	s_subb_u32 s21, s23, 0
	s_mul_hi_u32 s9, s20, 0x169
	s_mul_i32 s13, s21, 0x169
	v_sub_nc_u16 v1, v1, v2
	v_add_co_u32 v2, s17, s22, v8
	s_delay_alu instid0(VALU_DEP_1) | instskip(NEXT) | instid1(VALU_DEP_3)
	v_add_co_ci_u32_e64 v3, null, s23, 0, s17
	v_and_b32_e32 v1, 0xff, v1
	s_delay_alu instid0(VALU_DEP_3) | instskip(NEXT) | instid1(VALU_DEP_3)
	v_sub_co_u32 v2, vcc_lo, v2, s16
	v_subrev_co_ci_u32_e32 v3, vcc_lo, 0, v3, vcc_lo
	s_delay_alu instid0(VALU_DEP_3) | instskip(SKIP_2) | instid1(VALU_DEP_2)
	v_cndmask_b32_e64 v1, v4, v1, s2
	s_mul_i32 s11, s20, 0x169
	s_add_i32 s9, s9, s13
	v_lshlrev_b64 v[4:5], 2, v[2:3]
	s_waitcnt lgkmcnt(0)
	s_add_u32 s2, s6, s11
	s_addc_u32 s6, s7, s9
	v_add_co_u32 v2, s2, s2, v0
	s_delay_alu instid0(VALU_DEP_1)
	v_add_co_ci_u32_e64 v3, null, s6, 0, s2
	v_add_co_u32 v4, vcc_lo, s4, v4
	v_add_co_ci_u32_e32 v5, vcc_lo, s5, v5, vcc_lo
	s_set_inst_prefetch_distance 0x1
	s_branch .LBB258_10
	.p2align	6
.LBB258_9:                              ;   in Loop: Header=BB258_10 Depth=1
	s_or_b32 exec_lo, exec_lo, s2
	s_add_u32 s20, s20, 1
	s_addc_u32 s21, s21, 0
	v_add_co_u32 v4, vcc_lo, v4, 4
	v_cmp_lt_i64_e64 s2, s[20:21], s[18:19]
	v_add_co_ci_u32_e32 v5, vcc_lo, 0, v5, vcc_lo
	s_delay_alu instid0(VALU_DEP_2)
	s_and_b32 vcc_lo, exec_lo, s2
	s_cbranch_vccz .LBB258_12
.LBB258_10:                             ; =>This Inner Loop Header: Depth=1
	v_add_co_u32 v9, s2, v8, s20
	s_delay_alu instid0(VALU_DEP_1) | instskip(SKIP_1) | instid1(VALU_DEP_1)
	v_add_co_ci_u32_e64 v10, null, 0, s21, s2
	s_mov_b32 s2, exec_lo
	v_cmpx_gt_i64_e64 s[18:19], v[9:10]
	s_cbranch_execz .LBB258_9
; %bb.11:                               ;   in Loop: Header=BB258_10 Depth=1
	global_load_b32 v9, v[4:5], off
	s_waitcnt vmcnt(0)
	v_subrev_nc_u32_e32 v11, s16, v9
	s_delay_alu instid0(VALU_DEP_1) | instskip(NEXT) | instid1(VALU_DEP_1)
	v_mad_u64_u32 v[9:10], null, v11, 19, v[1:2]
	v_ashrrev_i32_e32 v10, 31, v9
	v_add_co_u32 v9, vcc_lo, s0, v9
	s_delay_alu instid0(VALU_DEP_2)
	v_add_co_ci_u32_e32 v10, vcc_lo, s1, v10, vcc_lo
	global_load_i8 v11, v[2:3], off
	global_load_i8 v9, v[9:10], off
	v_add_co_u32 v2, vcc_lo, 0x169, v2
	v_add_co_ci_u32_e32 v3, vcc_lo, 0, v3, vcc_lo
	s_waitcnt vmcnt(1)
	v_cvt_f32_i32_e32 v10, v11
	s_waitcnt vmcnt(0)
	v_cvt_f32_i32_e32 v9, v9
	s_delay_alu instid0(VALU_DEP_1)
	v_fmac_f32_e32 v6, v10, v9
	s_branch .LBB258_9
.LBB258_12:
	s_set_inst_prefetch_distance 0x2
	v_lshlrev_b32_e32 v1, 2, v0
	s_and_b32 vcc_lo, exec_lo, s3
	ds_store_b32 v1, v6
	s_waitcnt lgkmcnt(0)
	s_barrier
	buffer_gl0_inv
	s_cbranch_vccz .LBB258_24
; %bb.13:
	s_mov_b32 s0, exec_lo
	v_cmpx_gt_u16_e32 3, v7
	s_cbranch_execz .LBB258_15
; %bb.14:
	ds_load_2addr_b32 v[2:3], v1 offset1:16
	s_waitcnt lgkmcnt(0)
	v_add_f32_e32 v2, v3, v2
	ds_store_b32 v1, v2
.LBB258_15:
	s_or_b32 exec_lo, exec_lo, s0
	s_delay_alu instid0(SALU_CYCLE_1)
	s_mov_b32 s0, exec_lo
	s_waitcnt lgkmcnt(0)
	s_barrier
	buffer_gl0_inv
	v_cmpx_gt_u16_e32 8, v7
	s_cbranch_execz .LBB258_17
; %bb.16:
	ds_load_2addr_b32 v[2:3], v1 offset1:8
	s_waitcnt lgkmcnt(0)
	v_add_f32_e32 v2, v3, v2
	ds_store_b32 v1, v2
.LBB258_17:
	s_or_b32 exec_lo, exec_lo, s0
	s_delay_alu instid0(SALU_CYCLE_1)
	s_mov_b32 s0, exec_lo
	s_waitcnt lgkmcnt(0)
	s_barrier
	buffer_gl0_inv
	;; [unrolled: 14-line block ×3, first 2 shown]
	v_cmpx_gt_u16_e32 2, v7
	s_cbranch_execz .LBB258_21
; %bb.20:
	ds_load_2addr_b32 v[2:3], v1 offset1:2
	s_waitcnt lgkmcnt(0)
	v_add_f32_e32 v2, v3, v2
	ds_store_b32 v1, v2
.LBB258_21:
	s_or_b32 exec_lo, exec_lo, s0
	s_mov_b32 s1, 0
	s_mov_b32 s0, 0
	s_mov_b32 s2, exec_lo
	s_waitcnt lgkmcnt(0)
	s_barrier
	buffer_gl0_inv
                                        ; implicit-def: $vgpr2
                                        ; implicit-def: $vgpr3
	v_cmpx_gt_u32_e32 19, v0
	s_xor_b32 s2, exec_lo, s2
; %bb.22:
	v_mad_u32_u24 v2, v0, 19, 1
	v_mad_u32_u24 v3, 0x48, v0, v1
	s_mov_b32 s0, exec_lo
; %bb.23:
	s_or_b32 exec_lo, exec_lo, s2
	s_delay_alu instid0(SALU_CYCLE_1)
	s_and_b32 vcc_lo, exec_lo, s1
	s_cbranch_vccnz .LBB258_25
	s_branch .LBB258_36
.LBB258_24:
	s_mov_b32 s0, 0
                                        ; implicit-def: $vgpr2
                                        ; implicit-def: $vgpr3
	s_cbranch_execz .LBB258_36
.LBB258_25:
	s_mov_b32 s1, exec_lo
	v_cmpx_gt_u32_e32 57, v0
	s_cbranch_execz .LBB258_27
; %bb.26:
	ds_load_b32 v2, v1 offset:1216
	ds_load_b32 v3, v1
	s_waitcnt lgkmcnt(0)
	v_add_f32_e32 v2, v2, v3
	ds_store_b32 v1, v2
.LBB258_27:
	s_or_b32 exec_lo, exec_lo, s1
	s_delay_alu instid0(SALU_CYCLE_1)
	s_mov_b32 s1, exec_lo
	s_waitcnt lgkmcnt(0)
	s_barrier
	buffer_gl0_inv
	v_cmpx_gt_u32_e32 0x98, v0
	s_cbranch_execz .LBB258_29
; %bb.28:
	ds_load_2addr_b32 v[2:3], v1 offset1:152
	s_waitcnt lgkmcnt(0)
	v_add_f32_e32 v2, v3, v2
	ds_store_b32 v1, v2
.LBB258_29:
	s_or_b32 exec_lo, exec_lo, s1
	s_delay_alu instid0(SALU_CYCLE_1)
	s_mov_b32 s1, exec_lo
	s_waitcnt lgkmcnt(0)
	s_barrier
	buffer_gl0_inv
	v_cmpx_gt_u32_e32 0x4c, v0
	s_cbranch_execz .LBB258_31
; %bb.30:
	ds_load_2addr_b32 v[2:3], v1 offset1:76
	s_waitcnt lgkmcnt(0)
	v_add_f32_e32 v2, v3, v2
	ds_store_b32 v1, v2
.LBB258_31:
	;; [unrolled: 14-line block ×3, first 2 shown]
	s_or_b32 exec_lo, exec_lo, s1
	s_delay_alu instid0(SALU_CYCLE_1)
	s_mov_b32 s1, exec_lo
	s_waitcnt lgkmcnt(0)
	buffer_gl0_inv
                                        ; implicit-def: $vgpr2
	v_cmpx_gt_u32_e32 19, v0
; %bb.34:
	v_add_nc_u32_e32 v2, 19, v0
	s_or_b32 s0, s0, exec_lo
                                        ; implicit-def: $vgpr6
; %bb.35:
	s_or_b32 exec_lo, exec_lo, s1
	v_mov_b32_e32 v3, v1
.LBB258_36:
	s_and_saveexec_b32 s1, s0
	s_cbranch_execz .LBB258_38
; %bb.37:
	v_lshlrev_b32_e32 v1, 2, v2
	ds_load_b32 v2, v3
	ds_load_b32 v1, v1
	s_waitcnt lgkmcnt(0)
	v_add_f32_e32 v6, v2, v1
.LBB258_38:
	s_or_b32 exec_lo, exec_lo, s1
	s_delay_alu instid0(SALU_CYCLE_1)
	s_mov_b32 s0, exec_lo
	v_cmpx_gt_u32_e32 19, v0
	s_cbranch_execz .LBB258_42
; %bb.39:
	v_cmp_eq_f32_e64 s0, s8, 0
	v_mul_f32_e32 v1, s12, v6
	s_delay_alu instid0(VALU_DEP_2)
	s_and_b32 vcc_lo, exec_lo, s0
	s_mov_b32 s0, 0
	s_cbranch_vccz .LBB258_43
; %bb.40:
	s_delay_alu instid0(VALU_DEP_1) | instskip(SKIP_1) | instid1(VALU_DEP_1)
	v_mad_u64_u32 v[2:3], null, s10, 19, v[0:1]
	v_mov_b32_e32 v3, 0
	v_lshlrev_b64 v[2:3], 2, v[2:3]
	s_delay_alu instid0(VALU_DEP_1) | instskip(NEXT) | instid1(VALU_DEP_2)
	v_add_co_u32 v2, vcc_lo, s14, v2
	v_add_co_ci_u32_e32 v3, vcc_lo, s15, v3, vcc_lo
	global_store_b32 v[2:3], v1, off
	s_and_not1_b32 vcc_lo, exec_lo, s0
	s_cbranch_vccnz .LBB258_42
.LBB258_41:
	v_mad_u64_u32 v[2:3], null, s10, 19, v[0:1]
	v_mov_b32_e32 v3, 0
	s_delay_alu instid0(VALU_DEP_1) | instskip(NEXT) | instid1(VALU_DEP_1)
	v_lshlrev_b64 v[2:3], 2, v[2:3]
	v_add_co_u32 v2, vcc_lo, s14, v2
	s_delay_alu instid0(VALU_DEP_2)
	v_add_co_ci_u32_e32 v3, vcc_lo, s15, v3, vcc_lo
	global_load_b32 v0, v[2:3], off
	s_waitcnt vmcnt(0)
	v_fmac_f32_e32 v1, s8, v0
	global_store_b32 v[2:3], v1, off
.LBB258_42:
	s_nop 0
	s_sendmsg sendmsg(MSG_DEALLOC_VGPRS)
	s_endpgm
.LBB258_43:
	s_branch .LBB258_41
	.section	.rodata,"a",@progbits
	.p2align	6, 0x0
	.amdhsa_kernel _ZN9rocsparseL20bsrxmvn_17_32_kernelILj19EfliaafEEvT2_20rocsparse_direction_NS_24const_host_device_scalarIT0_EES1_PKS1_PKT1_SA_S7_PKT3_PKT4_S5_PT5_21rocsparse_index_base_b
		.amdhsa_group_segment_fixed_size 1444
		.amdhsa_private_segment_fixed_size 0
		.amdhsa_kernarg_size 96
		.amdhsa_user_sgpr_count 15
		.amdhsa_user_sgpr_dispatch_ptr 0
		.amdhsa_user_sgpr_queue_ptr 0
		.amdhsa_user_sgpr_kernarg_segment_ptr 1
		.amdhsa_user_sgpr_dispatch_id 0
		.amdhsa_user_sgpr_private_segment_size 0
		.amdhsa_wavefront_size32 1
		.amdhsa_uses_dynamic_stack 0
		.amdhsa_enable_private_segment 0
		.amdhsa_system_sgpr_workgroup_id_x 1
		.amdhsa_system_sgpr_workgroup_id_y 0
		.amdhsa_system_sgpr_workgroup_id_z 0
		.amdhsa_system_sgpr_workgroup_info 0
		.amdhsa_system_vgpr_workitem_id 0
		.amdhsa_next_free_vgpr 12
		.amdhsa_next_free_sgpr 24
		.amdhsa_reserve_vcc 1
		.amdhsa_float_round_mode_32 0
		.amdhsa_float_round_mode_16_64 0
		.amdhsa_float_denorm_mode_32 3
		.amdhsa_float_denorm_mode_16_64 3
		.amdhsa_dx10_clamp 1
		.amdhsa_ieee_mode 1
		.amdhsa_fp16_overflow 0
		.amdhsa_workgroup_processor_mode 1
		.amdhsa_memory_ordered 1
		.amdhsa_forward_progress 0
		.amdhsa_shared_vgpr_count 0
		.amdhsa_exception_fp_ieee_invalid_op 0
		.amdhsa_exception_fp_denorm_src 0
		.amdhsa_exception_fp_ieee_div_zero 0
		.amdhsa_exception_fp_ieee_overflow 0
		.amdhsa_exception_fp_ieee_underflow 0
		.amdhsa_exception_fp_ieee_inexact 0
		.amdhsa_exception_int_div_zero 0
	.end_amdhsa_kernel
	.section	.text._ZN9rocsparseL20bsrxmvn_17_32_kernelILj19EfliaafEEvT2_20rocsparse_direction_NS_24const_host_device_scalarIT0_EES1_PKS1_PKT1_SA_S7_PKT3_PKT4_S5_PT5_21rocsparse_index_base_b,"axG",@progbits,_ZN9rocsparseL20bsrxmvn_17_32_kernelILj19EfliaafEEvT2_20rocsparse_direction_NS_24const_host_device_scalarIT0_EES1_PKS1_PKT1_SA_S7_PKT3_PKT4_S5_PT5_21rocsparse_index_base_b,comdat
.Lfunc_end258:
	.size	_ZN9rocsparseL20bsrxmvn_17_32_kernelILj19EfliaafEEvT2_20rocsparse_direction_NS_24const_host_device_scalarIT0_EES1_PKS1_PKT1_SA_S7_PKT3_PKT4_S5_PT5_21rocsparse_index_base_b, .Lfunc_end258-_ZN9rocsparseL20bsrxmvn_17_32_kernelILj19EfliaafEEvT2_20rocsparse_direction_NS_24const_host_device_scalarIT0_EES1_PKS1_PKT1_SA_S7_PKT3_PKT4_S5_PT5_21rocsparse_index_base_b
                                        ; -- End function
	.section	.AMDGPU.csdata,"",@progbits
; Kernel info:
; codeLenInByte = 1628
; NumSgprs: 26
; NumVgprs: 12
; ScratchSize: 0
; MemoryBound: 0
; FloatMode: 240
; IeeeMode: 1
; LDSByteSize: 1444 bytes/workgroup (compile time only)
; SGPRBlocks: 3
; VGPRBlocks: 1
; NumSGPRsForWavesPerEU: 26
; NumVGPRsForWavesPerEU: 12
; Occupancy: 15
; WaveLimiterHint : 1
; COMPUTE_PGM_RSRC2:SCRATCH_EN: 0
; COMPUTE_PGM_RSRC2:USER_SGPR: 15
; COMPUTE_PGM_RSRC2:TRAP_HANDLER: 0
; COMPUTE_PGM_RSRC2:TGID_X_EN: 1
; COMPUTE_PGM_RSRC2:TGID_Y_EN: 0
; COMPUTE_PGM_RSRC2:TGID_Z_EN: 0
; COMPUTE_PGM_RSRC2:TIDIG_COMP_CNT: 0
	.section	.text._ZN9rocsparseL20bsrxmvn_17_32_kernelILj20EfliaafEEvT2_20rocsparse_direction_NS_24const_host_device_scalarIT0_EES1_PKS1_PKT1_SA_S7_PKT3_PKT4_S5_PT5_21rocsparse_index_base_b,"axG",@progbits,_ZN9rocsparseL20bsrxmvn_17_32_kernelILj20EfliaafEEvT2_20rocsparse_direction_NS_24const_host_device_scalarIT0_EES1_PKS1_PKT1_SA_S7_PKT3_PKT4_S5_PT5_21rocsparse_index_base_b,comdat
	.globl	_ZN9rocsparseL20bsrxmvn_17_32_kernelILj20EfliaafEEvT2_20rocsparse_direction_NS_24const_host_device_scalarIT0_EES1_PKS1_PKT1_SA_S7_PKT3_PKT4_S5_PT5_21rocsparse_index_base_b ; -- Begin function _ZN9rocsparseL20bsrxmvn_17_32_kernelILj20EfliaafEEvT2_20rocsparse_direction_NS_24const_host_device_scalarIT0_EES1_PKS1_PKT1_SA_S7_PKT3_PKT4_S5_PT5_21rocsparse_index_base_b
	.p2align	8
	.type	_ZN9rocsparseL20bsrxmvn_17_32_kernelILj20EfliaafEEvT2_20rocsparse_direction_NS_24const_host_device_scalarIT0_EES1_PKS1_PKT1_SA_S7_PKT3_PKT4_S5_PT5_21rocsparse_index_base_b,@function
_ZN9rocsparseL20bsrxmvn_17_32_kernelILj20EfliaafEEvT2_20rocsparse_direction_NS_24const_host_device_scalarIT0_EES1_PKS1_PKT1_SA_S7_PKT3_PKT4_S5_PT5_21rocsparse_index_base_b: ; @_ZN9rocsparseL20bsrxmvn_17_32_kernelILj20EfliaafEEvT2_20rocsparse_direction_NS_24const_host_device_scalarIT0_EES1_PKS1_PKT1_SA_S7_PKT3_PKT4_S5_PT5_21rocsparse_index_base_b
; %bb.0:
	s_clause 0x2
	s_load_b64 s[16:17], s[0:1], 0x58
	s_load_b64 s[12:13], s[0:1], 0x8
	;; [unrolled: 1-line block ×3, first 2 shown]
	s_mov_b32 s10, s15
	s_waitcnt lgkmcnt(0)
	s_bitcmp1_b32 s17, 0
	s_cselect_b32 s2, -1, 0
	s_delay_alu instid0(SALU_CYCLE_1)
	s_and_b32 vcc_lo, exec_lo, s2
	s_xor_b32 s2, s2, -1
	s_cbranch_vccnz .LBB259_2
; %bb.1:
	s_load_b32 s12, s[12:13], 0x0
.LBB259_2:
	s_and_not1_b32 vcc_lo, exec_lo, s2
	s_cbranch_vccnz .LBB259_4
; %bb.3:
	s_load_b32 s8, s[8:9], 0x0
.LBB259_4:
	s_waitcnt lgkmcnt(0)
	v_cmp_neq_f32_e64 s2, s12, 0
	v_cmp_neq_f32_e64 s3, s8, 1.0
	s_delay_alu instid0(VALU_DEP_1) | instskip(NEXT) | instid1(SALU_CYCLE_1)
	s_or_b32 s2, s2, s3
	s_and_not1_b32 vcc_lo, exec_lo, s2
	s_cbranch_vccnz .LBB259_42
; %bb.5:
	s_clause 0x1
	s_load_b128 s[4:7], s[0:1], 0x18
	s_load_b64 s[14:15], s[0:1], 0x28
	s_waitcnt lgkmcnt(0)
	s_cmp_eq_u64 s[4:5], 0
	s_cbranch_scc1 .LBB259_7
; %bb.6:
	s_ashr_i32 s11, s10, 31
	s_delay_alu instid0(SALU_CYCLE_1) | instskip(NEXT) | instid1(SALU_CYCLE_1)
	s_lshl_b64 s[2:3], s[10:11], 2
	s_add_u32 s2, s4, s2
	s_addc_u32 s3, s5, s3
	s_load_b32 s2, s[2:3], 0x0
	s_waitcnt lgkmcnt(0)
	s_sub_i32 s10, s2, s16
.LBB259_7:
	s_load_b32 s3, s[0:1], 0x4
	v_mul_u32_u24_e32 v1, 0xccd, v0
	v_mov_b32_e32 v6, 0
	s_delay_alu instid0(VALU_DEP_2) | instskip(NEXT) | instid1(VALU_DEP_1)
	v_lshrrev_b32_e32 v1, 16, v1
	v_mul_lo_u16 v2, v1, 20
	s_delay_alu instid0(VALU_DEP_1)
	v_sub_nc_u16 v7, v0, v2
	s_waitcnt lgkmcnt(0)
	s_cmp_eq_u32 s3, 1
	s_cselect_b32 s2, -1, 0
	s_cmp_lg_u32 s3, 1
	s_cselect_b32 s3, -1, 0
	s_ashr_i32 s11, s10, 31
	s_delay_alu instid0(SALU_CYCLE_1) | instskip(NEXT) | instid1(SALU_CYCLE_1)
	s_lshl_b64 s[4:5], s[10:11], 3
	s_add_u32 s6, s6, s4
	s_addc_u32 s7, s7, s5
	s_add_u32 s9, s6, 8
	s_addc_u32 s11, s7, 0
	;; [unrolled: 2-line block ×3, first 2 shown]
	s_cmp_eq_u64 s[14:15], 0
	s_load_b64 s[14:15], s[0:1], 0x50
	s_cselect_b32 s5, s11, s5
	s_cselect_b32 s4, s9, s4
	s_load_b64 s[22:23], s[6:7], 0x0
	s_load_b64 s[18:19], s[4:5], 0x0
	s_waitcnt lgkmcnt(0)
	v_cmp_ge_i64_e64 s4, s[22:23], s[18:19]
	s_delay_alu instid0(VALU_DEP_1)
	s_and_b32 vcc_lo, exec_lo, s4
	s_cbranch_vccnz .LBB259_12
; %bb.8:
	v_mul_lo_u16 v2, v1, 13
	v_dual_mov_b32 v6, 0 :: v_dual_and_b32 v3, 0xffff, v0
	s_clause 0x1
	s_load_b128 s[4:7], s[0:1], 0x30
	s_load_b64 s[0:1], s[0:1], 0x40
	v_and_b32_e32 v4, 0xffff, v7
	v_lshrrev_b16 v2, 8, v2
	v_mul_u32_u24_e32 v3, 0xa4, v3
	s_sub_u32 s18, s18, s16
	s_subb_u32 s19, s19, 0
	s_sub_u32 s20, s22, s16
	v_mul_lo_u16 v2, v2, 20
	v_lshrrev_b32_e32 v8, 16, v3
	s_subb_u32 s21, s23, 0
	s_mul_hi_u32 s9, s20, 0x190
	s_mul_i32 s13, s21, 0x190
	v_sub_nc_u16 v1, v1, v2
	v_add_co_u32 v2, s17, s22, v8
	s_delay_alu instid0(VALU_DEP_1) | instskip(NEXT) | instid1(VALU_DEP_3)
	v_add_co_ci_u32_e64 v3, null, s23, 0, s17
	v_and_b32_e32 v1, 0xff, v1
	s_delay_alu instid0(VALU_DEP_3) | instskip(NEXT) | instid1(VALU_DEP_3)
	v_sub_co_u32 v2, vcc_lo, v2, s16
	v_subrev_co_ci_u32_e32 v3, vcc_lo, 0, v3, vcc_lo
	s_delay_alu instid0(VALU_DEP_3) | instskip(SKIP_2) | instid1(VALU_DEP_2)
	v_cndmask_b32_e64 v1, v4, v1, s2
	s_mul_i32 s11, s20, 0x190
	s_add_i32 s9, s9, s13
	v_lshlrev_b64 v[4:5], 2, v[2:3]
	s_waitcnt lgkmcnt(0)
	s_add_u32 s2, s6, s11
	s_addc_u32 s6, s7, s9
	v_add_co_u32 v2, s2, s2, v0
	s_delay_alu instid0(VALU_DEP_1)
	v_add_co_ci_u32_e64 v3, null, s6, 0, s2
	v_add_co_u32 v4, vcc_lo, s4, v4
	v_add_co_ci_u32_e32 v5, vcc_lo, s5, v5, vcc_lo
	s_set_inst_prefetch_distance 0x1
	s_branch .LBB259_10
	.p2align	6
.LBB259_9:                              ;   in Loop: Header=BB259_10 Depth=1
	s_or_b32 exec_lo, exec_lo, s2
	s_add_u32 s20, s20, 1
	s_addc_u32 s21, s21, 0
	v_add_co_u32 v4, vcc_lo, v4, 4
	v_cmp_lt_i64_e64 s2, s[20:21], s[18:19]
	v_add_co_ci_u32_e32 v5, vcc_lo, 0, v5, vcc_lo
	s_delay_alu instid0(VALU_DEP_2)
	s_and_b32 vcc_lo, exec_lo, s2
	s_cbranch_vccz .LBB259_12
.LBB259_10:                             ; =>This Inner Loop Header: Depth=1
	v_add_co_u32 v9, s2, v8, s20
	s_delay_alu instid0(VALU_DEP_1) | instskip(SKIP_1) | instid1(VALU_DEP_1)
	v_add_co_ci_u32_e64 v10, null, 0, s21, s2
	s_mov_b32 s2, exec_lo
	v_cmpx_gt_i64_e64 s[18:19], v[9:10]
	s_cbranch_execz .LBB259_9
; %bb.11:                               ;   in Loop: Header=BB259_10 Depth=1
	global_load_b32 v9, v[4:5], off
	s_waitcnt vmcnt(0)
	v_subrev_nc_u32_e32 v11, s16, v9
	s_delay_alu instid0(VALU_DEP_1) | instskip(NEXT) | instid1(VALU_DEP_1)
	v_mad_u64_u32 v[9:10], null, v11, 20, v[1:2]
	v_ashrrev_i32_e32 v10, 31, v9
	v_add_co_u32 v9, vcc_lo, s0, v9
	s_delay_alu instid0(VALU_DEP_2)
	v_add_co_ci_u32_e32 v10, vcc_lo, s1, v10, vcc_lo
	global_load_i8 v11, v[2:3], off
	global_load_i8 v9, v[9:10], off
	v_add_co_u32 v2, vcc_lo, 0x190, v2
	v_add_co_ci_u32_e32 v3, vcc_lo, 0, v3, vcc_lo
	s_waitcnt vmcnt(1)
	v_cvt_f32_i32_e32 v10, v11
	s_waitcnt vmcnt(0)
	v_cvt_f32_i32_e32 v9, v9
	s_delay_alu instid0(VALU_DEP_1)
	v_fmac_f32_e32 v6, v10, v9
	s_branch .LBB259_9
.LBB259_12:
	s_set_inst_prefetch_distance 0x2
	v_lshlrev_b32_e32 v1, 2, v0
	s_and_b32 vcc_lo, exec_lo, s3
	ds_store_b32 v1, v6
	s_waitcnt lgkmcnt(0)
	s_barrier
	buffer_gl0_inv
	s_cbranch_vccz .LBB259_24
; %bb.13:
	v_cmp_gt_u16_e32 vcc_lo, 4, v7
	s_and_saveexec_b32 s0, vcc_lo
	s_cbranch_execz .LBB259_15
; %bb.14:
	ds_load_2addr_b32 v[2:3], v1 offset1:16
	s_waitcnt lgkmcnt(0)
	v_add_f32_e32 v2, v3, v2
	ds_store_b32 v1, v2
.LBB259_15:
	s_or_b32 exec_lo, exec_lo, s0
	s_delay_alu instid0(SALU_CYCLE_1)
	s_mov_b32 s1, exec_lo
	s_waitcnt lgkmcnt(0)
	s_barrier
	buffer_gl0_inv
	v_cmpx_gt_u16_e32 8, v7
	s_cbranch_execz .LBB259_17
; %bb.16:
	ds_load_2addr_b32 v[2:3], v1 offset1:8
	s_waitcnt lgkmcnt(0)
	v_add_f32_e32 v2, v3, v2
	ds_store_b32 v1, v2
.LBB259_17:
	s_or_b32 exec_lo, exec_lo, s1
	s_waitcnt lgkmcnt(0)
	s_barrier
	buffer_gl0_inv
	s_and_saveexec_b32 s0, vcc_lo
	s_cbranch_execz .LBB259_19
; %bb.18:
	ds_load_2addr_b32 v[2:3], v1 offset1:4
	s_waitcnt lgkmcnt(0)
	v_add_f32_e32 v2, v3, v2
	ds_store_b32 v1, v2
.LBB259_19:
	s_or_b32 exec_lo, exec_lo, s0
	s_delay_alu instid0(SALU_CYCLE_1)
	s_mov_b32 s0, exec_lo
	s_waitcnt lgkmcnt(0)
	s_barrier
	buffer_gl0_inv
	v_cmpx_gt_u16_e32 2, v7
	s_cbranch_execz .LBB259_21
; %bb.20:
	ds_load_2addr_b32 v[2:3], v1 offset1:2
	s_waitcnt lgkmcnt(0)
	v_add_f32_e32 v2, v3, v2
	ds_store_b32 v1, v2
.LBB259_21:
	s_or_b32 exec_lo, exec_lo, s0
	s_mov_b32 s0, 0
	s_mov_b32 s1, 0
	s_mov_b32 s2, exec_lo
	s_waitcnt lgkmcnt(0)
	s_barrier
	buffer_gl0_inv
                                        ; implicit-def: $vgpr2
                                        ; implicit-def: $vgpr3
	v_cmpx_gt_u32_e32 20, v0
	s_xor_b32 s2, exec_lo, s2
; %bb.22:
	v_mul_u32_u24_e32 v2, 20, v0
	v_mad_u32_u24 v3, 0x4c, v0, v1
	s_mov_b32 s1, exec_lo
	s_delay_alu instid0(VALU_DEP_2)
	v_or_b32_e32 v2, 1, v2
; %bb.23:
	s_or_b32 exec_lo, exec_lo, s2
	s_delay_alu instid0(SALU_CYCLE_1)
	s_and_b32 vcc_lo, exec_lo, s0
	s_cbranch_vccnz .LBB259_25
	s_branch .LBB259_36
.LBB259_24:
	s_mov_b32 s1, 0
                                        ; implicit-def: $vgpr2
                                        ; implicit-def: $vgpr3
	s_cbranch_execz .LBB259_36
.LBB259_25:
	v_cmp_gt_u32_e32 vcc_lo, 0x50, v0
	s_and_saveexec_b32 s0, vcc_lo
	s_cbranch_execz .LBB259_27
; %bb.26:
	ds_load_2addr_stride64_b32 v[2:3], v1 offset1:5
	s_waitcnt lgkmcnt(0)
	v_add_f32_e32 v2, v3, v2
	ds_store_b32 v1, v2
.LBB259_27:
	s_or_b32 exec_lo, exec_lo, s0
	s_delay_alu instid0(SALU_CYCLE_1)
	s_mov_b32 s2, exec_lo
	s_waitcnt lgkmcnt(0)
	s_barrier
	buffer_gl0_inv
	v_cmpx_gt_u32_e32 0xa0, v0
	s_cbranch_execz .LBB259_29
; %bb.28:
	ds_load_2addr_b32 v[2:3], v1 offset1:160
	s_waitcnt lgkmcnt(0)
	v_add_f32_e32 v2, v3, v2
	ds_store_b32 v1, v2
.LBB259_29:
	s_or_b32 exec_lo, exec_lo, s2
	s_waitcnt lgkmcnt(0)
	s_barrier
	buffer_gl0_inv
	s_and_saveexec_b32 s0, vcc_lo
	s_cbranch_execz .LBB259_31
; %bb.30:
	ds_load_2addr_b32 v[2:3], v1 offset1:80
	s_waitcnt lgkmcnt(0)
	v_add_f32_e32 v2, v3, v2
	ds_store_b32 v1, v2
.LBB259_31:
	s_or_b32 exec_lo, exec_lo, s0
	s_delay_alu instid0(SALU_CYCLE_1)
	s_mov_b32 s0, exec_lo
	s_waitcnt lgkmcnt(0)
	s_barrier
	buffer_gl0_inv
	v_cmpx_gt_u32_e32 40, v0
	s_cbranch_execz .LBB259_33
; %bb.32:
	ds_load_2addr_b32 v[2:3], v1 offset1:40
	s_waitcnt lgkmcnt(0)
	v_add_f32_e32 v2, v3, v2
	ds_store_b32 v1, v2
.LBB259_33:
	s_or_b32 exec_lo, exec_lo, s0
	s_delay_alu instid0(SALU_CYCLE_1)
	s_mov_b32 s0, exec_lo
	s_waitcnt lgkmcnt(0)
	buffer_gl0_inv
                                        ; implicit-def: $vgpr2
	v_cmpx_gt_u32_e32 20, v0
; %bb.34:
	v_add_nc_u32_e32 v2, 20, v0
	s_or_b32 s1, s1, exec_lo
                                        ; implicit-def: $vgpr6
; %bb.35:
	s_or_b32 exec_lo, exec_lo, s0
	v_mov_b32_e32 v3, v1
.LBB259_36:
	s_and_saveexec_b32 s0, s1
	s_cbranch_execz .LBB259_38
; %bb.37:
	v_lshlrev_b32_e32 v1, 2, v2
	ds_load_b32 v2, v3
	ds_load_b32 v1, v1
	s_waitcnt lgkmcnt(0)
	v_add_f32_e32 v6, v2, v1
.LBB259_38:
	s_or_b32 exec_lo, exec_lo, s0
	s_delay_alu instid0(SALU_CYCLE_1)
	s_mov_b32 s0, exec_lo
	v_cmpx_gt_u32_e32 20, v0
	s_cbranch_execz .LBB259_42
; %bb.39:
	v_cmp_eq_f32_e64 s0, s8, 0
	v_mul_f32_e32 v1, s12, v6
	s_delay_alu instid0(VALU_DEP_2)
	s_and_b32 vcc_lo, exec_lo, s0
	s_mov_b32 s0, 0
	s_cbranch_vccz .LBB259_43
; %bb.40:
	s_delay_alu instid0(VALU_DEP_1) | instskip(SKIP_1) | instid1(VALU_DEP_1)
	v_mad_u64_u32 v[2:3], null, s10, 20, v[0:1]
	v_mov_b32_e32 v3, 0
	v_lshlrev_b64 v[2:3], 2, v[2:3]
	s_delay_alu instid0(VALU_DEP_1) | instskip(NEXT) | instid1(VALU_DEP_2)
	v_add_co_u32 v2, vcc_lo, s14, v2
	v_add_co_ci_u32_e32 v3, vcc_lo, s15, v3, vcc_lo
	global_store_b32 v[2:3], v1, off
	s_and_not1_b32 vcc_lo, exec_lo, s0
	s_cbranch_vccnz .LBB259_42
.LBB259_41:
	v_mad_u64_u32 v[2:3], null, s10, 20, v[0:1]
	v_mov_b32_e32 v3, 0
	s_delay_alu instid0(VALU_DEP_1) | instskip(NEXT) | instid1(VALU_DEP_1)
	v_lshlrev_b64 v[2:3], 2, v[2:3]
	v_add_co_u32 v2, vcc_lo, s14, v2
	s_delay_alu instid0(VALU_DEP_2)
	v_add_co_ci_u32_e32 v3, vcc_lo, s15, v3, vcc_lo
	global_load_b32 v0, v[2:3], off
	s_waitcnt vmcnt(0)
	v_fmac_f32_e32 v1, s8, v0
	global_store_b32 v[2:3], v1, off
.LBB259_42:
	s_nop 0
	s_sendmsg sendmsg(MSG_DEALLOC_VGPRS)
	s_endpgm
.LBB259_43:
	s_branch .LBB259_41
	.section	.rodata,"a",@progbits
	.p2align	6, 0x0
	.amdhsa_kernel _ZN9rocsparseL20bsrxmvn_17_32_kernelILj20EfliaafEEvT2_20rocsparse_direction_NS_24const_host_device_scalarIT0_EES1_PKS1_PKT1_SA_S7_PKT3_PKT4_S5_PT5_21rocsparse_index_base_b
		.amdhsa_group_segment_fixed_size 1600
		.amdhsa_private_segment_fixed_size 0
		.amdhsa_kernarg_size 96
		.amdhsa_user_sgpr_count 15
		.amdhsa_user_sgpr_dispatch_ptr 0
		.amdhsa_user_sgpr_queue_ptr 0
		.amdhsa_user_sgpr_kernarg_segment_ptr 1
		.amdhsa_user_sgpr_dispatch_id 0
		.amdhsa_user_sgpr_private_segment_size 0
		.amdhsa_wavefront_size32 1
		.amdhsa_uses_dynamic_stack 0
		.amdhsa_enable_private_segment 0
		.amdhsa_system_sgpr_workgroup_id_x 1
		.amdhsa_system_sgpr_workgroup_id_y 0
		.amdhsa_system_sgpr_workgroup_id_z 0
		.amdhsa_system_sgpr_workgroup_info 0
		.amdhsa_system_vgpr_workitem_id 0
		.amdhsa_next_free_vgpr 12
		.amdhsa_next_free_sgpr 24
		.amdhsa_reserve_vcc 1
		.amdhsa_float_round_mode_32 0
		.amdhsa_float_round_mode_16_64 0
		.amdhsa_float_denorm_mode_32 3
		.amdhsa_float_denorm_mode_16_64 3
		.amdhsa_dx10_clamp 1
		.amdhsa_ieee_mode 1
		.amdhsa_fp16_overflow 0
		.amdhsa_workgroup_processor_mode 1
		.amdhsa_memory_ordered 1
		.amdhsa_forward_progress 0
		.amdhsa_shared_vgpr_count 0
		.amdhsa_exception_fp_ieee_invalid_op 0
		.amdhsa_exception_fp_denorm_src 0
		.amdhsa_exception_fp_ieee_div_zero 0
		.amdhsa_exception_fp_ieee_overflow 0
		.amdhsa_exception_fp_ieee_underflow 0
		.amdhsa_exception_fp_ieee_inexact 0
		.amdhsa_exception_int_div_zero 0
	.end_amdhsa_kernel
	.section	.text._ZN9rocsparseL20bsrxmvn_17_32_kernelILj20EfliaafEEvT2_20rocsparse_direction_NS_24const_host_device_scalarIT0_EES1_PKS1_PKT1_SA_S7_PKT3_PKT4_S5_PT5_21rocsparse_index_base_b,"axG",@progbits,_ZN9rocsparseL20bsrxmvn_17_32_kernelILj20EfliaafEEvT2_20rocsparse_direction_NS_24const_host_device_scalarIT0_EES1_PKS1_PKT1_SA_S7_PKT3_PKT4_S5_PT5_21rocsparse_index_base_b,comdat
.Lfunc_end259:
	.size	_ZN9rocsparseL20bsrxmvn_17_32_kernelILj20EfliaafEEvT2_20rocsparse_direction_NS_24const_host_device_scalarIT0_EES1_PKS1_PKT1_SA_S7_PKT3_PKT4_S5_PT5_21rocsparse_index_base_b, .Lfunc_end259-_ZN9rocsparseL20bsrxmvn_17_32_kernelILj20EfliaafEEvT2_20rocsparse_direction_NS_24const_host_device_scalarIT0_EES1_PKS1_PKT1_SA_S7_PKT3_PKT4_S5_PT5_21rocsparse_index_base_b
                                        ; -- End function
	.section	.AMDGPU.csdata,"",@progbits
; Kernel info:
; codeLenInByte = 1608
; NumSgprs: 26
; NumVgprs: 12
; ScratchSize: 0
; MemoryBound: 0
; FloatMode: 240
; IeeeMode: 1
; LDSByteSize: 1600 bytes/workgroup (compile time only)
; SGPRBlocks: 3
; VGPRBlocks: 1
; NumSGPRsForWavesPerEU: 26
; NumVGPRsForWavesPerEU: 12
; Occupancy: 13
; WaveLimiterHint : 1
; COMPUTE_PGM_RSRC2:SCRATCH_EN: 0
; COMPUTE_PGM_RSRC2:USER_SGPR: 15
; COMPUTE_PGM_RSRC2:TRAP_HANDLER: 0
; COMPUTE_PGM_RSRC2:TGID_X_EN: 1
; COMPUTE_PGM_RSRC2:TGID_Y_EN: 0
; COMPUTE_PGM_RSRC2:TGID_Z_EN: 0
; COMPUTE_PGM_RSRC2:TIDIG_COMP_CNT: 0
	.section	.text._ZN9rocsparseL20bsrxmvn_17_32_kernelILj21EfliaafEEvT2_20rocsparse_direction_NS_24const_host_device_scalarIT0_EES1_PKS1_PKT1_SA_S7_PKT3_PKT4_S5_PT5_21rocsparse_index_base_b,"axG",@progbits,_ZN9rocsparseL20bsrxmvn_17_32_kernelILj21EfliaafEEvT2_20rocsparse_direction_NS_24const_host_device_scalarIT0_EES1_PKS1_PKT1_SA_S7_PKT3_PKT4_S5_PT5_21rocsparse_index_base_b,comdat
	.globl	_ZN9rocsparseL20bsrxmvn_17_32_kernelILj21EfliaafEEvT2_20rocsparse_direction_NS_24const_host_device_scalarIT0_EES1_PKS1_PKT1_SA_S7_PKT3_PKT4_S5_PT5_21rocsparse_index_base_b ; -- Begin function _ZN9rocsparseL20bsrxmvn_17_32_kernelILj21EfliaafEEvT2_20rocsparse_direction_NS_24const_host_device_scalarIT0_EES1_PKS1_PKT1_SA_S7_PKT3_PKT4_S5_PT5_21rocsparse_index_base_b
	.p2align	8
	.type	_ZN9rocsparseL20bsrxmvn_17_32_kernelILj21EfliaafEEvT2_20rocsparse_direction_NS_24const_host_device_scalarIT0_EES1_PKS1_PKT1_SA_S7_PKT3_PKT4_S5_PT5_21rocsparse_index_base_b,@function
_ZN9rocsparseL20bsrxmvn_17_32_kernelILj21EfliaafEEvT2_20rocsparse_direction_NS_24const_host_device_scalarIT0_EES1_PKS1_PKT1_SA_S7_PKT3_PKT4_S5_PT5_21rocsparse_index_base_b: ; @_ZN9rocsparseL20bsrxmvn_17_32_kernelILj21EfliaafEEvT2_20rocsparse_direction_NS_24const_host_device_scalarIT0_EES1_PKS1_PKT1_SA_S7_PKT3_PKT4_S5_PT5_21rocsparse_index_base_b
; %bb.0:
	s_clause 0x2
	s_load_b64 s[16:17], s[0:1], 0x58
	s_load_b64 s[12:13], s[0:1], 0x8
	s_load_b64 s[8:9], s[0:1], 0x48
	s_mov_b32 s10, s15
	s_waitcnt lgkmcnt(0)
	s_bitcmp1_b32 s17, 0
	s_cselect_b32 s2, -1, 0
	s_delay_alu instid0(SALU_CYCLE_1)
	s_and_b32 vcc_lo, exec_lo, s2
	s_xor_b32 s2, s2, -1
	s_cbranch_vccnz .LBB260_2
; %bb.1:
	s_load_b32 s12, s[12:13], 0x0
.LBB260_2:
	s_and_not1_b32 vcc_lo, exec_lo, s2
	s_cbranch_vccnz .LBB260_4
; %bb.3:
	s_load_b32 s8, s[8:9], 0x0
.LBB260_4:
	s_waitcnt lgkmcnt(0)
	v_cmp_neq_f32_e64 s2, s12, 0
	v_cmp_neq_f32_e64 s3, s8, 1.0
	s_delay_alu instid0(VALU_DEP_1) | instskip(NEXT) | instid1(SALU_CYCLE_1)
	s_or_b32 s2, s2, s3
	s_and_not1_b32 vcc_lo, exec_lo, s2
	s_cbranch_vccnz .LBB260_42
; %bb.5:
	s_clause 0x1
	s_load_b128 s[4:7], s[0:1], 0x18
	s_load_b64 s[14:15], s[0:1], 0x28
	s_waitcnt lgkmcnt(0)
	s_cmp_eq_u64 s[4:5], 0
	s_cbranch_scc1 .LBB260_7
; %bb.6:
	s_ashr_i32 s11, s10, 31
	s_delay_alu instid0(SALU_CYCLE_1) | instskip(NEXT) | instid1(SALU_CYCLE_1)
	s_lshl_b64 s[2:3], s[10:11], 2
	s_add_u32 s2, s4, s2
	s_addc_u32 s3, s5, s3
	s_load_b32 s2, s[2:3], 0x0
	s_waitcnt lgkmcnt(0)
	s_sub_i32 s10, s2, s16
.LBB260_7:
	s_load_b32 s3, s[0:1], 0x4
	v_mul_u32_u24_e32 v1, 0xc31, v0
	v_mov_b32_e32 v6, 0
	s_delay_alu instid0(VALU_DEP_2) | instskip(NEXT) | instid1(VALU_DEP_1)
	v_lshrrev_b32_e32 v1, 16, v1
	v_mul_lo_u16 v2, v1, 21
	s_delay_alu instid0(VALU_DEP_1)
	v_sub_nc_u16 v7, v0, v2
	s_waitcnt lgkmcnt(0)
	s_cmp_eq_u32 s3, 1
	s_cselect_b32 s2, -1, 0
	s_cmp_lg_u32 s3, 1
	s_cselect_b32 s3, -1, 0
	s_ashr_i32 s11, s10, 31
	s_delay_alu instid0(SALU_CYCLE_1) | instskip(NEXT) | instid1(SALU_CYCLE_1)
	s_lshl_b64 s[4:5], s[10:11], 3
	s_add_u32 s6, s6, s4
	s_addc_u32 s7, s7, s5
	s_add_u32 s9, s6, 8
	s_addc_u32 s11, s7, 0
	;; [unrolled: 2-line block ×3, first 2 shown]
	s_cmp_eq_u64 s[14:15], 0
	s_load_b64 s[14:15], s[0:1], 0x50
	s_cselect_b32 s5, s11, s5
	s_cselect_b32 s4, s9, s4
	s_load_b64 s[22:23], s[6:7], 0x0
	s_load_b64 s[18:19], s[4:5], 0x0
	s_waitcnt lgkmcnt(0)
	v_cmp_ge_i64_e64 s4, s[22:23], s[18:19]
	s_delay_alu instid0(VALU_DEP_1)
	s_and_b32 vcc_lo, exec_lo, s4
	s_cbranch_vccnz .LBB260_12
; %bb.8:
	v_mul_lo_u16 v2, v1, 25
	v_dual_mov_b32 v6, 0 :: v_dual_and_b32 v3, 0xffff, v0
	s_clause 0x1
	s_load_b128 s[4:7], s[0:1], 0x30
	s_load_b64 s[0:1], s[0:1], 0x40
	v_and_b32_e32 v4, 0xffff, v7
	v_lshrrev_b16 v2, 9, v2
	v_mul_u32_u24_e32 v3, 0x253, v3
	s_sub_u32 s18, s18, s16
	s_subb_u32 s19, s19, 0
	s_sub_u32 s20, s22, s16
	v_mul_lo_u16 v2, v2, 21
	v_lshrrev_b32_e32 v8, 18, v3
	s_subb_u32 s21, s23, 0
	s_mul_hi_u32 s9, s20, 0x1b9
	s_mul_i32 s13, s21, 0x1b9
	v_sub_nc_u16 v1, v1, v2
	v_add_co_u32 v2, s17, s22, v8
	s_delay_alu instid0(VALU_DEP_1) | instskip(NEXT) | instid1(VALU_DEP_3)
	v_add_co_ci_u32_e64 v3, null, s23, 0, s17
	v_and_b32_e32 v1, 0xff, v1
	s_delay_alu instid0(VALU_DEP_3) | instskip(NEXT) | instid1(VALU_DEP_3)
	v_sub_co_u32 v2, vcc_lo, v2, s16
	v_subrev_co_ci_u32_e32 v3, vcc_lo, 0, v3, vcc_lo
	s_delay_alu instid0(VALU_DEP_3) | instskip(SKIP_2) | instid1(VALU_DEP_2)
	v_cndmask_b32_e64 v1, v4, v1, s2
	s_mul_i32 s11, s20, 0x1b9
	s_add_i32 s9, s9, s13
	v_lshlrev_b64 v[4:5], 2, v[2:3]
	s_waitcnt lgkmcnt(0)
	s_add_u32 s2, s6, s11
	s_addc_u32 s6, s7, s9
	v_add_co_u32 v2, s2, s2, v0
	s_delay_alu instid0(VALU_DEP_1)
	v_add_co_ci_u32_e64 v3, null, s6, 0, s2
	v_add_co_u32 v4, vcc_lo, s4, v4
	v_add_co_ci_u32_e32 v5, vcc_lo, s5, v5, vcc_lo
	s_set_inst_prefetch_distance 0x1
	s_branch .LBB260_10
	.p2align	6
.LBB260_9:                              ;   in Loop: Header=BB260_10 Depth=1
	s_or_b32 exec_lo, exec_lo, s2
	s_add_u32 s20, s20, 1
	s_addc_u32 s21, s21, 0
	v_add_co_u32 v4, vcc_lo, v4, 4
	v_cmp_lt_i64_e64 s2, s[20:21], s[18:19]
	v_add_co_ci_u32_e32 v5, vcc_lo, 0, v5, vcc_lo
	s_delay_alu instid0(VALU_DEP_2)
	s_and_b32 vcc_lo, exec_lo, s2
	s_cbranch_vccz .LBB260_12
.LBB260_10:                             ; =>This Inner Loop Header: Depth=1
	v_add_co_u32 v9, s2, v8, s20
	s_delay_alu instid0(VALU_DEP_1) | instskip(SKIP_1) | instid1(VALU_DEP_1)
	v_add_co_ci_u32_e64 v10, null, 0, s21, s2
	s_mov_b32 s2, exec_lo
	v_cmpx_gt_i64_e64 s[18:19], v[9:10]
	s_cbranch_execz .LBB260_9
; %bb.11:                               ;   in Loop: Header=BB260_10 Depth=1
	global_load_b32 v9, v[4:5], off
	s_waitcnt vmcnt(0)
	v_subrev_nc_u32_e32 v11, s16, v9
	s_delay_alu instid0(VALU_DEP_1) | instskip(NEXT) | instid1(VALU_DEP_1)
	v_mad_u64_u32 v[9:10], null, v11, 21, v[1:2]
	v_ashrrev_i32_e32 v10, 31, v9
	v_add_co_u32 v9, vcc_lo, s0, v9
	s_delay_alu instid0(VALU_DEP_2)
	v_add_co_ci_u32_e32 v10, vcc_lo, s1, v10, vcc_lo
	global_load_i8 v11, v[2:3], off
	global_load_i8 v9, v[9:10], off
	v_add_co_u32 v2, vcc_lo, 0x1b9, v2
	v_add_co_ci_u32_e32 v3, vcc_lo, 0, v3, vcc_lo
	s_waitcnt vmcnt(1)
	v_cvt_f32_i32_e32 v10, v11
	s_waitcnt vmcnt(0)
	v_cvt_f32_i32_e32 v9, v9
	s_delay_alu instid0(VALU_DEP_1)
	v_fmac_f32_e32 v6, v10, v9
	s_branch .LBB260_9
.LBB260_12:
	s_set_inst_prefetch_distance 0x2
	v_lshlrev_b32_e32 v1, 2, v0
	s_and_b32 vcc_lo, exec_lo, s3
	ds_store_b32 v1, v6
	s_waitcnt lgkmcnt(0)
	s_barrier
	buffer_gl0_inv
	s_cbranch_vccz .LBB260_24
; %bb.13:
	s_mov_b32 s0, exec_lo
	v_cmpx_gt_u16_e32 5, v7
	s_cbranch_execz .LBB260_15
; %bb.14:
	ds_load_2addr_b32 v[2:3], v1 offset1:16
	s_waitcnt lgkmcnt(0)
	v_add_f32_e32 v2, v3, v2
	ds_store_b32 v1, v2
.LBB260_15:
	s_or_b32 exec_lo, exec_lo, s0
	s_delay_alu instid0(SALU_CYCLE_1)
	s_mov_b32 s0, exec_lo
	s_waitcnt lgkmcnt(0)
	s_barrier
	buffer_gl0_inv
	v_cmpx_gt_u16_e32 8, v7
	s_cbranch_execz .LBB260_17
; %bb.16:
	ds_load_2addr_b32 v[2:3], v1 offset1:8
	s_waitcnt lgkmcnt(0)
	v_add_f32_e32 v2, v3, v2
	ds_store_b32 v1, v2
.LBB260_17:
	s_or_b32 exec_lo, exec_lo, s0
	s_delay_alu instid0(SALU_CYCLE_1)
	s_mov_b32 s0, exec_lo
	s_waitcnt lgkmcnt(0)
	s_barrier
	buffer_gl0_inv
	;; [unrolled: 14-line block ×3, first 2 shown]
	v_cmpx_gt_u16_e32 2, v7
	s_cbranch_execz .LBB260_21
; %bb.20:
	ds_load_2addr_b32 v[2:3], v1 offset1:2
	s_waitcnt lgkmcnt(0)
	v_add_f32_e32 v2, v3, v2
	ds_store_b32 v1, v2
.LBB260_21:
	s_or_b32 exec_lo, exec_lo, s0
	s_mov_b32 s1, 0
	s_mov_b32 s0, 0
	s_mov_b32 s2, exec_lo
	s_waitcnt lgkmcnt(0)
	s_barrier
	buffer_gl0_inv
                                        ; implicit-def: $vgpr2
                                        ; implicit-def: $vgpr3
	v_cmpx_gt_u32_e32 21, v0
	s_xor_b32 s2, exec_lo, s2
; %bb.22:
	v_mad_u32_u24 v2, v0, 21, 1
	v_mad_u32_u24 v3, 0x50, v0, v1
	s_mov_b32 s0, exec_lo
; %bb.23:
	s_or_b32 exec_lo, exec_lo, s2
	s_delay_alu instid0(SALU_CYCLE_1)
	s_and_b32 vcc_lo, exec_lo, s1
	s_cbranch_vccnz .LBB260_25
	s_branch .LBB260_36
.LBB260_24:
	s_mov_b32 s0, 0
                                        ; implicit-def: $vgpr2
                                        ; implicit-def: $vgpr3
	s_cbranch_execz .LBB260_36
.LBB260_25:
	s_mov_b32 s1, exec_lo
	v_cmpx_gt_u32_e32 0x69, v0
	s_cbranch_execz .LBB260_27
; %bb.26:
	ds_load_b32 v2, v1 offset:1344
	ds_load_b32 v3, v1
	s_waitcnt lgkmcnt(0)
	v_add_f32_e32 v2, v2, v3
	ds_store_b32 v1, v2
.LBB260_27:
	s_or_b32 exec_lo, exec_lo, s1
	s_delay_alu instid0(SALU_CYCLE_1)
	s_mov_b32 s1, exec_lo
	s_waitcnt lgkmcnt(0)
	s_barrier
	buffer_gl0_inv
	v_cmpx_gt_u32_e32 0xa8, v0
	s_cbranch_execz .LBB260_29
; %bb.28:
	ds_load_2addr_b32 v[2:3], v1 offset1:168
	s_waitcnt lgkmcnt(0)
	v_add_f32_e32 v2, v3, v2
	ds_store_b32 v1, v2
.LBB260_29:
	s_or_b32 exec_lo, exec_lo, s1
	s_delay_alu instid0(SALU_CYCLE_1)
	s_mov_b32 s1, exec_lo
	s_waitcnt lgkmcnt(0)
	s_barrier
	buffer_gl0_inv
	v_cmpx_gt_u32_e32 0x54, v0
	s_cbranch_execz .LBB260_31
; %bb.30:
	ds_load_2addr_b32 v[2:3], v1 offset1:84
	s_waitcnt lgkmcnt(0)
	v_add_f32_e32 v2, v3, v2
	ds_store_b32 v1, v2
.LBB260_31:
	;; [unrolled: 14-line block ×3, first 2 shown]
	s_or_b32 exec_lo, exec_lo, s1
	s_delay_alu instid0(SALU_CYCLE_1)
	s_mov_b32 s1, exec_lo
	s_waitcnt lgkmcnt(0)
	buffer_gl0_inv
                                        ; implicit-def: $vgpr2
	v_cmpx_gt_u32_e32 21, v0
; %bb.34:
	v_add_nc_u32_e32 v2, 21, v0
	s_or_b32 s0, s0, exec_lo
                                        ; implicit-def: $vgpr6
; %bb.35:
	s_or_b32 exec_lo, exec_lo, s1
	v_mov_b32_e32 v3, v1
.LBB260_36:
	s_and_saveexec_b32 s1, s0
	s_cbranch_execz .LBB260_38
; %bb.37:
	v_lshlrev_b32_e32 v1, 2, v2
	ds_load_b32 v2, v3
	ds_load_b32 v1, v1
	s_waitcnt lgkmcnt(0)
	v_add_f32_e32 v6, v2, v1
.LBB260_38:
	s_or_b32 exec_lo, exec_lo, s1
	s_delay_alu instid0(SALU_CYCLE_1)
	s_mov_b32 s0, exec_lo
	v_cmpx_gt_u32_e32 21, v0
	s_cbranch_execz .LBB260_42
; %bb.39:
	v_cmp_eq_f32_e64 s0, s8, 0
	v_mul_f32_e32 v1, s12, v6
	s_delay_alu instid0(VALU_DEP_2)
	s_and_b32 vcc_lo, exec_lo, s0
	s_mov_b32 s0, 0
	s_cbranch_vccz .LBB260_43
; %bb.40:
	s_delay_alu instid0(VALU_DEP_1) | instskip(SKIP_1) | instid1(VALU_DEP_1)
	v_mad_u64_u32 v[2:3], null, s10, 21, v[0:1]
	v_mov_b32_e32 v3, 0
	v_lshlrev_b64 v[2:3], 2, v[2:3]
	s_delay_alu instid0(VALU_DEP_1) | instskip(NEXT) | instid1(VALU_DEP_2)
	v_add_co_u32 v2, vcc_lo, s14, v2
	v_add_co_ci_u32_e32 v3, vcc_lo, s15, v3, vcc_lo
	global_store_b32 v[2:3], v1, off
	s_and_not1_b32 vcc_lo, exec_lo, s0
	s_cbranch_vccnz .LBB260_42
.LBB260_41:
	v_mad_u64_u32 v[2:3], null, s10, 21, v[0:1]
	v_mov_b32_e32 v3, 0
	s_delay_alu instid0(VALU_DEP_1) | instskip(NEXT) | instid1(VALU_DEP_1)
	v_lshlrev_b64 v[2:3], 2, v[2:3]
	v_add_co_u32 v2, vcc_lo, s14, v2
	s_delay_alu instid0(VALU_DEP_2)
	v_add_co_ci_u32_e32 v3, vcc_lo, s15, v3, vcc_lo
	global_load_b32 v0, v[2:3], off
	s_waitcnt vmcnt(0)
	v_fmac_f32_e32 v1, s8, v0
	global_store_b32 v[2:3], v1, off
.LBB260_42:
	s_nop 0
	s_sendmsg sendmsg(MSG_DEALLOC_VGPRS)
	s_endpgm
.LBB260_43:
	s_branch .LBB260_41
	.section	.rodata,"a",@progbits
	.p2align	6, 0x0
	.amdhsa_kernel _ZN9rocsparseL20bsrxmvn_17_32_kernelILj21EfliaafEEvT2_20rocsparse_direction_NS_24const_host_device_scalarIT0_EES1_PKS1_PKT1_SA_S7_PKT3_PKT4_S5_PT5_21rocsparse_index_base_b
		.amdhsa_group_segment_fixed_size 1764
		.amdhsa_private_segment_fixed_size 0
		.amdhsa_kernarg_size 96
		.amdhsa_user_sgpr_count 15
		.amdhsa_user_sgpr_dispatch_ptr 0
		.amdhsa_user_sgpr_queue_ptr 0
		.amdhsa_user_sgpr_kernarg_segment_ptr 1
		.amdhsa_user_sgpr_dispatch_id 0
		.amdhsa_user_sgpr_private_segment_size 0
		.amdhsa_wavefront_size32 1
		.amdhsa_uses_dynamic_stack 0
		.amdhsa_enable_private_segment 0
		.amdhsa_system_sgpr_workgroup_id_x 1
		.amdhsa_system_sgpr_workgroup_id_y 0
		.amdhsa_system_sgpr_workgroup_id_z 0
		.amdhsa_system_sgpr_workgroup_info 0
		.amdhsa_system_vgpr_workitem_id 0
		.amdhsa_next_free_vgpr 12
		.amdhsa_next_free_sgpr 24
		.amdhsa_reserve_vcc 1
		.amdhsa_float_round_mode_32 0
		.amdhsa_float_round_mode_16_64 0
		.amdhsa_float_denorm_mode_32 3
		.amdhsa_float_denorm_mode_16_64 3
		.amdhsa_dx10_clamp 1
		.amdhsa_ieee_mode 1
		.amdhsa_fp16_overflow 0
		.amdhsa_workgroup_processor_mode 1
		.amdhsa_memory_ordered 1
		.amdhsa_forward_progress 0
		.amdhsa_shared_vgpr_count 0
		.amdhsa_exception_fp_ieee_invalid_op 0
		.amdhsa_exception_fp_denorm_src 0
		.amdhsa_exception_fp_ieee_div_zero 0
		.amdhsa_exception_fp_ieee_overflow 0
		.amdhsa_exception_fp_ieee_underflow 0
		.amdhsa_exception_fp_ieee_inexact 0
		.amdhsa_exception_int_div_zero 0
	.end_amdhsa_kernel
	.section	.text._ZN9rocsparseL20bsrxmvn_17_32_kernelILj21EfliaafEEvT2_20rocsparse_direction_NS_24const_host_device_scalarIT0_EES1_PKS1_PKT1_SA_S7_PKT3_PKT4_S5_PT5_21rocsparse_index_base_b,"axG",@progbits,_ZN9rocsparseL20bsrxmvn_17_32_kernelILj21EfliaafEEvT2_20rocsparse_direction_NS_24const_host_device_scalarIT0_EES1_PKS1_PKT1_SA_S7_PKT3_PKT4_S5_PT5_21rocsparse_index_base_b,comdat
.Lfunc_end260:
	.size	_ZN9rocsparseL20bsrxmvn_17_32_kernelILj21EfliaafEEvT2_20rocsparse_direction_NS_24const_host_device_scalarIT0_EES1_PKS1_PKT1_SA_S7_PKT3_PKT4_S5_PT5_21rocsparse_index_base_b, .Lfunc_end260-_ZN9rocsparseL20bsrxmvn_17_32_kernelILj21EfliaafEEvT2_20rocsparse_direction_NS_24const_host_device_scalarIT0_EES1_PKS1_PKT1_SA_S7_PKT3_PKT4_S5_PT5_21rocsparse_index_base_b
                                        ; -- End function
	.section	.AMDGPU.csdata,"",@progbits
; Kernel info:
; codeLenInByte = 1632
; NumSgprs: 26
; NumVgprs: 12
; ScratchSize: 0
; MemoryBound: 0
; FloatMode: 240
; IeeeMode: 1
; LDSByteSize: 1764 bytes/workgroup (compile time only)
; SGPRBlocks: 3
; VGPRBlocks: 1
; NumSGPRsForWavesPerEU: 26
; NumVGPRsForWavesPerEU: 12
; Occupancy: 14
; WaveLimiterHint : 1
; COMPUTE_PGM_RSRC2:SCRATCH_EN: 0
; COMPUTE_PGM_RSRC2:USER_SGPR: 15
; COMPUTE_PGM_RSRC2:TRAP_HANDLER: 0
; COMPUTE_PGM_RSRC2:TGID_X_EN: 1
; COMPUTE_PGM_RSRC2:TGID_Y_EN: 0
; COMPUTE_PGM_RSRC2:TGID_Z_EN: 0
; COMPUTE_PGM_RSRC2:TIDIG_COMP_CNT: 0
	.section	.text._ZN9rocsparseL20bsrxmvn_17_32_kernelILj22EfliaafEEvT2_20rocsparse_direction_NS_24const_host_device_scalarIT0_EES1_PKS1_PKT1_SA_S7_PKT3_PKT4_S5_PT5_21rocsparse_index_base_b,"axG",@progbits,_ZN9rocsparseL20bsrxmvn_17_32_kernelILj22EfliaafEEvT2_20rocsparse_direction_NS_24const_host_device_scalarIT0_EES1_PKS1_PKT1_SA_S7_PKT3_PKT4_S5_PT5_21rocsparse_index_base_b,comdat
	.globl	_ZN9rocsparseL20bsrxmvn_17_32_kernelILj22EfliaafEEvT2_20rocsparse_direction_NS_24const_host_device_scalarIT0_EES1_PKS1_PKT1_SA_S7_PKT3_PKT4_S5_PT5_21rocsparse_index_base_b ; -- Begin function _ZN9rocsparseL20bsrxmvn_17_32_kernelILj22EfliaafEEvT2_20rocsparse_direction_NS_24const_host_device_scalarIT0_EES1_PKS1_PKT1_SA_S7_PKT3_PKT4_S5_PT5_21rocsparse_index_base_b
	.p2align	8
	.type	_ZN9rocsparseL20bsrxmvn_17_32_kernelILj22EfliaafEEvT2_20rocsparse_direction_NS_24const_host_device_scalarIT0_EES1_PKS1_PKT1_SA_S7_PKT3_PKT4_S5_PT5_21rocsparse_index_base_b,@function
_ZN9rocsparseL20bsrxmvn_17_32_kernelILj22EfliaafEEvT2_20rocsparse_direction_NS_24const_host_device_scalarIT0_EES1_PKS1_PKT1_SA_S7_PKT3_PKT4_S5_PT5_21rocsparse_index_base_b: ; @_ZN9rocsparseL20bsrxmvn_17_32_kernelILj22EfliaafEEvT2_20rocsparse_direction_NS_24const_host_device_scalarIT0_EES1_PKS1_PKT1_SA_S7_PKT3_PKT4_S5_PT5_21rocsparse_index_base_b
; %bb.0:
	s_clause 0x2
	s_load_b64 s[16:17], s[0:1], 0x58
	s_load_b64 s[12:13], s[0:1], 0x8
	;; [unrolled: 1-line block ×3, first 2 shown]
	s_mov_b32 s10, s15
	s_waitcnt lgkmcnt(0)
	s_bitcmp1_b32 s17, 0
	s_cselect_b32 s2, -1, 0
	s_delay_alu instid0(SALU_CYCLE_1)
	s_and_b32 vcc_lo, exec_lo, s2
	s_xor_b32 s2, s2, -1
	s_cbranch_vccnz .LBB261_2
; %bb.1:
	s_load_b32 s12, s[12:13], 0x0
.LBB261_2:
	s_and_not1_b32 vcc_lo, exec_lo, s2
	s_cbranch_vccnz .LBB261_4
; %bb.3:
	s_load_b32 s8, s[8:9], 0x0
.LBB261_4:
	s_waitcnt lgkmcnt(0)
	v_cmp_neq_f32_e64 s2, s12, 0
	v_cmp_neq_f32_e64 s3, s8, 1.0
	s_delay_alu instid0(VALU_DEP_1) | instskip(NEXT) | instid1(SALU_CYCLE_1)
	s_or_b32 s2, s2, s3
	s_and_not1_b32 vcc_lo, exec_lo, s2
	s_cbranch_vccnz .LBB261_42
; %bb.5:
	s_clause 0x1
	s_load_b128 s[4:7], s[0:1], 0x18
	s_load_b64 s[14:15], s[0:1], 0x28
	s_waitcnt lgkmcnt(0)
	s_cmp_eq_u64 s[4:5], 0
	s_cbranch_scc1 .LBB261_7
; %bb.6:
	s_ashr_i32 s11, s10, 31
	s_delay_alu instid0(SALU_CYCLE_1) | instskip(NEXT) | instid1(SALU_CYCLE_1)
	s_lshl_b64 s[2:3], s[10:11], 2
	s_add_u32 s2, s4, s2
	s_addc_u32 s3, s5, s3
	s_load_b32 s2, s[2:3], 0x0
	s_waitcnt lgkmcnt(0)
	s_sub_i32 s10, s2, s16
.LBB261_7:
	s_load_b32 s3, s[0:1], 0x4
	v_mul_u32_u24_e32 v1, 0xba3, v0
	v_mov_b32_e32 v6, 0
	s_delay_alu instid0(VALU_DEP_2) | instskip(NEXT) | instid1(VALU_DEP_1)
	v_lshrrev_b32_e32 v1, 16, v1
	v_mul_lo_u16 v2, v1, 22
	s_delay_alu instid0(VALU_DEP_1)
	v_sub_nc_u16 v7, v0, v2
	s_waitcnt lgkmcnt(0)
	s_cmp_eq_u32 s3, 1
	s_cselect_b32 s2, -1, 0
	s_cmp_lg_u32 s3, 1
	s_cselect_b32 s3, -1, 0
	s_ashr_i32 s11, s10, 31
	s_delay_alu instid0(SALU_CYCLE_1) | instskip(NEXT) | instid1(SALU_CYCLE_1)
	s_lshl_b64 s[4:5], s[10:11], 3
	s_add_u32 s6, s6, s4
	s_addc_u32 s7, s7, s5
	s_add_u32 s9, s6, 8
	s_addc_u32 s11, s7, 0
	;; [unrolled: 2-line block ×3, first 2 shown]
	s_cmp_eq_u64 s[14:15], 0
	s_load_b64 s[14:15], s[0:1], 0x50
	s_cselect_b32 s5, s11, s5
	s_cselect_b32 s4, s9, s4
	s_load_b64 s[22:23], s[6:7], 0x0
	s_load_b64 s[18:19], s[4:5], 0x0
	s_waitcnt lgkmcnt(0)
	v_cmp_ge_i64_e64 s4, s[22:23], s[18:19]
	s_delay_alu instid0(VALU_DEP_1)
	s_and_b32 vcc_lo, exec_lo, s4
	s_cbranch_vccnz .LBB261_12
; %bb.8:
	v_mul_lo_u16 v2, v1, 12
	v_dual_mov_b32 v6, 0 :: v_dual_and_b32 v3, 0xffff, v0
	s_clause 0x1
	s_load_b128 s[4:7], s[0:1], 0x30
	s_load_b64 s[0:1], s[0:1], 0x40
	v_and_b32_e32 v4, 0xffff, v7
	v_lshrrev_b16 v2, 8, v2
	v_mul_u32_u24_e32 v3, 0x10f, v3
	s_sub_u32 s18, s18, s16
	s_subb_u32 s19, s19, 0
	s_sub_u32 s20, s22, s16
	v_mul_lo_u16 v2, v2, 22
	v_lshrrev_b32_e32 v8, 17, v3
	s_subb_u32 s21, s23, 0
	s_mul_hi_u32 s9, s20, 0x1e4
	s_mul_i32 s13, s21, 0x1e4
	v_sub_nc_u16 v1, v1, v2
	v_add_co_u32 v2, s17, s22, v8
	s_delay_alu instid0(VALU_DEP_1) | instskip(NEXT) | instid1(VALU_DEP_3)
	v_add_co_ci_u32_e64 v3, null, s23, 0, s17
	v_and_b32_e32 v1, 0xff, v1
	s_delay_alu instid0(VALU_DEP_3) | instskip(NEXT) | instid1(VALU_DEP_3)
	v_sub_co_u32 v2, vcc_lo, v2, s16
	v_subrev_co_ci_u32_e32 v3, vcc_lo, 0, v3, vcc_lo
	s_delay_alu instid0(VALU_DEP_3) | instskip(SKIP_2) | instid1(VALU_DEP_2)
	v_cndmask_b32_e64 v1, v4, v1, s2
	s_mul_i32 s11, s20, 0x1e4
	s_add_i32 s9, s9, s13
	v_lshlrev_b64 v[4:5], 2, v[2:3]
	s_waitcnt lgkmcnt(0)
	s_add_u32 s2, s6, s11
	s_addc_u32 s6, s7, s9
	v_add_co_u32 v2, s2, s2, v0
	s_delay_alu instid0(VALU_DEP_1)
	v_add_co_ci_u32_e64 v3, null, s6, 0, s2
	v_add_co_u32 v4, vcc_lo, s4, v4
	v_add_co_ci_u32_e32 v5, vcc_lo, s5, v5, vcc_lo
	s_set_inst_prefetch_distance 0x1
	s_branch .LBB261_10
	.p2align	6
.LBB261_9:                              ;   in Loop: Header=BB261_10 Depth=1
	s_or_b32 exec_lo, exec_lo, s2
	s_add_u32 s20, s20, 1
	s_addc_u32 s21, s21, 0
	v_add_co_u32 v4, vcc_lo, v4, 4
	v_cmp_lt_i64_e64 s2, s[20:21], s[18:19]
	v_add_co_ci_u32_e32 v5, vcc_lo, 0, v5, vcc_lo
	s_delay_alu instid0(VALU_DEP_2)
	s_and_b32 vcc_lo, exec_lo, s2
	s_cbranch_vccz .LBB261_12
.LBB261_10:                             ; =>This Inner Loop Header: Depth=1
	v_add_co_u32 v9, s2, v8, s20
	s_delay_alu instid0(VALU_DEP_1) | instskip(SKIP_1) | instid1(VALU_DEP_1)
	v_add_co_ci_u32_e64 v10, null, 0, s21, s2
	s_mov_b32 s2, exec_lo
	v_cmpx_gt_i64_e64 s[18:19], v[9:10]
	s_cbranch_execz .LBB261_9
; %bb.11:                               ;   in Loop: Header=BB261_10 Depth=1
	global_load_b32 v9, v[4:5], off
	s_waitcnt vmcnt(0)
	v_subrev_nc_u32_e32 v11, s16, v9
	s_delay_alu instid0(VALU_DEP_1) | instskip(NEXT) | instid1(VALU_DEP_1)
	v_mad_u64_u32 v[9:10], null, v11, 22, v[1:2]
	v_ashrrev_i32_e32 v10, 31, v9
	v_add_co_u32 v9, vcc_lo, s0, v9
	s_delay_alu instid0(VALU_DEP_2)
	v_add_co_ci_u32_e32 v10, vcc_lo, s1, v10, vcc_lo
	global_load_i8 v11, v[2:3], off
	global_load_i8 v9, v[9:10], off
	v_add_co_u32 v2, vcc_lo, 0x1e4, v2
	v_add_co_ci_u32_e32 v3, vcc_lo, 0, v3, vcc_lo
	s_waitcnt vmcnt(1)
	v_cvt_f32_i32_e32 v10, v11
	s_waitcnt vmcnt(0)
	v_cvt_f32_i32_e32 v9, v9
	s_delay_alu instid0(VALU_DEP_1)
	v_fmac_f32_e32 v6, v10, v9
	s_branch .LBB261_9
.LBB261_12:
	s_set_inst_prefetch_distance 0x2
	v_lshlrev_b32_e32 v1, 2, v0
	s_and_b32 vcc_lo, exec_lo, s3
	ds_store_b32 v1, v6
	s_waitcnt lgkmcnt(0)
	s_barrier
	buffer_gl0_inv
	s_cbranch_vccz .LBB261_24
; %bb.13:
	s_mov_b32 s0, exec_lo
	v_cmpx_gt_u16_e32 6, v7
	s_cbranch_execz .LBB261_15
; %bb.14:
	ds_load_2addr_b32 v[2:3], v1 offset1:16
	s_waitcnt lgkmcnt(0)
	v_add_f32_e32 v2, v3, v2
	ds_store_b32 v1, v2
.LBB261_15:
	s_or_b32 exec_lo, exec_lo, s0
	s_delay_alu instid0(SALU_CYCLE_1)
	s_mov_b32 s0, exec_lo
	s_waitcnt lgkmcnt(0)
	s_barrier
	buffer_gl0_inv
	v_cmpx_gt_u16_e32 8, v7
	s_cbranch_execz .LBB261_17
; %bb.16:
	ds_load_2addr_b32 v[2:3], v1 offset1:8
	s_waitcnt lgkmcnt(0)
	v_add_f32_e32 v2, v3, v2
	ds_store_b32 v1, v2
.LBB261_17:
	s_or_b32 exec_lo, exec_lo, s0
	s_delay_alu instid0(SALU_CYCLE_1)
	s_mov_b32 s0, exec_lo
	s_waitcnt lgkmcnt(0)
	s_barrier
	buffer_gl0_inv
	;; [unrolled: 14-line block ×3, first 2 shown]
	v_cmpx_gt_u16_e32 2, v7
	s_cbranch_execz .LBB261_21
; %bb.20:
	ds_load_2addr_b32 v[2:3], v1 offset1:2
	s_waitcnt lgkmcnt(0)
	v_add_f32_e32 v2, v3, v2
	ds_store_b32 v1, v2
.LBB261_21:
	s_or_b32 exec_lo, exec_lo, s0
	s_mov_b32 s1, 0
	s_mov_b32 s0, 0
	s_mov_b32 s2, exec_lo
	s_waitcnt lgkmcnt(0)
	s_barrier
	buffer_gl0_inv
                                        ; implicit-def: $vgpr2
                                        ; implicit-def: $vgpr3
	v_cmpx_gt_u32_e32 22, v0
	s_xor_b32 s2, exec_lo, s2
; %bb.22:
	v_mul_u32_u24_e32 v2, 22, v0
	v_mad_u32_u24 v3, 0x54, v0, v1
	s_mov_b32 s0, exec_lo
	s_delay_alu instid0(VALU_DEP_2)
	v_or_b32_e32 v2, 1, v2
; %bb.23:
	s_or_b32 exec_lo, exec_lo, s2
	s_delay_alu instid0(SALU_CYCLE_1)
	s_and_b32 vcc_lo, exec_lo, s1
	s_cbranch_vccnz .LBB261_25
	s_branch .LBB261_36
.LBB261_24:
	s_mov_b32 s0, 0
                                        ; implicit-def: $vgpr2
                                        ; implicit-def: $vgpr3
	s_cbranch_execz .LBB261_36
.LBB261_25:
	s_mov_b32 s1, exec_lo
	v_cmpx_gt_u32_e32 0x84, v0
	s_cbranch_execz .LBB261_27
; %bb.26:
	ds_load_b32 v2, v1 offset:1408
	ds_load_b32 v3, v1
	s_waitcnt lgkmcnt(0)
	v_add_f32_e32 v2, v2, v3
	ds_store_b32 v1, v2
.LBB261_27:
	s_or_b32 exec_lo, exec_lo, s1
	s_delay_alu instid0(SALU_CYCLE_1)
	s_mov_b32 s1, exec_lo
	s_waitcnt lgkmcnt(0)
	s_barrier
	buffer_gl0_inv
	v_cmpx_gt_u32_e32 0xb0, v0
	s_cbranch_execz .LBB261_29
; %bb.28:
	ds_load_2addr_b32 v[2:3], v1 offset1:176
	s_waitcnt lgkmcnt(0)
	v_add_f32_e32 v2, v3, v2
	ds_store_b32 v1, v2
.LBB261_29:
	s_or_b32 exec_lo, exec_lo, s1
	s_delay_alu instid0(SALU_CYCLE_1)
	s_mov_b32 s1, exec_lo
	s_waitcnt lgkmcnt(0)
	s_barrier
	buffer_gl0_inv
	v_cmpx_gt_u32_e32 0x58, v0
	s_cbranch_execz .LBB261_31
; %bb.30:
	ds_load_2addr_b32 v[2:3], v1 offset1:88
	s_waitcnt lgkmcnt(0)
	v_add_f32_e32 v2, v3, v2
	ds_store_b32 v1, v2
.LBB261_31:
	;; [unrolled: 14-line block ×3, first 2 shown]
	s_or_b32 exec_lo, exec_lo, s1
	s_delay_alu instid0(SALU_CYCLE_1)
	s_mov_b32 s1, exec_lo
	s_waitcnt lgkmcnt(0)
	buffer_gl0_inv
                                        ; implicit-def: $vgpr2
	v_cmpx_gt_u32_e32 22, v0
; %bb.34:
	v_add_nc_u32_e32 v2, 22, v0
	s_or_b32 s0, s0, exec_lo
                                        ; implicit-def: $vgpr6
; %bb.35:
	s_or_b32 exec_lo, exec_lo, s1
	v_mov_b32_e32 v3, v1
.LBB261_36:
	s_and_saveexec_b32 s1, s0
	s_cbranch_execz .LBB261_38
; %bb.37:
	v_lshlrev_b32_e32 v1, 2, v2
	ds_load_b32 v2, v3
	ds_load_b32 v1, v1
	s_waitcnt lgkmcnt(0)
	v_add_f32_e32 v6, v2, v1
.LBB261_38:
	s_or_b32 exec_lo, exec_lo, s1
	s_delay_alu instid0(SALU_CYCLE_1)
	s_mov_b32 s0, exec_lo
	v_cmpx_gt_u32_e32 22, v0
	s_cbranch_execz .LBB261_42
; %bb.39:
	v_cmp_eq_f32_e64 s0, s8, 0
	v_mul_f32_e32 v1, s12, v6
	s_delay_alu instid0(VALU_DEP_2)
	s_and_b32 vcc_lo, exec_lo, s0
	s_mov_b32 s0, 0
	s_cbranch_vccz .LBB261_43
; %bb.40:
	s_delay_alu instid0(VALU_DEP_1) | instskip(SKIP_1) | instid1(VALU_DEP_1)
	v_mad_u64_u32 v[2:3], null, s10, 22, v[0:1]
	v_mov_b32_e32 v3, 0
	v_lshlrev_b64 v[2:3], 2, v[2:3]
	s_delay_alu instid0(VALU_DEP_1) | instskip(NEXT) | instid1(VALU_DEP_2)
	v_add_co_u32 v2, vcc_lo, s14, v2
	v_add_co_ci_u32_e32 v3, vcc_lo, s15, v3, vcc_lo
	global_store_b32 v[2:3], v1, off
	s_and_not1_b32 vcc_lo, exec_lo, s0
	s_cbranch_vccnz .LBB261_42
.LBB261_41:
	v_mad_u64_u32 v[2:3], null, s10, 22, v[0:1]
	v_mov_b32_e32 v3, 0
	s_delay_alu instid0(VALU_DEP_1) | instskip(NEXT) | instid1(VALU_DEP_1)
	v_lshlrev_b64 v[2:3], 2, v[2:3]
	v_add_co_u32 v2, vcc_lo, s14, v2
	s_delay_alu instid0(VALU_DEP_2)
	v_add_co_ci_u32_e32 v3, vcc_lo, s15, v3, vcc_lo
	global_load_b32 v0, v[2:3], off
	s_waitcnt vmcnt(0)
	v_fmac_f32_e32 v1, s8, v0
	global_store_b32 v[2:3], v1, off
.LBB261_42:
	s_nop 0
	s_sendmsg sendmsg(MSG_DEALLOC_VGPRS)
	s_endpgm
.LBB261_43:
	s_branch .LBB261_41
	.section	.rodata,"a",@progbits
	.p2align	6, 0x0
	.amdhsa_kernel _ZN9rocsparseL20bsrxmvn_17_32_kernelILj22EfliaafEEvT2_20rocsparse_direction_NS_24const_host_device_scalarIT0_EES1_PKS1_PKT1_SA_S7_PKT3_PKT4_S5_PT5_21rocsparse_index_base_b
		.amdhsa_group_segment_fixed_size 1936
		.amdhsa_private_segment_fixed_size 0
		.amdhsa_kernarg_size 96
		.amdhsa_user_sgpr_count 15
		.amdhsa_user_sgpr_dispatch_ptr 0
		.amdhsa_user_sgpr_queue_ptr 0
		.amdhsa_user_sgpr_kernarg_segment_ptr 1
		.amdhsa_user_sgpr_dispatch_id 0
		.amdhsa_user_sgpr_private_segment_size 0
		.amdhsa_wavefront_size32 1
		.amdhsa_uses_dynamic_stack 0
		.amdhsa_enable_private_segment 0
		.amdhsa_system_sgpr_workgroup_id_x 1
		.amdhsa_system_sgpr_workgroup_id_y 0
		.amdhsa_system_sgpr_workgroup_id_z 0
		.amdhsa_system_sgpr_workgroup_info 0
		.amdhsa_system_vgpr_workitem_id 0
		.amdhsa_next_free_vgpr 12
		.amdhsa_next_free_sgpr 24
		.amdhsa_reserve_vcc 1
		.amdhsa_float_round_mode_32 0
		.amdhsa_float_round_mode_16_64 0
		.amdhsa_float_denorm_mode_32 3
		.amdhsa_float_denorm_mode_16_64 3
		.amdhsa_dx10_clamp 1
		.amdhsa_ieee_mode 1
		.amdhsa_fp16_overflow 0
		.amdhsa_workgroup_processor_mode 1
		.amdhsa_memory_ordered 1
		.amdhsa_forward_progress 0
		.amdhsa_shared_vgpr_count 0
		.amdhsa_exception_fp_ieee_invalid_op 0
		.amdhsa_exception_fp_denorm_src 0
		.amdhsa_exception_fp_ieee_div_zero 0
		.amdhsa_exception_fp_ieee_overflow 0
		.amdhsa_exception_fp_ieee_underflow 0
		.amdhsa_exception_fp_ieee_inexact 0
		.amdhsa_exception_int_div_zero 0
	.end_amdhsa_kernel
	.section	.text._ZN9rocsparseL20bsrxmvn_17_32_kernelILj22EfliaafEEvT2_20rocsparse_direction_NS_24const_host_device_scalarIT0_EES1_PKS1_PKT1_SA_S7_PKT3_PKT4_S5_PT5_21rocsparse_index_base_b,"axG",@progbits,_ZN9rocsparseL20bsrxmvn_17_32_kernelILj22EfliaafEEvT2_20rocsparse_direction_NS_24const_host_device_scalarIT0_EES1_PKS1_PKT1_SA_S7_PKT3_PKT4_S5_PT5_21rocsparse_index_base_b,comdat
.Lfunc_end261:
	.size	_ZN9rocsparseL20bsrxmvn_17_32_kernelILj22EfliaafEEvT2_20rocsparse_direction_NS_24const_host_device_scalarIT0_EES1_PKS1_PKT1_SA_S7_PKT3_PKT4_S5_PT5_21rocsparse_index_base_b, .Lfunc_end261-_ZN9rocsparseL20bsrxmvn_17_32_kernelILj22EfliaafEEvT2_20rocsparse_direction_NS_24const_host_device_scalarIT0_EES1_PKS1_PKT1_SA_S7_PKT3_PKT4_S5_PT5_21rocsparse_index_base_b
                                        ; -- End function
	.section	.AMDGPU.csdata,"",@progbits
; Kernel info:
; codeLenInByte = 1636
; NumSgprs: 26
; NumVgprs: 12
; ScratchSize: 0
; MemoryBound: 0
; FloatMode: 240
; IeeeMode: 1
; LDSByteSize: 1936 bytes/workgroup (compile time only)
; SGPRBlocks: 3
; VGPRBlocks: 1
; NumSGPRsForWavesPerEU: 26
; NumVGPRsForWavesPerEU: 12
; Occupancy: 16
; WaveLimiterHint : 1
; COMPUTE_PGM_RSRC2:SCRATCH_EN: 0
; COMPUTE_PGM_RSRC2:USER_SGPR: 15
; COMPUTE_PGM_RSRC2:TRAP_HANDLER: 0
; COMPUTE_PGM_RSRC2:TGID_X_EN: 1
; COMPUTE_PGM_RSRC2:TGID_Y_EN: 0
; COMPUTE_PGM_RSRC2:TGID_Z_EN: 0
; COMPUTE_PGM_RSRC2:TIDIG_COMP_CNT: 0
	.section	.text._ZN9rocsparseL20bsrxmvn_17_32_kernelILj23EfliaafEEvT2_20rocsparse_direction_NS_24const_host_device_scalarIT0_EES1_PKS1_PKT1_SA_S7_PKT3_PKT4_S5_PT5_21rocsparse_index_base_b,"axG",@progbits,_ZN9rocsparseL20bsrxmvn_17_32_kernelILj23EfliaafEEvT2_20rocsparse_direction_NS_24const_host_device_scalarIT0_EES1_PKS1_PKT1_SA_S7_PKT3_PKT4_S5_PT5_21rocsparse_index_base_b,comdat
	.globl	_ZN9rocsparseL20bsrxmvn_17_32_kernelILj23EfliaafEEvT2_20rocsparse_direction_NS_24const_host_device_scalarIT0_EES1_PKS1_PKT1_SA_S7_PKT3_PKT4_S5_PT5_21rocsparse_index_base_b ; -- Begin function _ZN9rocsparseL20bsrxmvn_17_32_kernelILj23EfliaafEEvT2_20rocsparse_direction_NS_24const_host_device_scalarIT0_EES1_PKS1_PKT1_SA_S7_PKT3_PKT4_S5_PT5_21rocsparse_index_base_b
	.p2align	8
	.type	_ZN9rocsparseL20bsrxmvn_17_32_kernelILj23EfliaafEEvT2_20rocsparse_direction_NS_24const_host_device_scalarIT0_EES1_PKS1_PKT1_SA_S7_PKT3_PKT4_S5_PT5_21rocsparse_index_base_b,@function
_ZN9rocsparseL20bsrxmvn_17_32_kernelILj23EfliaafEEvT2_20rocsparse_direction_NS_24const_host_device_scalarIT0_EES1_PKS1_PKT1_SA_S7_PKT3_PKT4_S5_PT5_21rocsparse_index_base_b: ; @_ZN9rocsparseL20bsrxmvn_17_32_kernelILj23EfliaafEEvT2_20rocsparse_direction_NS_24const_host_device_scalarIT0_EES1_PKS1_PKT1_SA_S7_PKT3_PKT4_S5_PT5_21rocsparse_index_base_b
; %bb.0:
	s_mov_b32 s10, s15
	s_clause 0x2
	s_load_b64 s[14:15], s[0:1], 0x58
	s_load_b64 s[12:13], s[0:1], 0x8
	;; [unrolled: 1-line block ×3, first 2 shown]
	s_waitcnt lgkmcnt(0)
	s_bitcmp1_b32 s15, 0
	s_cselect_b32 s2, -1, 0
	s_delay_alu instid0(SALU_CYCLE_1)
	s_and_b32 vcc_lo, exec_lo, s2
	s_xor_b32 s2, s2, -1
	s_cbranch_vccnz .LBB262_2
; %bb.1:
	s_load_b32 s12, s[12:13], 0x0
.LBB262_2:
	s_and_not1_b32 vcc_lo, exec_lo, s2
	s_cbranch_vccnz .LBB262_4
; %bb.3:
	s_load_b32 s8, s[8:9], 0x0
.LBB262_4:
	s_waitcnt lgkmcnt(0)
	v_cmp_neq_f32_e64 s2, s12, 0
	v_cmp_neq_f32_e64 s3, s8, 1.0
	s_delay_alu instid0(VALU_DEP_1) | instskip(NEXT) | instid1(SALU_CYCLE_1)
	s_or_b32 s2, s2, s3
	s_and_not1_b32 vcc_lo, exec_lo, s2
	s_cbranch_vccnz .LBB262_42
; %bb.5:
	s_clause 0x1
	s_load_b128 s[4:7], s[0:1], 0x18
	s_load_b64 s[16:17], s[0:1], 0x28
	s_waitcnt lgkmcnt(0)
	s_cmp_eq_u64 s[4:5], 0
	s_cbranch_scc1 .LBB262_7
; %bb.6:
	s_ashr_i32 s11, s10, 31
	s_delay_alu instid0(SALU_CYCLE_1) | instskip(NEXT) | instid1(SALU_CYCLE_1)
	s_lshl_b64 s[2:3], s[10:11], 2
	s_add_u32 s2, s4, s2
	s_addc_u32 s3, s5, s3
	s_load_b32 s2, s[2:3], 0x0
	s_waitcnt lgkmcnt(0)
	s_sub_i32 s10, s2, s14
.LBB262_7:
	s_load_b32 s3, s[0:1], 0x4
	v_mul_u32_u24_e32 v1, 0xb22, v0
	v_mov_b32_e32 v6, 0
	s_delay_alu instid0(VALU_DEP_2) | instskip(NEXT) | instid1(VALU_DEP_1)
	v_lshrrev_b32_e32 v1, 16, v1
	v_mul_lo_u16 v2, v1, 23
	s_delay_alu instid0(VALU_DEP_1)
	v_sub_nc_u16 v7, v0, v2
	s_waitcnt lgkmcnt(0)
	s_cmp_eq_u32 s3, 1
	s_cselect_b32 s2, -1, 0
	s_cmp_lg_u32 s3, 1
	s_cselect_b32 s3, -1, 0
	s_ashr_i32 s11, s10, 31
	s_delay_alu instid0(SALU_CYCLE_1) | instskip(NEXT) | instid1(SALU_CYCLE_1)
	s_lshl_b64 s[4:5], s[10:11], 3
	s_add_u32 s6, s6, s4
	s_addc_u32 s7, s7, s5
	s_add_u32 s9, s6, 8
	s_addc_u32 s11, s7, 0
	;; [unrolled: 2-line block ×3, first 2 shown]
	s_cmp_eq_u64 s[16:17], 0
	s_cselect_b32 s5, s11, s5
	s_cselect_b32 s4, s9, s4
	s_load_b64 s[18:19], s[6:7], 0x0
	s_load_b64 s[6:7], s[4:5], 0x0
	;; [unrolled: 1-line block ×3, first 2 shown]
	s_waitcnt lgkmcnt(0)
	v_cmp_ge_i64_e64 s9, s[18:19], s[6:7]
	s_delay_alu instid0(VALU_DEP_1)
	s_and_b32 vcc_lo, exec_lo, s9
	s_cbranch_vccnz .LBB262_12
; %bb.8:
	v_dual_mov_b32 v6, 0 :: v_dual_and_b32 v1, 0xffff, v1
	v_cmp_lt_u32_e32 vcc_lo, 0x210, v0
	s_clause 0x1
	s_load_b128 s[20:23], s[0:1], 0x30
	s_load_b64 s[0:1], s[0:1], 0x40
	v_subrev_nc_u32_e32 v3, 23, v1
	s_sub_u32 s6, s6, s14
	v_cndmask_b32_e64 v8, 0, 1, vcc_lo
	v_cmp_gt_u32_e32 vcc_lo, 0x211, v0
	v_and_b32_e32 v2, 0xffff, v7
	s_subb_u32 s7, s7, 0
	s_sub_u32 s16, s18, s14
	s_subb_u32 s17, s19, 0
	v_cndmask_b32_e32 v1, v3, v1, vcc_lo
	s_mul_i32 s9, s17, 0x211
	s_mul_i32 s11, s16, 0x211
	s_delay_alu instid0(VALU_DEP_1) | instskip(SKIP_1) | instid1(VALU_DEP_1)
	v_cndmask_b32_e64 v1, v2, v1, s2
	v_add_co_u32 v2, s2, s18, v8
	v_add_co_ci_u32_e64 v3, null, s19, 0, s2
	s_mul_hi_u32 s2, s16, 0x211
	s_delay_alu instid0(VALU_DEP_2) | instskip(NEXT) | instid1(VALU_DEP_2)
	v_sub_co_u32 v2, vcc_lo, v2, s14
	v_subrev_co_ci_u32_e32 v3, vcc_lo, 0, v3, vcc_lo
	s_add_i32 s2, s2, s9
	s_waitcnt lgkmcnt(0)
	s_add_u32 s9, s22, s11
	s_addc_u32 s2, s23, s2
	v_lshlrev_b64 v[4:5], 2, v[2:3]
	v_add_co_u32 v2, s9, s9, v0
	s_delay_alu instid0(VALU_DEP_1) | instskip(NEXT) | instid1(VALU_DEP_3)
	v_add_co_ci_u32_e64 v3, null, s2, 0, s9
	v_add_co_u32 v4, vcc_lo, s20, v4
	s_delay_alu instid0(VALU_DEP_4)
	v_add_co_ci_u32_e32 v5, vcc_lo, s21, v5, vcc_lo
	s_set_inst_prefetch_distance 0x1
	s_branch .LBB262_10
	.p2align	6
.LBB262_9:                              ;   in Loop: Header=BB262_10 Depth=1
	s_or_b32 exec_lo, exec_lo, s2
	s_add_u32 s16, s16, 1
	s_addc_u32 s17, s17, 0
	v_add_co_u32 v4, vcc_lo, v4, 4
	v_cmp_lt_i64_e64 s2, s[16:17], s[6:7]
	v_add_co_ci_u32_e32 v5, vcc_lo, 0, v5, vcc_lo
	s_delay_alu instid0(VALU_DEP_2)
	s_and_b32 vcc_lo, exec_lo, s2
	s_cbranch_vccz .LBB262_12
.LBB262_10:                             ; =>This Inner Loop Header: Depth=1
	v_add_co_u32 v9, s2, v8, s16
	s_delay_alu instid0(VALU_DEP_1) | instskip(SKIP_1) | instid1(VALU_DEP_1)
	v_add_co_ci_u32_e64 v10, null, 0, s17, s2
	s_mov_b32 s2, exec_lo
	v_cmpx_gt_i64_e64 s[6:7], v[9:10]
	s_cbranch_execz .LBB262_9
; %bb.11:                               ;   in Loop: Header=BB262_10 Depth=1
	global_load_b32 v9, v[4:5], off
	s_waitcnt vmcnt(0)
	v_subrev_nc_u32_e32 v11, s14, v9
	s_delay_alu instid0(VALU_DEP_1) | instskip(NEXT) | instid1(VALU_DEP_1)
	v_mad_u64_u32 v[9:10], null, v11, 23, v[1:2]
	v_ashrrev_i32_e32 v10, 31, v9
	v_add_co_u32 v9, vcc_lo, s0, v9
	s_delay_alu instid0(VALU_DEP_2)
	v_add_co_ci_u32_e32 v10, vcc_lo, s1, v10, vcc_lo
	global_load_i8 v11, v[2:3], off
	global_load_i8 v9, v[9:10], off
	v_add_co_u32 v2, vcc_lo, 0x211, v2
	v_add_co_ci_u32_e32 v3, vcc_lo, 0, v3, vcc_lo
	s_waitcnt vmcnt(1)
	v_cvt_f32_i32_e32 v10, v11
	s_waitcnt vmcnt(0)
	v_cvt_f32_i32_e32 v9, v9
	s_delay_alu instid0(VALU_DEP_1)
	v_fmac_f32_e32 v6, v10, v9
	s_branch .LBB262_9
.LBB262_12:
	s_set_inst_prefetch_distance 0x2
	v_lshlrev_b32_e32 v1, 2, v0
	s_and_b32 vcc_lo, exec_lo, s3
	ds_store_b32 v1, v6
	s_waitcnt lgkmcnt(0)
	s_barrier
	buffer_gl0_inv
	s_cbranch_vccz .LBB262_24
; %bb.13:
	s_mov_b32 s0, exec_lo
	v_cmpx_gt_u16_e32 7, v7
	s_cbranch_execz .LBB262_15
; %bb.14:
	ds_load_2addr_b32 v[2:3], v1 offset1:16
	s_waitcnt lgkmcnt(0)
	v_add_f32_e32 v2, v3, v2
	ds_store_b32 v1, v2
.LBB262_15:
	s_or_b32 exec_lo, exec_lo, s0
	s_delay_alu instid0(SALU_CYCLE_1)
	s_mov_b32 s0, exec_lo
	s_waitcnt lgkmcnt(0)
	s_barrier
	buffer_gl0_inv
	v_cmpx_gt_u16_e32 8, v7
	s_cbranch_execz .LBB262_17
; %bb.16:
	ds_load_2addr_b32 v[2:3], v1 offset1:8
	s_waitcnt lgkmcnt(0)
	v_add_f32_e32 v2, v3, v2
	ds_store_b32 v1, v2
.LBB262_17:
	s_or_b32 exec_lo, exec_lo, s0
	s_delay_alu instid0(SALU_CYCLE_1)
	s_mov_b32 s0, exec_lo
	s_waitcnt lgkmcnt(0)
	s_barrier
	buffer_gl0_inv
	;; [unrolled: 14-line block ×3, first 2 shown]
	v_cmpx_gt_u16_e32 2, v7
	s_cbranch_execz .LBB262_21
; %bb.20:
	ds_load_2addr_b32 v[2:3], v1 offset1:2
	s_waitcnt lgkmcnt(0)
	v_add_f32_e32 v2, v3, v2
	ds_store_b32 v1, v2
.LBB262_21:
	s_or_b32 exec_lo, exec_lo, s0
	s_mov_b32 s1, 0
	s_mov_b32 s0, 0
	s_mov_b32 s2, exec_lo
	s_waitcnt lgkmcnt(0)
	s_barrier
	buffer_gl0_inv
                                        ; implicit-def: $vgpr2
                                        ; implicit-def: $vgpr3
	v_cmpx_gt_u32_e32 23, v0
	s_xor_b32 s2, exec_lo, s2
; %bb.22:
	v_mad_u32_u24 v2, v0, 23, 1
	v_mad_u32_u24 v3, 0x58, v0, v1
	s_mov_b32 s0, exec_lo
; %bb.23:
	s_or_b32 exec_lo, exec_lo, s2
	s_delay_alu instid0(SALU_CYCLE_1)
	s_and_b32 vcc_lo, exec_lo, s1
	s_cbranch_vccnz .LBB262_25
	s_branch .LBB262_36
.LBB262_24:
	s_mov_b32 s0, 0
                                        ; implicit-def: $vgpr2
                                        ; implicit-def: $vgpr3
	s_cbranch_execz .LBB262_36
.LBB262_25:
	s_mov_b32 s1, exec_lo
	v_cmpx_gt_u32_e32 0xa1, v0
	s_cbranch_execz .LBB262_27
; %bb.26:
	ds_load_b32 v2, v1 offset:1472
	ds_load_b32 v3, v1
	s_waitcnt lgkmcnt(0)
	v_add_f32_e32 v2, v2, v3
	ds_store_b32 v1, v2
.LBB262_27:
	s_or_b32 exec_lo, exec_lo, s1
	s_delay_alu instid0(SALU_CYCLE_1)
	s_mov_b32 s1, exec_lo
	s_waitcnt lgkmcnt(0)
	s_barrier
	buffer_gl0_inv
	v_cmpx_gt_u32_e32 0xb8, v0
	s_cbranch_execz .LBB262_29
; %bb.28:
	ds_load_2addr_b32 v[2:3], v1 offset1:184
	s_waitcnt lgkmcnt(0)
	v_add_f32_e32 v2, v3, v2
	ds_store_b32 v1, v2
.LBB262_29:
	s_or_b32 exec_lo, exec_lo, s1
	s_delay_alu instid0(SALU_CYCLE_1)
	s_mov_b32 s1, exec_lo
	s_waitcnt lgkmcnt(0)
	s_barrier
	buffer_gl0_inv
	v_cmpx_gt_u32_e32 0x5c, v0
	s_cbranch_execz .LBB262_31
; %bb.30:
	ds_load_2addr_b32 v[2:3], v1 offset1:92
	s_waitcnt lgkmcnt(0)
	v_add_f32_e32 v2, v3, v2
	ds_store_b32 v1, v2
.LBB262_31:
	;; [unrolled: 14-line block ×3, first 2 shown]
	s_or_b32 exec_lo, exec_lo, s1
	s_delay_alu instid0(SALU_CYCLE_1)
	s_mov_b32 s1, exec_lo
	s_waitcnt lgkmcnt(0)
	buffer_gl0_inv
                                        ; implicit-def: $vgpr2
	v_cmpx_gt_u32_e32 23, v0
; %bb.34:
	v_add_nc_u32_e32 v2, 23, v0
	s_or_b32 s0, s0, exec_lo
                                        ; implicit-def: $vgpr6
; %bb.35:
	s_or_b32 exec_lo, exec_lo, s1
	v_mov_b32_e32 v3, v1
.LBB262_36:
	s_and_saveexec_b32 s1, s0
	s_cbranch_execz .LBB262_38
; %bb.37:
	v_lshlrev_b32_e32 v1, 2, v2
	ds_load_b32 v2, v3
	ds_load_b32 v1, v1
	s_waitcnt lgkmcnt(0)
	v_add_f32_e32 v6, v2, v1
.LBB262_38:
	s_or_b32 exec_lo, exec_lo, s1
	s_delay_alu instid0(SALU_CYCLE_1)
	s_mov_b32 s0, exec_lo
	v_cmpx_gt_u32_e32 23, v0
	s_cbranch_execz .LBB262_42
; %bb.39:
	v_cmp_eq_f32_e64 s0, s8, 0
	v_mul_f32_e32 v1, s12, v6
	s_delay_alu instid0(VALU_DEP_2)
	s_and_b32 vcc_lo, exec_lo, s0
	s_mov_b32 s0, 0
	s_cbranch_vccz .LBB262_43
; %bb.40:
	s_delay_alu instid0(VALU_DEP_1) | instskip(SKIP_1) | instid1(VALU_DEP_1)
	v_mad_u64_u32 v[2:3], null, s10, 23, v[0:1]
	v_mov_b32_e32 v3, 0
	v_lshlrev_b64 v[2:3], 2, v[2:3]
	s_delay_alu instid0(VALU_DEP_1) | instskip(NEXT) | instid1(VALU_DEP_2)
	v_add_co_u32 v2, vcc_lo, s4, v2
	v_add_co_ci_u32_e32 v3, vcc_lo, s5, v3, vcc_lo
	global_store_b32 v[2:3], v1, off
	s_and_not1_b32 vcc_lo, exec_lo, s0
	s_cbranch_vccnz .LBB262_42
.LBB262_41:
	v_mad_u64_u32 v[2:3], null, s10, 23, v[0:1]
	v_mov_b32_e32 v3, 0
	s_delay_alu instid0(VALU_DEP_1) | instskip(NEXT) | instid1(VALU_DEP_1)
	v_lshlrev_b64 v[2:3], 2, v[2:3]
	v_add_co_u32 v2, vcc_lo, s4, v2
	s_delay_alu instid0(VALU_DEP_2)
	v_add_co_ci_u32_e32 v3, vcc_lo, s5, v3, vcc_lo
	global_load_b32 v0, v[2:3], off
	s_waitcnt vmcnt(0)
	v_fmac_f32_e32 v1, s8, v0
	global_store_b32 v[2:3], v1, off
.LBB262_42:
	s_nop 0
	s_sendmsg sendmsg(MSG_DEALLOC_VGPRS)
	s_endpgm
.LBB262_43:
	s_branch .LBB262_41
	.section	.rodata,"a",@progbits
	.p2align	6, 0x0
	.amdhsa_kernel _ZN9rocsparseL20bsrxmvn_17_32_kernelILj23EfliaafEEvT2_20rocsparse_direction_NS_24const_host_device_scalarIT0_EES1_PKS1_PKT1_SA_S7_PKT3_PKT4_S5_PT5_21rocsparse_index_base_b
		.amdhsa_group_segment_fixed_size 2116
		.amdhsa_private_segment_fixed_size 0
		.amdhsa_kernarg_size 96
		.amdhsa_user_sgpr_count 15
		.amdhsa_user_sgpr_dispatch_ptr 0
		.amdhsa_user_sgpr_queue_ptr 0
		.amdhsa_user_sgpr_kernarg_segment_ptr 1
		.amdhsa_user_sgpr_dispatch_id 0
		.amdhsa_user_sgpr_private_segment_size 0
		.amdhsa_wavefront_size32 1
		.amdhsa_uses_dynamic_stack 0
		.amdhsa_enable_private_segment 0
		.amdhsa_system_sgpr_workgroup_id_x 1
		.amdhsa_system_sgpr_workgroup_id_y 0
		.amdhsa_system_sgpr_workgroup_id_z 0
		.amdhsa_system_sgpr_workgroup_info 0
		.amdhsa_system_vgpr_workitem_id 0
		.amdhsa_next_free_vgpr 12
		.amdhsa_next_free_sgpr 24
		.amdhsa_reserve_vcc 1
		.amdhsa_float_round_mode_32 0
		.amdhsa_float_round_mode_16_64 0
		.amdhsa_float_denorm_mode_32 3
		.amdhsa_float_denorm_mode_16_64 3
		.amdhsa_dx10_clamp 1
		.amdhsa_ieee_mode 1
		.amdhsa_fp16_overflow 0
		.amdhsa_workgroup_processor_mode 1
		.amdhsa_memory_ordered 1
		.amdhsa_forward_progress 0
		.amdhsa_shared_vgpr_count 0
		.amdhsa_exception_fp_ieee_invalid_op 0
		.amdhsa_exception_fp_denorm_src 0
		.amdhsa_exception_fp_ieee_div_zero 0
		.amdhsa_exception_fp_ieee_overflow 0
		.amdhsa_exception_fp_ieee_underflow 0
		.amdhsa_exception_fp_ieee_inexact 0
		.amdhsa_exception_int_div_zero 0
	.end_amdhsa_kernel
	.section	.text._ZN9rocsparseL20bsrxmvn_17_32_kernelILj23EfliaafEEvT2_20rocsparse_direction_NS_24const_host_device_scalarIT0_EES1_PKS1_PKT1_SA_S7_PKT3_PKT4_S5_PT5_21rocsparse_index_base_b,"axG",@progbits,_ZN9rocsparseL20bsrxmvn_17_32_kernelILj23EfliaafEEvT2_20rocsparse_direction_NS_24const_host_device_scalarIT0_EES1_PKS1_PKT1_SA_S7_PKT3_PKT4_S5_PT5_21rocsparse_index_base_b,comdat
.Lfunc_end262:
	.size	_ZN9rocsparseL20bsrxmvn_17_32_kernelILj23EfliaafEEvT2_20rocsparse_direction_NS_24const_host_device_scalarIT0_EES1_PKS1_PKT1_SA_S7_PKT3_PKT4_S5_PT5_21rocsparse_index_base_b, .Lfunc_end262-_ZN9rocsparseL20bsrxmvn_17_32_kernelILj23EfliaafEEvT2_20rocsparse_direction_NS_24const_host_device_scalarIT0_EES1_PKS1_PKT1_SA_S7_PKT3_PKT4_S5_PT5_21rocsparse_index_base_b
                                        ; -- End function
	.section	.AMDGPU.csdata,"",@progbits
; Kernel info:
; codeLenInByte = 1612
; NumSgprs: 26
; NumVgprs: 12
; ScratchSize: 0
; MemoryBound: 0
; FloatMode: 240
; IeeeMode: 1
; LDSByteSize: 2116 bytes/workgroup (compile time only)
; SGPRBlocks: 3
; VGPRBlocks: 1
; NumSGPRsForWavesPerEU: 26
; NumVGPRsForWavesPerEU: 12
; Occupancy: 13
; WaveLimiterHint : 1
; COMPUTE_PGM_RSRC2:SCRATCH_EN: 0
; COMPUTE_PGM_RSRC2:USER_SGPR: 15
; COMPUTE_PGM_RSRC2:TRAP_HANDLER: 0
; COMPUTE_PGM_RSRC2:TGID_X_EN: 1
; COMPUTE_PGM_RSRC2:TGID_Y_EN: 0
; COMPUTE_PGM_RSRC2:TGID_Z_EN: 0
; COMPUTE_PGM_RSRC2:TIDIG_COMP_CNT: 0
	.section	.text._ZN9rocsparseL20bsrxmvn_17_32_kernelILj24EfliaafEEvT2_20rocsparse_direction_NS_24const_host_device_scalarIT0_EES1_PKS1_PKT1_SA_S7_PKT3_PKT4_S5_PT5_21rocsparse_index_base_b,"axG",@progbits,_ZN9rocsparseL20bsrxmvn_17_32_kernelILj24EfliaafEEvT2_20rocsparse_direction_NS_24const_host_device_scalarIT0_EES1_PKS1_PKT1_SA_S7_PKT3_PKT4_S5_PT5_21rocsparse_index_base_b,comdat
	.globl	_ZN9rocsparseL20bsrxmvn_17_32_kernelILj24EfliaafEEvT2_20rocsparse_direction_NS_24const_host_device_scalarIT0_EES1_PKS1_PKT1_SA_S7_PKT3_PKT4_S5_PT5_21rocsparse_index_base_b ; -- Begin function _ZN9rocsparseL20bsrxmvn_17_32_kernelILj24EfliaafEEvT2_20rocsparse_direction_NS_24const_host_device_scalarIT0_EES1_PKS1_PKT1_SA_S7_PKT3_PKT4_S5_PT5_21rocsparse_index_base_b
	.p2align	8
	.type	_ZN9rocsparseL20bsrxmvn_17_32_kernelILj24EfliaafEEvT2_20rocsparse_direction_NS_24const_host_device_scalarIT0_EES1_PKS1_PKT1_SA_S7_PKT3_PKT4_S5_PT5_21rocsparse_index_base_b,@function
_ZN9rocsparseL20bsrxmvn_17_32_kernelILj24EfliaafEEvT2_20rocsparse_direction_NS_24const_host_device_scalarIT0_EES1_PKS1_PKT1_SA_S7_PKT3_PKT4_S5_PT5_21rocsparse_index_base_b: ; @_ZN9rocsparseL20bsrxmvn_17_32_kernelILj24EfliaafEEvT2_20rocsparse_direction_NS_24const_host_device_scalarIT0_EES1_PKS1_PKT1_SA_S7_PKT3_PKT4_S5_PT5_21rocsparse_index_base_b
; %bb.0:
	s_mov_b32 s10, s15
	s_clause 0x2
	s_load_b64 s[14:15], s[0:1], 0x58
	s_load_b64 s[12:13], s[0:1], 0x8
	;; [unrolled: 1-line block ×3, first 2 shown]
	s_waitcnt lgkmcnt(0)
	s_bitcmp1_b32 s15, 0
	s_cselect_b32 s2, -1, 0
	s_delay_alu instid0(SALU_CYCLE_1)
	s_and_b32 vcc_lo, exec_lo, s2
	s_xor_b32 s2, s2, -1
	s_cbranch_vccnz .LBB263_2
; %bb.1:
	s_load_b32 s12, s[12:13], 0x0
.LBB263_2:
	s_and_not1_b32 vcc_lo, exec_lo, s2
	s_cbranch_vccnz .LBB263_4
; %bb.3:
	s_load_b32 s8, s[8:9], 0x0
.LBB263_4:
	s_waitcnt lgkmcnt(0)
	v_cmp_neq_f32_e64 s2, s12, 0
	v_cmp_neq_f32_e64 s3, s8, 1.0
	s_delay_alu instid0(VALU_DEP_1) | instskip(NEXT) | instid1(SALU_CYCLE_1)
	s_or_b32 s2, s2, s3
	s_and_not1_b32 vcc_lo, exec_lo, s2
	s_cbranch_vccnz .LBB263_42
; %bb.5:
	s_clause 0x1
	s_load_b128 s[4:7], s[0:1], 0x18
	s_load_b64 s[16:17], s[0:1], 0x28
	s_waitcnt lgkmcnt(0)
	s_cmp_eq_u64 s[4:5], 0
	s_cbranch_scc1 .LBB263_7
; %bb.6:
	s_ashr_i32 s11, s10, 31
	s_delay_alu instid0(SALU_CYCLE_1) | instskip(NEXT) | instid1(SALU_CYCLE_1)
	s_lshl_b64 s[2:3], s[10:11], 2
	s_add_u32 s2, s4, s2
	s_addc_u32 s3, s5, s3
	s_load_b32 s2, s[2:3], 0x0
	s_waitcnt lgkmcnt(0)
	s_sub_i32 s10, s2, s14
.LBB263_7:
	s_load_b32 s3, s[0:1], 0x4
	v_mul_u32_u24_e32 v1, 0xaab, v0
	v_mov_b32_e32 v6, 0
	s_delay_alu instid0(VALU_DEP_2) | instskip(NEXT) | instid1(VALU_DEP_1)
	v_lshrrev_b32_e32 v1, 16, v1
	v_mul_lo_u16 v2, v1, 24
	s_delay_alu instid0(VALU_DEP_1)
	v_sub_nc_u16 v7, v0, v2
	s_waitcnt lgkmcnt(0)
	s_cmp_eq_u32 s3, 1
	s_cselect_b32 s2, -1, 0
	s_cmp_lg_u32 s3, 1
	s_cselect_b32 s3, -1, 0
	s_ashr_i32 s11, s10, 31
	s_delay_alu instid0(SALU_CYCLE_1) | instskip(NEXT) | instid1(SALU_CYCLE_1)
	s_lshl_b64 s[4:5], s[10:11], 3
	s_add_u32 s6, s6, s4
	s_addc_u32 s7, s7, s5
	s_add_u32 s9, s6, 8
	s_addc_u32 s11, s7, 0
	;; [unrolled: 2-line block ×3, first 2 shown]
	s_cmp_eq_u64 s[16:17], 0
	s_cselect_b32 s5, s11, s5
	s_cselect_b32 s4, s9, s4
	s_load_b64 s[18:19], s[6:7], 0x0
	s_load_b64 s[6:7], s[4:5], 0x0
	;; [unrolled: 1-line block ×3, first 2 shown]
	s_waitcnt lgkmcnt(0)
	v_cmp_ge_i64_e64 s9, s[18:19], s[6:7]
	s_delay_alu instid0(VALU_DEP_1)
	s_and_b32 vcc_lo, exec_lo, s9
	s_cbranch_vccnz .LBB263_12
; %bb.8:
	v_dual_mov_b32 v6, 0 :: v_dual_and_b32 v1, 0xffff, v1
	v_cmp_lt_u32_e32 vcc_lo, 0x23f, v0
	s_clause 0x1
	s_load_b128 s[20:23], s[0:1], 0x30
	s_load_b64 s[0:1], s[0:1], 0x40
	v_subrev_nc_u32_e32 v3, 24, v1
	s_sub_u32 s6, s6, s14
	v_cndmask_b32_e64 v8, 0, 1, vcc_lo
	v_cmp_gt_u32_e32 vcc_lo, 0x240, v0
	v_and_b32_e32 v2, 0xffff, v7
	s_subb_u32 s7, s7, 0
	s_sub_u32 s16, s18, s14
	s_subb_u32 s17, s19, 0
	v_cndmask_b32_e32 v1, v3, v1, vcc_lo
	s_mul_i32 s9, s17, 0x240
	s_mul_i32 s11, s16, 0x240
	s_delay_alu instid0(VALU_DEP_1) | instskip(SKIP_1) | instid1(VALU_DEP_1)
	v_cndmask_b32_e64 v1, v2, v1, s2
	v_add_co_u32 v2, s2, s18, v8
	v_add_co_ci_u32_e64 v3, null, s19, 0, s2
	s_mul_hi_u32 s2, s16, 0x240
	s_delay_alu instid0(VALU_DEP_2) | instskip(NEXT) | instid1(VALU_DEP_2)
	v_sub_co_u32 v2, vcc_lo, v2, s14
	v_subrev_co_ci_u32_e32 v3, vcc_lo, 0, v3, vcc_lo
	s_add_i32 s2, s2, s9
	s_waitcnt lgkmcnt(0)
	s_add_u32 s9, s22, s11
	s_addc_u32 s2, s23, s2
	v_lshlrev_b64 v[4:5], 2, v[2:3]
	v_add_co_u32 v2, s9, s9, v0
	s_delay_alu instid0(VALU_DEP_1) | instskip(NEXT) | instid1(VALU_DEP_3)
	v_add_co_ci_u32_e64 v3, null, s2, 0, s9
	v_add_co_u32 v4, vcc_lo, s20, v4
	s_delay_alu instid0(VALU_DEP_4)
	v_add_co_ci_u32_e32 v5, vcc_lo, s21, v5, vcc_lo
	s_set_inst_prefetch_distance 0x1
	s_branch .LBB263_10
	.p2align	6
.LBB263_9:                              ;   in Loop: Header=BB263_10 Depth=1
	s_or_b32 exec_lo, exec_lo, s2
	s_add_u32 s16, s16, 1
	s_addc_u32 s17, s17, 0
	v_add_co_u32 v4, vcc_lo, v4, 4
	v_cmp_lt_i64_e64 s2, s[16:17], s[6:7]
	v_add_co_ci_u32_e32 v5, vcc_lo, 0, v5, vcc_lo
	s_delay_alu instid0(VALU_DEP_2)
	s_and_b32 vcc_lo, exec_lo, s2
	s_cbranch_vccz .LBB263_12
.LBB263_10:                             ; =>This Inner Loop Header: Depth=1
	v_add_co_u32 v9, s2, v8, s16
	s_delay_alu instid0(VALU_DEP_1) | instskip(SKIP_1) | instid1(VALU_DEP_1)
	v_add_co_ci_u32_e64 v10, null, 0, s17, s2
	s_mov_b32 s2, exec_lo
	v_cmpx_gt_i64_e64 s[6:7], v[9:10]
	s_cbranch_execz .LBB263_9
; %bb.11:                               ;   in Loop: Header=BB263_10 Depth=1
	global_load_b32 v9, v[4:5], off
	s_waitcnt vmcnt(0)
	v_subrev_nc_u32_e32 v11, s14, v9
	s_delay_alu instid0(VALU_DEP_1) | instskip(NEXT) | instid1(VALU_DEP_1)
	v_mad_u64_u32 v[9:10], null, v11, 24, v[1:2]
	v_ashrrev_i32_e32 v10, 31, v9
	v_add_co_u32 v9, vcc_lo, s0, v9
	s_delay_alu instid0(VALU_DEP_2)
	v_add_co_ci_u32_e32 v10, vcc_lo, s1, v10, vcc_lo
	global_load_i8 v11, v[2:3], off
	global_load_i8 v9, v[9:10], off
	v_add_co_u32 v2, vcc_lo, 0x240, v2
	v_add_co_ci_u32_e32 v3, vcc_lo, 0, v3, vcc_lo
	s_waitcnt vmcnt(1)
	v_cvt_f32_i32_e32 v10, v11
	s_waitcnt vmcnt(0)
	v_cvt_f32_i32_e32 v9, v9
	s_delay_alu instid0(VALU_DEP_1)
	v_fmac_f32_e32 v6, v10, v9
	s_branch .LBB263_9
.LBB263_12:
	s_set_inst_prefetch_distance 0x2
	v_lshlrev_b32_e32 v1, 2, v0
	s_and_b32 vcc_lo, exec_lo, s3
	ds_store_b32 v1, v6
	s_waitcnt lgkmcnt(0)
	s_barrier
	buffer_gl0_inv
	s_cbranch_vccz .LBB263_24
; %bb.13:
	v_cmp_gt_u16_e32 vcc_lo, 8, v7
	s_and_saveexec_b32 s0, vcc_lo
	s_cbranch_execz .LBB263_15
; %bb.14:
	ds_load_2addr_b32 v[2:3], v1 offset1:16
	s_waitcnt lgkmcnt(0)
	v_add_f32_e32 v2, v3, v2
	ds_store_b32 v1, v2
.LBB263_15:
	s_or_b32 exec_lo, exec_lo, s0
	s_waitcnt lgkmcnt(0)
	s_barrier
	buffer_gl0_inv
	s_and_saveexec_b32 s0, vcc_lo
	s_cbranch_execz .LBB263_17
; %bb.16:
	ds_load_2addr_b32 v[2:3], v1 offset1:8
	s_waitcnt lgkmcnt(0)
	v_add_f32_e32 v2, v3, v2
	ds_store_b32 v1, v2
.LBB263_17:
	s_or_b32 exec_lo, exec_lo, s0
	s_delay_alu instid0(SALU_CYCLE_1)
	s_mov_b32 s0, exec_lo
	s_waitcnt lgkmcnt(0)
	s_barrier
	buffer_gl0_inv
	v_cmpx_gt_u16_e32 4, v7
	s_cbranch_execz .LBB263_19
; %bb.18:
	ds_load_2addr_b32 v[2:3], v1 offset1:4
	s_waitcnt lgkmcnt(0)
	v_add_f32_e32 v2, v3, v2
	ds_store_b32 v1, v2
.LBB263_19:
	s_or_b32 exec_lo, exec_lo, s0
	s_delay_alu instid0(SALU_CYCLE_1)
	s_mov_b32 s0, exec_lo
	s_waitcnt lgkmcnt(0)
	s_barrier
	buffer_gl0_inv
	v_cmpx_gt_u16_e32 2, v7
	s_cbranch_execz .LBB263_21
; %bb.20:
	ds_load_2addr_b32 v[2:3], v1 offset1:2
	s_waitcnt lgkmcnt(0)
	v_add_f32_e32 v2, v3, v2
	ds_store_b32 v1, v2
.LBB263_21:
	s_or_b32 exec_lo, exec_lo, s0
	s_mov_b32 s1, 0
	s_mov_b32 s0, 0
	s_mov_b32 s2, exec_lo
	s_waitcnt lgkmcnt(0)
	s_barrier
	buffer_gl0_inv
                                        ; implicit-def: $vgpr2
                                        ; implicit-def: $vgpr3
	v_cmpx_gt_u32_e32 24, v0
	s_xor_b32 s2, exec_lo, s2
; %bb.22:
	v_mul_u32_u24_e32 v2, 24, v0
	v_mad_u32_u24 v3, 0x5c, v0, v1
	s_mov_b32 s0, exec_lo
	s_delay_alu instid0(VALU_DEP_2)
	v_or_b32_e32 v2, 1, v2
; %bb.23:
	s_or_b32 exec_lo, exec_lo, s2
	s_delay_alu instid0(SALU_CYCLE_1)
	s_and_b32 vcc_lo, exec_lo, s1
	s_cbranch_vccnz .LBB263_25
	s_branch .LBB263_36
.LBB263_24:
	s_mov_b32 s0, 0
                                        ; implicit-def: $vgpr2
                                        ; implicit-def: $vgpr3
	s_cbranch_execz .LBB263_36
.LBB263_25:
	v_cmp_gt_u32_e32 vcc_lo, 0xc0, v0
	s_and_saveexec_b32 s1, vcc_lo
	s_cbranch_execz .LBB263_27
; %bb.26:
	ds_load_2addr_stride64_b32 v[2:3], v1 offset1:6
	s_waitcnt lgkmcnt(0)
	v_add_f32_e32 v2, v3, v2
	ds_store_b32 v1, v2
.LBB263_27:
	s_or_b32 exec_lo, exec_lo, s1
	s_waitcnt lgkmcnt(0)
	s_barrier
	buffer_gl0_inv
	s_and_saveexec_b32 s1, vcc_lo
	s_cbranch_execz .LBB263_29
; %bb.28:
	ds_load_2addr_stride64_b32 v[2:3], v1 offset1:3
	s_waitcnt lgkmcnt(0)
	v_add_f32_e32 v2, v3, v2
	ds_store_b32 v1, v2
.LBB263_29:
	s_or_b32 exec_lo, exec_lo, s1
	s_delay_alu instid0(SALU_CYCLE_1)
	s_mov_b32 s1, exec_lo
	s_waitcnt lgkmcnt(0)
	s_barrier
	buffer_gl0_inv
	v_cmpx_gt_u32_e32 0x60, v0
	s_cbranch_execz .LBB263_31
; %bb.30:
	ds_load_2addr_b32 v[2:3], v1 offset1:96
	s_waitcnt lgkmcnt(0)
	v_add_f32_e32 v2, v3, v2
	ds_store_b32 v1, v2
.LBB263_31:
	s_or_b32 exec_lo, exec_lo, s1
	s_delay_alu instid0(SALU_CYCLE_1)
	s_mov_b32 s1, exec_lo
	s_waitcnt lgkmcnt(0)
	s_barrier
	buffer_gl0_inv
	v_cmpx_gt_u32_e32 48, v0
	s_cbranch_execz .LBB263_33
; %bb.32:
	ds_load_2addr_b32 v[2:3], v1 offset1:48
	s_waitcnt lgkmcnt(0)
	v_add_f32_e32 v2, v3, v2
	ds_store_b32 v1, v2
.LBB263_33:
	s_or_b32 exec_lo, exec_lo, s1
	s_delay_alu instid0(SALU_CYCLE_1)
	s_mov_b32 s1, exec_lo
	s_waitcnt lgkmcnt(0)
	buffer_gl0_inv
                                        ; implicit-def: $vgpr2
	v_cmpx_gt_u32_e32 24, v0
; %bb.34:
	v_add_nc_u32_e32 v2, 24, v0
	s_or_b32 s0, s0, exec_lo
                                        ; implicit-def: $vgpr6
; %bb.35:
	s_or_b32 exec_lo, exec_lo, s1
	v_mov_b32_e32 v3, v1
.LBB263_36:
	s_and_saveexec_b32 s1, s0
	s_cbranch_execz .LBB263_38
; %bb.37:
	v_lshlrev_b32_e32 v1, 2, v2
	ds_load_b32 v2, v3
	ds_load_b32 v1, v1
	s_waitcnt lgkmcnt(0)
	v_add_f32_e32 v6, v2, v1
.LBB263_38:
	s_or_b32 exec_lo, exec_lo, s1
	s_delay_alu instid0(SALU_CYCLE_1)
	s_mov_b32 s0, exec_lo
	v_cmpx_gt_u32_e32 24, v0
	s_cbranch_execz .LBB263_42
; %bb.39:
	v_cmp_eq_f32_e64 s0, s8, 0
	v_mul_f32_e32 v1, s12, v6
	s_delay_alu instid0(VALU_DEP_2)
	s_and_b32 vcc_lo, exec_lo, s0
	s_mov_b32 s0, 0
	s_cbranch_vccz .LBB263_43
; %bb.40:
	s_delay_alu instid0(VALU_DEP_1) | instskip(SKIP_1) | instid1(VALU_DEP_1)
	v_mad_u64_u32 v[2:3], null, s10, 24, v[0:1]
	v_mov_b32_e32 v3, 0
	v_lshlrev_b64 v[2:3], 2, v[2:3]
	s_delay_alu instid0(VALU_DEP_1) | instskip(NEXT) | instid1(VALU_DEP_2)
	v_add_co_u32 v2, vcc_lo, s4, v2
	v_add_co_ci_u32_e32 v3, vcc_lo, s5, v3, vcc_lo
	global_store_b32 v[2:3], v1, off
	s_and_not1_b32 vcc_lo, exec_lo, s0
	s_cbranch_vccnz .LBB263_42
.LBB263_41:
	v_mad_u64_u32 v[2:3], null, s10, 24, v[0:1]
	v_mov_b32_e32 v3, 0
	s_delay_alu instid0(VALU_DEP_1) | instskip(NEXT) | instid1(VALU_DEP_1)
	v_lshlrev_b64 v[2:3], 2, v[2:3]
	v_add_co_u32 v2, vcc_lo, s4, v2
	s_delay_alu instid0(VALU_DEP_2)
	v_add_co_ci_u32_e32 v3, vcc_lo, s5, v3, vcc_lo
	global_load_b32 v0, v[2:3], off
	s_waitcnt vmcnt(0)
	v_fmac_f32_e32 v1, s8, v0
	global_store_b32 v[2:3], v1, off
.LBB263_42:
	s_nop 0
	s_sendmsg sendmsg(MSG_DEALLOC_VGPRS)
	s_endpgm
.LBB263_43:
	s_branch .LBB263_41
	.section	.rodata,"a",@progbits
	.p2align	6, 0x0
	.amdhsa_kernel _ZN9rocsparseL20bsrxmvn_17_32_kernelILj24EfliaafEEvT2_20rocsparse_direction_NS_24const_host_device_scalarIT0_EES1_PKS1_PKT1_SA_S7_PKT3_PKT4_S5_PT5_21rocsparse_index_base_b
		.amdhsa_group_segment_fixed_size 2304
		.amdhsa_private_segment_fixed_size 0
		.amdhsa_kernarg_size 96
		.amdhsa_user_sgpr_count 15
		.amdhsa_user_sgpr_dispatch_ptr 0
		.amdhsa_user_sgpr_queue_ptr 0
		.amdhsa_user_sgpr_kernarg_segment_ptr 1
		.amdhsa_user_sgpr_dispatch_id 0
		.amdhsa_user_sgpr_private_segment_size 0
		.amdhsa_wavefront_size32 1
		.amdhsa_uses_dynamic_stack 0
		.amdhsa_enable_private_segment 0
		.amdhsa_system_sgpr_workgroup_id_x 1
		.amdhsa_system_sgpr_workgroup_id_y 0
		.amdhsa_system_sgpr_workgroup_id_z 0
		.amdhsa_system_sgpr_workgroup_info 0
		.amdhsa_system_vgpr_workitem_id 0
		.amdhsa_next_free_vgpr 12
		.amdhsa_next_free_sgpr 24
		.amdhsa_reserve_vcc 1
		.amdhsa_float_round_mode_32 0
		.amdhsa_float_round_mode_16_64 0
		.amdhsa_float_denorm_mode_32 3
		.amdhsa_float_denorm_mode_16_64 3
		.amdhsa_dx10_clamp 1
		.amdhsa_ieee_mode 1
		.amdhsa_fp16_overflow 0
		.amdhsa_workgroup_processor_mode 1
		.amdhsa_memory_ordered 1
		.amdhsa_forward_progress 0
		.amdhsa_shared_vgpr_count 0
		.amdhsa_exception_fp_ieee_invalid_op 0
		.amdhsa_exception_fp_denorm_src 0
		.amdhsa_exception_fp_ieee_div_zero 0
		.amdhsa_exception_fp_ieee_overflow 0
		.amdhsa_exception_fp_ieee_underflow 0
		.amdhsa_exception_fp_ieee_inexact 0
		.amdhsa_exception_int_div_zero 0
	.end_amdhsa_kernel
	.section	.text._ZN9rocsparseL20bsrxmvn_17_32_kernelILj24EfliaafEEvT2_20rocsparse_direction_NS_24const_host_device_scalarIT0_EES1_PKS1_PKT1_SA_S7_PKT3_PKT4_S5_PT5_21rocsparse_index_base_b,"axG",@progbits,_ZN9rocsparseL20bsrxmvn_17_32_kernelILj24EfliaafEEvT2_20rocsparse_direction_NS_24const_host_device_scalarIT0_EES1_PKS1_PKT1_SA_S7_PKT3_PKT4_S5_PT5_21rocsparse_index_base_b,comdat
.Lfunc_end263:
	.size	_ZN9rocsparseL20bsrxmvn_17_32_kernelILj24EfliaafEEvT2_20rocsparse_direction_NS_24const_host_device_scalarIT0_EES1_PKS1_PKT1_SA_S7_PKT3_PKT4_S5_PT5_21rocsparse_index_base_b, .Lfunc_end263-_ZN9rocsparseL20bsrxmvn_17_32_kernelILj24EfliaafEEvT2_20rocsparse_direction_NS_24const_host_device_scalarIT0_EES1_PKS1_PKT1_SA_S7_PKT3_PKT4_S5_PT5_21rocsparse_index_base_b
                                        ; -- End function
	.section	.AMDGPU.csdata,"",@progbits
; Kernel info:
; codeLenInByte = 1588
; NumSgprs: 26
; NumVgprs: 12
; ScratchSize: 0
; MemoryBound: 0
; FloatMode: 240
; IeeeMode: 1
; LDSByteSize: 2304 bytes/workgroup (compile time only)
; SGPRBlocks: 3
; VGPRBlocks: 1
; NumSGPRsForWavesPerEU: 26
; NumVGPRsForWavesPerEU: 12
; Occupancy: 14
; WaveLimiterHint : 1
; COMPUTE_PGM_RSRC2:SCRATCH_EN: 0
; COMPUTE_PGM_RSRC2:USER_SGPR: 15
; COMPUTE_PGM_RSRC2:TRAP_HANDLER: 0
; COMPUTE_PGM_RSRC2:TGID_X_EN: 1
; COMPUTE_PGM_RSRC2:TGID_Y_EN: 0
; COMPUTE_PGM_RSRC2:TGID_Z_EN: 0
; COMPUTE_PGM_RSRC2:TIDIG_COMP_CNT: 0
	.section	.text._ZN9rocsparseL20bsrxmvn_17_32_kernelILj25EfliaafEEvT2_20rocsparse_direction_NS_24const_host_device_scalarIT0_EES1_PKS1_PKT1_SA_S7_PKT3_PKT4_S5_PT5_21rocsparse_index_base_b,"axG",@progbits,_ZN9rocsparseL20bsrxmvn_17_32_kernelILj25EfliaafEEvT2_20rocsparse_direction_NS_24const_host_device_scalarIT0_EES1_PKS1_PKT1_SA_S7_PKT3_PKT4_S5_PT5_21rocsparse_index_base_b,comdat
	.globl	_ZN9rocsparseL20bsrxmvn_17_32_kernelILj25EfliaafEEvT2_20rocsparse_direction_NS_24const_host_device_scalarIT0_EES1_PKS1_PKT1_SA_S7_PKT3_PKT4_S5_PT5_21rocsparse_index_base_b ; -- Begin function _ZN9rocsparseL20bsrxmvn_17_32_kernelILj25EfliaafEEvT2_20rocsparse_direction_NS_24const_host_device_scalarIT0_EES1_PKS1_PKT1_SA_S7_PKT3_PKT4_S5_PT5_21rocsparse_index_base_b
	.p2align	8
	.type	_ZN9rocsparseL20bsrxmvn_17_32_kernelILj25EfliaafEEvT2_20rocsparse_direction_NS_24const_host_device_scalarIT0_EES1_PKS1_PKT1_SA_S7_PKT3_PKT4_S5_PT5_21rocsparse_index_base_b,@function
_ZN9rocsparseL20bsrxmvn_17_32_kernelILj25EfliaafEEvT2_20rocsparse_direction_NS_24const_host_device_scalarIT0_EES1_PKS1_PKT1_SA_S7_PKT3_PKT4_S5_PT5_21rocsparse_index_base_b: ; @_ZN9rocsparseL20bsrxmvn_17_32_kernelILj25EfliaafEEvT2_20rocsparse_direction_NS_24const_host_device_scalarIT0_EES1_PKS1_PKT1_SA_S7_PKT3_PKT4_S5_PT5_21rocsparse_index_base_b
; %bb.0:
	s_mov_b32 s10, s15
	s_clause 0x2
	s_load_b64 s[14:15], s[0:1], 0x58
	s_load_b64 s[12:13], s[0:1], 0x8
	;; [unrolled: 1-line block ×3, first 2 shown]
	s_waitcnt lgkmcnt(0)
	s_bitcmp1_b32 s15, 0
	s_cselect_b32 s2, -1, 0
	s_delay_alu instid0(SALU_CYCLE_1)
	s_and_b32 vcc_lo, exec_lo, s2
	s_xor_b32 s2, s2, -1
	s_cbranch_vccnz .LBB264_2
; %bb.1:
	s_load_b32 s12, s[12:13], 0x0
.LBB264_2:
	s_and_not1_b32 vcc_lo, exec_lo, s2
	s_cbranch_vccnz .LBB264_4
; %bb.3:
	s_load_b32 s8, s[8:9], 0x0
.LBB264_4:
	s_waitcnt lgkmcnt(0)
	v_cmp_neq_f32_e64 s2, s12, 0
	v_cmp_neq_f32_e64 s3, s8, 1.0
	s_delay_alu instid0(VALU_DEP_1) | instskip(NEXT) | instid1(SALU_CYCLE_1)
	s_or_b32 s2, s2, s3
	s_and_not1_b32 vcc_lo, exec_lo, s2
	s_cbranch_vccnz .LBB264_42
; %bb.5:
	s_clause 0x1
	s_load_b128 s[4:7], s[0:1], 0x18
	s_load_b64 s[16:17], s[0:1], 0x28
	s_waitcnt lgkmcnt(0)
	s_cmp_eq_u64 s[4:5], 0
	s_cbranch_scc1 .LBB264_7
; %bb.6:
	s_ashr_i32 s11, s10, 31
	s_delay_alu instid0(SALU_CYCLE_1) | instskip(NEXT) | instid1(SALU_CYCLE_1)
	s_lshl_b64 s[2:3], s[10:11], 2
	s_add_u32 s2, s4, s2
	s_addc_u32 s3, s5, s3
	s_load_b32 s2, s[2:3], 0x0
	s_waitcnt lgkmcnt(0)
	s_sub_i32 s10, s2, s14
.LBB264_7:
	s_load_b32 s3, s[0:1], 0x4
	v_mul_u32_u24_e32 v1, 0xa3e, v0
	v_mov_b32_e32 v6, 0
	s_delay_alu instid0(VALU_DEP_2) | instskip(NEXT) | instid1(VALU_DEP_1)
	v_lshrrev_b32_e32 v1, 16, v1
	v_mul_lo_u16 v2, v1, 25
	s_delay_alu instid0(VALU_DEP_1)
	v_sub_nc_u16 v7, v0, v2
	s_waitcnt lgkmcnt(0)
	s_cmp_eq_u32 s3, 1
	s_cselect_b32 s2, -1, 0
	s_cmp_lg_u32 s3, 1
	s_cselect_b32 s3, -1, 0
	s_ashr_i32 s11, s10, 31
	s_delay_alu instid0(SALU_CYCLE_1) | instskip(NEXT) | instid1(SALU_CYCLE_1)
	s_lshl_b64 s[4:5], s[10:11], 3
	s_add_u32 s6, s6, s4
	s_addc_u32 s7, s7, s5
	s_add_u32 s9, s6, 8
	s_addc_u32 s11, s7, 0
	;; [unrolled: 2-line block ×3, first 2 shown]
	s_cmp_eq_u64 s[16:17], 0
	s_cselect_b32 s5, s11, s5
	s_cselect_b32 s4, s9, s4
	s_load_b64 s[18:19], s[6:7], 0x0
	s_load_b64 s[6:7], s[4:5], 0x0
	;; [unrolled: 1-line block ×3, first 2 shown]
	s_waitcnt lgkmcnt(0)
	v_cmp_ge_i64_e64 s9, s[18:19], s[6:7]
	s_delay_alu instid0(VALU_DEP_1)
	s_and_b32 vcc_lo, exec_lo, s9
	s_cbranch_vccnz .LBB264_12
; %bb.8:
	v_dual_mov_b32 v6, 0 :: v_dual_and_b32 v1, 0xffff, v1
	v_cmp_lt_u32_e32 vcc_lo, 0x270, v0
	s_clause 0x1
	s_load_b128 s[20:23], s[0:1], 0x30
	s_load_b64 s[0:1], s[0:1], 0x40
	v_subrev_nc_u32_e32 v3, 25, v1
	s_sub_u32 s6, s6, s14
	v_cndmask_b32_e64 v8, 0, 1, vcc_lo
	v_cmp_gt_u32_e32 vcc_lo, 0x271, v0
	v_and_b32_e32 v2, 0xffff, v7
	s_subb_u32 s7, s7, 0
	s_sub_u32 s16, s18, s14
	s_subb_u32 s17, s19, 0
	v_cndmask_b32_e32 v1, v3, v1, vcc_lo
	s_mul_i32 s9, s17, 0x271
	s_mul_i32 s11, s16, 0x271
	s_delay_alu instid0(VALU_DEP_1) | instskip(SKIP_1) | instid1(VALU_DEP_1)
	v_cndmask_b32_e64 v1, v2, v1, s2
	v_add_co_u32 v2, s2, s18, v8
	v_add_co_ci_u32_e64 v3, null, s19, 0, s2
	s_mul_hi_u32 s2, s16, 0x271
	s_delay_alu instid0(VALU_DEP_2) | instskip(NEXT) | instid1(VALU_DEP_2)
	v_sub_co_u32 v2, vcc_lo, v2, s14
	v_subrev_co_ci_u32_e32 v3, vcc_lo, 0, v3, vcc_lo
	s_add_i32 s2, s2, s9
	s_waitcnt lgkmcnt(0)
	s_add_u32 s9, s22, s11
	s_addc_u32 s2, s23, s2
	v_lshlrev_b64 v[4:5], 2, v[2:3]
	v_add_co_u32 v2, s9, s9, v0
	s_delay_alu instid0(VALU_DEP_1) | instskip(NEXT) | instid1(VALU_DEP_3)
	v_add_co_ci_u32_e64 v3, null, s2, 0, s9
	v_add_co_u32 v4, vcc_lo, s20, v4
	s_delay_alu instid0(VALU_DEP_4)
	v_add_co_ci_u32_e32 v5, vcc_lo, s21, v5, vcc_lo
	s_set_inst_prefetch_distance 0x1
	s_branch .LBB264_10
	.p2align	6
.LBB264_9:                              ;   in Loop: Header=BB264_10 Depth=1
	s_or_b32 exec_lo, exec_lo, s2
	s_add_u32 s16, s16, 1
	s_addc_u32 s17, s17, 0
	v_add_co_u32 v4, vcc_lo, v4, 4
	v_cmp_lt_i64_e64 s2, s[16:17], s[6:7]
	v_add_co_ci_u32_e32 v5, vcc_lo, 0, v5, vcc_lo
	s_delay_alu instid0(VALU_DEP_2)
	s_and_b32 vcc_lo, exec_lo, s2
	s_cbranch_vccz .LBB264_12
.LBB264_10:                             ; =>This Inner Loop Header: Depth=1
	v_add_co_u32 v9, s2, v8, s16
	s_delay_alu instid0(VALU_DEP_1) | instskip(SKIP_1) | instid1(VALU_DEP_1)
	v_add_co_ci_u32_e64 v10, null, 0, s17, s2
	s_mov_b32 s2, exec_lo
	v_cmpx_gt_i64_e64 s[6:7], v[9:10]
	s_cbranch_execz .LBB264_9
; %bb.11:                               ;   in Loop: Header=BB264_10 Depth=1
	global_load_b32 v9, v[4:5], off
	s_waitcnt vmcnt(0)
	v_subrev_nc_u32_e32 v11, s14, v9
	s_delay_alu instid0(VALU_DEP_1) | instskip(NEXT) | instid1(VALU_DEP_1)
	v_mad_u64_u32 v[9:10], null, v11, 25, v[1:2]
	v_ashrrev_i32_e32 v10, 31, v9
	v_add_co_u32 v9, vcc_lo, s0, v9
	s_delay_alu instid0(VALU_DEP_2)
	v_add_co_ci_u32_e32 v10, vcc_lo, s1, v10, vcc_lo
	global_load_i8 v11, v[2:3], off
	global_load_i8 v9, v[9:10], off
	v_add_co_u32 v2, vcc_lo, 0x271, v2
	v_add_co_ci_u32_e32 v3, vcc_lo, 0, v3, vcc_lo
	s_waitcnt vmcnt(1)
	v_cvt_f32_i32_e32 v10, v11
	s_waitcnt vmcnt(0)
	v_cvt_f32_i32_e32 v9, v9
	s_delay_alu instid0(VALU_DEP_1)
	v_fmac_f32_e32 v6, v10, v9
	s_branch .LBB264_9
.LBB264_12:
	s_set_inst_prefetch_distance 0x2
	v_lshlrev_b32_e32 v1, 2, v0
	s_and_b32 vcc_lo, exec_lo, s3
	ds_store_b32 v1, v6
	s_waitcnt lgkmcnt(0)
	s_barrier
	buffer_gl0_inv
	s_cbranch_vccz .LBB264_24
; %bb.13:
	s_mov_b32 s0, exec_lo
	v_cmpx_gt_u16_e32 9, v7
	s_cbranch_execz .LBB264_15
; %bb.14:
	ds_load_2addr_b32 v[2:3], v1 offset1:16
	s_waitcnt lgkmcnt(0)
	v_add_f32_e32 v2, v3, v2
	ds_store_b32 v1, v2
.LBB264_15:
	s_or_b32 exec_lo, exec_lo, s0
	s_delay_alu instid0(SALU_CYCLE_1)
	s_mov_b32 s0, exec_lo
	s_waitcnt lgkmcnt(0)
	s_barrier
	buffer_gl0_inv
	v_cmpx_gt_u16_e32 8, v7
	s_cbranch_execz .LBB264_17
; %bb.16:
	ds_load_2addr_b32 v[2:3], v1 offset1:8
	s_waitcnt lgkmcnt(0)
	v_add_f32_e32 v2, v3, v2
	ds_store_b32 v1, v2
.LBB264_17:
	s_or_b32 exec_lo, exec_lo, s0
	s_delay_alu instid0(SALU_CYCLE_1)
	s_mov_b32 s0, exec_lo
	s_waitcnt lgkmcnt(0)
	s_barrier
	buffer_gl0_inv
	;; [unrolled: 14-line block ×3, first 2 shown]
	v_cmpx_gt_u16_e32 2, v7
	s_cbranch_execz .LBB264_21
; %bb.20:
	ds_load_2addr_b32 v[2:3], v1 offset1:2
	s_waitcnt lgkmcnt(0)
	v_add_f32_e32 v2, v3, v2
	ds_store_b32 v1, v2
.LBB264_21:
	s_or_b32 exec_lo, exec_lo, s0
	s_mov_b32 s1, 0
	s_mov_b32 s0, 0
	s_mov_b32 s2, exec_lo
	s_waitcnt lgkmcnt(0)
	s_barrier
	buffer_gl0_inv
                                        ; implicit-def: $vgpr2
                                        ; implicit-def: $vgpr3
	v_cmpx_gt_u32_e32 25, v0
	s_xor_b32 s2, exec_lo, s2
; %bb.22:
	v_mad_u32_u24 v2, v0, 25, 1
	v_mad_u32_u24 v3, 0x60, v0, v1
	s_mov_b32 s0, exec_lo
; %bb.23:
	s_or_b32 exec_lo, exec_lo, s2
	s_delay_alu instid0(SALU_CYCLE_1)
	s_and_b32 vcc_lo, exec_lo, s1
	s_cbranch_vccnz .LBB264_25
	s_branch .LBB264_36
.LBB264_24:
	s_mov_b32 s0, 0
                                        ; implicit-def: $vgpr2
                                        ; implicit-def: $vgpr3
	s_cbranch_execz .LBB264_36
.LBB264_25:
	s_mov_b32 s1, exec_lo
	v_cmpx_gt_u32_e32 0xe1, v0
	s_cbranch_execz .LBB264_27
; %bb.26:
	ds_load_b32 v2, v1 offset:1600
	ds_load_b32 v3, v1
	s_waitcnt lgkmcnt(0)
	v_add_f32_e32 v2, v2, v3
	ds_store_b32 v1, v2
.LBB264_27:
	s_or_b32 exec_lo, exec_lo, s1
	s_delay_alu instid0(SALU_CYCLE_1)
	s_mov_b32 s1, exec_lo
	s_waitcnt lgkmcnt(0)
	s_barrier
	buffer_gl0_inv
	v_cmpx_gt_u32_e32 0xc8, v0
	s_cbranch_execz .LBB264_29
; %bb.28:
	ds_load_2addr_b32 v[2:3], v1 offset1:200
	s_waitcnt lgkmcnt(0)
	v_add_f32_e32 v2, v3, v2
	ds_store_b32 v1, v2
.LBB264_29:
	s_or_b32 exec_lo, exec_lo, s1
	s_delay_alu instid0(SALU_CYCLE_1)
	s_mov_b32 s1, exec_lo
	s_waitcnt lgkmcnt(0)
	s_barrier
	buffer_gl0_inv
	v_cmpx_gt_u32_e32 0x64, v0
	s_cbranch_execz .LBB264_31
; %bb.30:
	ds_load_2addr_b32 v[2:3], v1 offset1:100
	s_waitcnt lgkmcnt(0)
	v_add_f32_e32 v2, v3, v2
	ds_store_b32 v1, v2
.LBB264_31:
	;; [unrolled: 14-line block ×3, first 2 shown]
	s_or_b32 exec_lo, exec_lo, s1
	s_delay_alu instid0(SALU_CYCLE_1)
	s_mov_b32 s1, exec_lo
	s_waitcnt lgkmcnt(0)
	buffer_gl0_inv
                                        ; implicit-def: $vgpr2
	v_cmpx_gt_u32_e32 25, v0
; %bb.34:
	v_add_nc_u32_e32 v2, 25, v0
	s_or_b32 s0, s0, exec_lo
                                        ; implicit-def: $vgpr6
; %bb.35:
	s_or_b32 exec_lo, exec_lo, s1
	v_mov_b32_e32 v3, v1
.LBB264_36:
	s_and_saveexec_b32 s1, s0
	s_cbranch_execz .LBB264_38
; %bb.37:
	v_lshlrev_b32_e32 v1, 2, v2
	ds_load_b32 v2, v3
	ds_load_b32 v1, v1
	s_waitcnt lgkmcnt(0)
	v_add_f32_e32 v6, v2, v1
.LBB264_38:
	s_or_b32 exec_lo, exec_lo, s1
	s_delay_alu instid0(SALU_CYCLE_1)
	s_mov_b32 s0, exec_lo
	v_cmpx_gt_u32_e32 25, v0
	s_cbranch_execz .LBB264_42
; %bb.39:
	v_cmp_eq_f32_e64 s0, s8, 0
	v_mul_f32_e32 v1, s12, v6
	s_delay_alu instid0(VALU_DEP_2)
	s_and_b32 vcc_lo, exec_lo, s0
	s_mov_b32 s0, 0
	s_cbranch_vccz .LBB264_43
; %bb.40:
	s_delay_alu instid0(VALU_DEP_1) | instskip(SKIP_1) | instid1(VALU_DEP_1)
	v_mad_u64_u32 v[2:3], null, s10, 25, v[0:1]
	v_mov_b32_e32 v3, 0
	v_lshlrev_b64 v[2:3], 2, v[2:3]
	s_delay_alu instid0(VALU_DEP_1) | instskip(NEXT) | instid1(VALU_DEP_2)
	v_add_co_u32 v2, vcc_lo, s4, v2
	v_add_co_ci_u32_e32 v3, vcc_lo, s5, v3, vcc_lo
	global_store_b32 v[2:3], v1, off
	s_and_not1_b32 vcc_lo, exec_lo, s0
	s_cbranch_vccnz .LBB264_42
.LBB264_41:
	v_mad_u64_u32 v[2:3], null, s10, 25, v[0:1]
	v_mov_b32_e32 v3, 0
	s_delay_alu instid0(VALU_DEP_1) | instskip(NEXT) | instid1(VALU_DEP_1)
	v_lshlrev_b64 v[2:3], 2, v[2:3]
	v_add_co_u32 v2, vcc_lo, s4, v2
	s_delay_alu instid0(VALU_DEP_2)
	v_add_co_ci_u32_e32 v3, vcc_lo, s5, v3, vcc_lo
	global_load_b32 v0, v[2:3], off
	s_waitcnt vmcnt(0)
	v_fmac_f32_e32 v1, s8, v0
	global_store_b32 v[2:3], v1, off
.LBB264_42:
	s_nop 0
	s_sendmsg sendmsg(MSG_DEALLOC_VGPRS)
	s_endpgm
.LBB264_43:
	s_branch .LBB264_41
	.section	.rodata,"a",@progbits
	.p2align	6, 0x0
	.amdhsa_kernel _ZN9rocsparseL20bsrxmvn_17_32_kernelILj25EfliaafEEvT2_20rocsparse_direction_NS_24const_host_device_scalarIT0_EES1_PKS1_PKT1_SA_S7_PKT3_PKT4_S5_PT5_21rocsparse_index_base_b
		.amdhsa_group_segment_fixed_size 2500
		.amdhsa_private_segment_fixed_size 0
		.amdhsa_kernarg_size 96
		.amdhsa_user_sgpr_count 15
		.amdhsa_user_sgpr_dispatch_ptr 0
		.amdhsa_user_sgpr_queue_ptr 0
		.amdhsa_user_sgpr_kernarg_segment_ptr 1
		.amdhsa_user_sgpr_dispatch_id 0
		.amdhsa_user_sgpr_private_segment_size 0
		.amdhsa_wavefront_size32 1
		.amdhsa_uses_dynamic_stack 0
		.amdhsa_enable_private_segment 0
		.amdhsa_system_sgpr_workgroup_id_x 1
		.amdhsa_system_sgpr_workgroup_id_y 0
		.amdhsa_system_sgpr_workgroup_id_z 0
		.amdhsa_system_sgpr_workgroup_info 0
		.amdhsa_system_vgpr_workitem_id 0
		.amdhsa_next_free_vgpr 12
		.amdhsa_next_free_sgpr 24
		.amdhsa_reserve_vcc 1
		.amdhsa_float_round_mode_32 0
		.amdhsa_float_round_mode_16_64 0
		.amdhsa_float_denorm_mode_32 3
		.amdhsa_float_denorm_mode_16_64 3
		.amdhsa_dx10_clamp 1
		.amdhsa_ieee_mode 1
		.amdhsa_fp16_overflow 0
		.amdhsa_workgroup_processor_mode 1
		.amdhsa_memory_ordered 1
		.amdhsa_forward_progress 0
		.amdhsa_shared_vgpr_count 0
		.amdhsa_exception_fp_ieee_invalid_op 0
		.amdhsa_exception_fp_denorm_src 0
		.amdhsa_exception_fp_ieee_div_zero 0
		.amdhsa_exception_fp_ieee_overflow 0
		.amdhsa_exception_fp_ieee_underflow 0
		.amdhsa_exception_fp_ieee_inexact 0
		.amdhsa_exception_int_div_zero 0
	.end_amdhsa_kernel
	.section	.text._ZN9rocsparseL20bsrxmvn_17_32_kernelILj25EfliaafEEvT2_20rocsparse_direction_NS_24const_host_device_scalarIT0_EES1_PKS1_PKT1_SA_S7_PKT3_PKT4_S5_PT5_21rocsparse_index_base_b,"axG",@progbits,_ZN9rocsparseL20bsrxmvn_17_32_kernelILj25EfliaafEEvT2_20rocsparse_direction_NS_24const_host_device_scalarIT0_EES1_PKS1_PKT1_SA_S7_PKT3_PKT4_S5_PT5_21rocsparse_index_base_b,comdat
.Lfunc_end264:
	.size	_ZN9rocsparseL20bsrxmvn_17_32_kernelILj25EfliaafEEvT2_20rocsparse_direction_NS_24const_host_device_scalarIT0_EES1_PKS1_PKT1_SA_S7_PKT3_PKT4_S5_PT5_21rocsparse_index_base_b, .Lfunc_end264-_ZN9rocsparseL20bsrxmvn_17_32_kernelILj25EfliaafEEvT2_20rocsparse_direction_NS_24const_host_device_scalarIT0_EES1_PKS1_PKT1_SA_S7_PKT3_PKT4_S5_PT5_21rocsparse_index_base_b
                                        ; -- End function
	.section	.AMDGPU.csdata,"",@progbits
; Kernel info:
; codeLenInByte = 1612
; NumSgprs: 26
; NumVgprs: 12
; ScratchSize: 0
; MemoryBound: 0
; FloatMode: 240
; IeeeMode: 1
; LDSByteSize: 2500 bytes/workgroup (compile time only)
; SGPRBlocks: 3
; VGPRBlocks: 1
; NumSGPRsForWavesPerEU: 26
; NumVGPRsForWavesPerEU: 12
; Occupancy: 15
; WaveLimiterHint : 1
; COMPUTE_PGM_RSRC2:SCRATCH_EN: 0
; COMPUTE_PGM_RSRC2:USER_SGPR: 15
; COMPUTE_PGM_RSRC2:TRAP_HANDLER: 0
; COMPUTE_PGM_RSRC2:TGID_X_EN: 1
; COMPUTE_PGM_RSRC2:TGID_Y_EN: 0
; COMPUTE_PGM_RSRC2:TGID_Z_EN: 0
; COMPUTE_PGM_RSRC2:TIDIG_COMP_CNT: 0
	.section	.text._ZN9rocsparseL20bsrxmvn_17_32_kernelILj26EfliaafEEvT2_20rocsparse_direction_NS_24const_host_device_scalarIT0_EES1_PKS1_PKT1_SA_S7_PKT3_PKT4_S5_PT5_21rocsparse_index_base_b,"axG",@progbits,_ZN9rocsparseL20bsrxmvn_17_32_kernelILj26EfliaafEEvT2_20rocsparse_direction_NS_24const_host_device_scalarIT0_EES1_PKS1_PKT1_SA_S7_PKT3_PKT4_S5_PT5_21rocsparse_index_base_b,comdat
	.globl	_ZN9rocsparseL20bsrxmvn_17_32_kernelILj26EfliaafEEvT2_20rocsparse_direction_NS_24const_host_device_scalarIT0_EES1_PKS1_PKT1_SA_S7_PKT3_PKT4_S5_PT5_21rocsparse_index_base_b ; -- Begin function _ZN9rocsparseL20bsrxmvn_17_32_kernelILj26EfliaafEEvT2_20rocsparse_direction_NS_24const_host_device_scalarIT0_EES1_PKS1_PKT1_SA_S7_PKT3_PKT4_S5_PT5_21rocsparse_index_base_b
	.p2align	8
	.type	_ZN9rocsparseL20bsrxmvn_17_32_kernelILj26EfliaafEEvT2_20rocsparse_direction_NS_24const_host_device_scalarIT0_EES1_PKS1_PKT1_SA_S7_PKT3_PKT4_S5_PT5_21rocsparse_index_base_b,@function
_ZN9rocsparseL20bsrxmvn_17_32_kernelILj26EfliaafEEvT2_20rocsparse_direction_NS_24const_host_device_scalarIT0_EES1_PKS1_PKT1_SA_S7_PKT3_PKT4_S5_PT5_21rocsparse_index_base_b: ; @_ZN9rocsparseL20bsrxmvn_17_32_kernelILj26EfliaafEEvT2_20rocsparse_direction_NS_24const_host_device_scalarIT0_EES1_PKS1_PKT1_SA_S7_PKT3_PKT4_S5_PT5_21rocsparse_index_base_b
; %bb.0:
	s_mov_b32 s10, s15
	s_clause 0x2
	s_load_b64 s[14:15], s[0:1], 0x58
	s_load_b64 s[12:13], s[0:1], 0x8
	;; [unrolled: 1-line block ×3, first 2 shown]
	s_waitcnt lgkmcnt(0)
	s_bitcmp1_b32 s15, 0
	s_cselect_b32 s2, -1, 0
	s_delay_alu instid0(SALU_CYCLE_1)
	s_and_b32 vcc_lo, exec_lo, s2
	s_xor_b32 s2, s2, -1
	s_cbranch_vccnz .LBB265_2
; %bb.1:
	s_load_b32 s12, s[12:13], 0x0
.LBB265_2:
	s_and_not1_b32 vcc_lo, exec_lo, s2
	s_cbranch_vccnz .LBB265_4
; %bb.3:
	s_load_b32 s8, s[8:9], 0x0
.LBB265_4:
	s_waitcnt lgkmcnt(0)
	v_cmp_neq_f32_e64 s2, s12, 0
	v_cmp_neq_f32_e64 s3, s8, 1.0
	s_delay_alu instid0(VALU_DEP_1) | instskip(NEXT) | instid1(SALU_CYCLE_1)
	s_or_b32 s2, s2, s3
	s_and_not1_b32 vcc_lo, exec_lo, s2
	s_cbranch_vccnz .LBB265_42
; %bb.5:
	s_clause 0x1
	s_load_b128 s[4:7], s[0:1], 0x18
	s_load_b64 s[16:17], s[0:1], 0x28
	s_waitcnt lgkmcnt(0)
	s_cmp_eq_u64 s[4:5], 0
	s_cbranch_scc1 .LBB265_7
; %bb.6:
	s_ashr_i32 s11, s10, 31
	s_delay_alu instid0(SALU_CYCLE_1) | instskip(NEXT) | instid1(SALU_CYCLE_1)
	s_lshl_b64 s[2:3], s[10:11], 2
	s_add_u32 s2, s4, s2
	s_addc_u32 s3, s5, s3
	s_load_b32 s2, s[2:3], 0x0
	s_waitcnt lgkmcnt(0)
	s_sub_i32 s10, s2, s14
.LBB265_7:
	s_load_b32 s3, s[0:1], 0x4
	v_mul_u32_u24_e32 v1, 0x9d9, v0
	v_mov_b32_e32 v6, 0
	s_delay_alu instid0(VALU_DEP_2) | instskip(NEXT) | instid1(VALU_DEP_1)
	v_lshrrev_b32_e32 v1, 16, v1
	v_mul_lo_u16 v2, v1, 26
	s_delay_alu instid0(VALU_DEP_1)
	v_sub_nc_u16 v7, v0, v2
	s_waitcnt lgkmcnt(0)
	s_cmp_eq_u32 s3, 1
	s_cselect_b32 s2, -1, 0
	s_cmp_lg_u32 s3, 1
	s_cselect_b32 s3, -1, 0
	s_ashr_i32 s11, s10, 31
	s_delay_alu instid0(SALU_CYCLE_1) | instskip(NEXT) | instid1(SALU_CYCLE_1)
	s_lshl_b64 s[4:5], s[10:11], 3
	s_add_u32 s6, s6, s4
	s_addc_u32 s7, s7, s5
	s_add_u32 s9, s6, 8
	s_addc_u32 s11, s7, 0
	;; [unrolled: 2-line block ×3, first 2 shown]
	s_cmp_eq_u64 s[16:17], 0
	s_cselect_b32 s5, s11, s5
	s_cselect_b32 s4, s9, s4
	s_load_b64 s[18:19], s[6:7], 0x0
	s_load_b64 s[6:7], s[4:5], 0x0
	;; [unrolled: 1-line block ×3, first 2 shown]
	s_waitcnt lgkmcnt(0)
	v_cmp_ge_i64_e64 s9, s[18:19], s[6:7]
	s_delay_alu instid0(VALU_DEP_1)
	s_and_b32 vcc_lo, exec_lo, s9
	s_cbranch_vccnz .LBB265_12
; %bb.8:
	v_dual_mov_b32 v6, 0 :: v_dual_and_b32 v1, 0xffff, v1
	v_cmp_lt_u32_e32 vcc_lo, 0x2a3, v0
	s_clause 0x1
	s_load_b128 s[20:23], s[0:1], 0x30
	s_load_b64 s[0:1], s[0:1], 0x40
	v_subrev_nc_u32_e32 v3, 26, v1
	s_sub_u32 s6, s6, s14
	v_cndmask_b32_e64 v8, 0, 1, vcc_lo
	v_cmp_gt_u32_e32 vcc_lo, 0x2a4, v0
	v_and_b32_e32 v2, 0xffff, v7
	s_subb_u32 s7, s7, 0
	s_sub_u32 s16, s18, s14
	s_subb_u32 s17, s19, 0
	v_cndmask_b32_e32 v1, v3, v1, vcc_lo
	s_mul_i32 s9, s17, 0x2a4
	s_mul_i32 s11, s16, 0x2a4
	s_delay_alu instid0(VALU_DEP_1) | instskip(SKIP_1) | instid1(VALU_DEP_1)
	v_cndmask_b32_e64 v1, v2, v1, s2
	v_add_co_u32 v2, s2, s18, v8
	v_add_co_ci_u32_e64 v3, null, s19, 0, s2
	s_mul_hi_u32 s2, s16, 0x2a4
	s_delay_alu instid0(VALU_DEP_2) | instskip(NEXT) | instid1(VALU_DEP_2)
	v_sub_co_u32 v2, vcc_lo, v2, s14
	v_subrev_co_ci_u32_e32 v3, vcc_lo, 0, v3, vcc_lo
	s_add_i32 s2, s2, s9
	s_waitcnt lgkmcnt(0)
	s_add_u32 s9, s22, s11
	s_addc_u32 s2, s23, s2
	v_lshlrev_b64 v[4:5], 2, v[2:3]
	v_add_co_u32 v2, s9, s9, v0
	s_delay_alu instid0(VALU_DEP_1) | instskip(NEXT) | instid1(VALU_DEP_3)
	v_add_co_ci_u32_e64 v3, null, s2, 0, s9
	v_add_co_u32 v4, vcc_lo, s20, v4
	s_delay_alu instid0(VALU_DEP_4)
	v_add_co_ci_u32_e32 v5, vcc_lo, s21, v5, vcc_lo
	s_set_inst_prefetch_distance 0x1
	s_branch .LBB265_10
	.p2align	6
.LBB265_9:                              ;   in Loop: Header=BB265_10 Depth=1
	s_or_b32 exec_lo, exec_lo, s2
	s_add_u32 s16, s16, 1
	s_addc_u32 s17, s17, 0
	v_add_co_u32 v4, vcc_lo, v4, 4
	v_cmp_lt_i64_e64 s2, s[16:17], s[6:7]
	v_add_co_ci_u32_e32 v5, vcc_lo, 0, v5, vcc_lo
	s_delay_alu instid0(VALU_DEP_2)
	s_and_b32 vcc_lo, exec_lo, s2
	s_cbranch_vccz .LBB265_12
.LBB265_10:                             ; =>This Inner Loop Header: Depth=1
	v_add_co_u32 v9, s2, v8, s16
	s_delay_alu instid0(VALU_DEP_1) | instskip(SKIP_1) | instid1(VALU_DEP_1)
	v_add_co_ci_u32_e64 v10, null, 0, s17, s2
	s_mov_b32 s2, exec_lo
	v_cmpx_gt_i64_e64 s[6:7], v[9:10]
	s_cbranch_execz .LBB265_9
; %bb.11:                               ;   in Loop: Header=BB265_10 Depth=1
	global_load_b32 v9, v[4:5], off
	s_waitcnt vmcnt(0)
	v_subrev_nc_u32_e32 v11, s14, v9
	s_delay_alu instid0(VALU_DEP_1) | instskip(NEXT) | instid1(VALU_DEP_1)
	v_mad_u64_u32 v[9:10], null, v11, 26, v[1:2]
	v_ashrrev_i32_e32 v10, 31, v9
	v_add_co_u32 v9, vcc_lo, s0, v9
	s_delay_alu instid0(VALU_DEP_2)
	v_add_co_ci_u32_e32 v10, vcc_lo, s1, v10, vcc_lo
	global_load_i8 v11, v[2:3], off
	global_load_i8 v9, v[9:10], off
	v_add_co_u32 v2, vcc_lo, 0x2a4, v2
	v_add_co_ci_u32_e32 v3, vcc_lo, 0, v3, vcc_lo
	s_waitcnt vmcnt(1)
	v_cvt_f32_i32_e32 v10, v11
	s_waitcnt vmcnt(0)
	v_cvt_f32_i32_e32 v9, v9
	s_delay_alu instid0(VALU_DEP_1)
	v_fmac_f32_e32 v6, v10, v9
	s_branch .LBB265_9
.LBB265_12:
	s_set_inst_prefetch_distance 0x2
	v_lshlrev_b32_e32 v1, 2, v0
	s_and_b32 vcc_lo, exec_lo, s3
	ds_store_b32 v1, v6
	s_waitcnt lgkmcnt(0)
	s_barrier
	buffer_gl0_inv
	s_cbranch_vccz .LBB265_24
; %bb.13:
	s_mov_b32 s0, exec_lo
	v_cmpx_gt_u16_e32 10, v7
	s_cbranch_execz .LBB265_15
; %bb.14:
	ds_load_2addr_b32 v[2:3], v1 offset1:16
	s_waitcnt lgkmcnt(0)
	v_add_f32_e32 v2, v3, v2
	ds_store_b32 v1, v2
.LBB265_15:
	s_or_b32 exec_lo, exec_lo, s0
	s_delay_alu instid0(SALU_CYCLE_1)
	s_mov_b32 s0, exec_lo
	s_waitcnt lgkmcnt(0)
	s_barrier
	buffer_gl0_inv
	v_cmpx_gt_u16_e32 8, v7
	s_cbranch_execz .LBB265_17
; %bb.16:
	ds_load_2addr_b32 v[2:3], v1 offset1:8
	s_waitcnt lgkmcnt(0)
	v_add_f32_e32 v2, v3, v2
	ds_store_b32 v1, v2
.LBB265_17:
	s_or_b32 exec_lo, exec_lo, s0
	s_delay_alu instid0(SALU_CYCLE_1)
	s_mov_b32 s0, exec_lo
	s_waitcnt lgkmcnt(0)
	s_barrier
	buffer_gl0_inv
	;; [unrolled: 14-line block ×3, first 2 shown]
	v_cmpx_gt_u16_e32 2, v7
	s_cbranch_execz .LBB265_21
; %bb.20:
	ds_load_2addr_b32 v[2:3], v1 offset1:2
	s_waitcnt lgkmcnt(0)
	v_add_f32_e32 v2, v3, v2
	ds_store_b32 v1, v2
.LBB265_21:
	s_or_b32 exec_lo, exec_lo, s0
	s_mov_b32 s1, 0
	s_mov_b32 s0, 0
	s_mov_b32 s2, exec_lo
	s_waitcnt lgkmcnt(0)
	s_barrier
	buffer_gl0_inv
                                        ; implicit-def: $vgpr2
                                        ; implicit-def: $vgpr3
	v_cmpx_gt_u32_e32 26, v0
	s_xor_b32 s2, exec_lo, s2
; %bb.22:
	v_mul_u32_u24_e32 v2, 26, v0
	v_mad_u32_u24 v3, 0x64, v0, v1
	s_mov_b32 s0, exec_lo
	s_delay_alu instid0(VALU_DEP_2)
	v_or_b32_e32 v2, 1, v2
; %bb.23:
	s_or_b32 exec_lo, exec_lo, s2
	s_delay_alu instid0(SALU_CYCLE_1)
	s_and_b32 vcc_lo, exec_lo, s1
	s_cbranch_vccnz .LBB265_25
	s_branch .LBB265_36
.LBB265_24:
	s_mov_b32 s0, 0
                                        ; implicit-def: $vgpr2
                                        ; implicit-def: $vgpr3
	s_cbranch_execz .LBB265_36
.LBB265_25:
	s_mov_b32 s1, exec_lo
	v_cmpx_gt_u32_e32 0x104, v0
	s_cbranch_execz .LBB265_27
; %bb.26:
	ds_load_b32 v2, v1 offset:1664
	ds_load_b32 v3, v1
	s_waitcnt lgkmcnt(0)
	v_add_f32_e32 v2, v2, v3
	ds_store_b32 v1, v2
.LBB265_27:
	s_or_b32 exec_lo, exec_lo, s1
	s_delay_alu instid0(SALU_CYCLE_1)
	s_mov_b32 s1, exec_lo
	s_waitcnt lgkmcnt(0)
	s_barrier
	buffer_gl0_inv
	v_cmpx_gt_u32_e32 0xd0, v0
	s_cbranch_execz .LBB265_29
; %bb.28:
	ds_load_2addr_b32 v[2:3], v1 offset1:208
	s_waitcnt lgkmcnt(0)
	v_add_f32_e32 v2, v3, v2
	ds_store_b32 v1, v2
.LBB265_29:
	s_or_b32 exec_lo, exec_lo, s1
	s_delay_alu instid0(SALU_CYCLE_1)
	s_mov_b32 s1, exec_lo
	s_waitcnt lgkmcnt(0)
	s_barrier
	buffer_gl0_inv
	v_cmpx_gt_u32_e32 0x68, v0
	s_cbranch_execz .LBB265_31
; %bb.30:
	ds_load_2addr_b32 v[2:3], v1 offset1:104
	s_waitcnt lgkmcnt(0)
	v_add_f32_e32 v2, v3, v2
	ds_store_b32 v1, v2
.LBB265_31:
	;; [unrolled: 14-line block ×3, first 2 shown]
	s_or_b32 exec_lo, exec_lo, s1
	s_delay_alu instid0(SALU_CYCLE_1)
	s_mov_b32 s1, exec_lo
	s_waitcnt lgkmcnt(0)
	buffer_gl0_inv
                                        ; implicit-def: $vgpr2
	v_cmpx_gt_u32_e32 26, v0
; %bb.34:
	v_add_nc_u32_e32 v2, 26, v0
	s_or_b32 s0, s0, exec_lo
                                        ; implicit-def: $vgpr6
; %bb.35:
	s_or_b32 exec_lo, exec_lo, s1
	v_mov_b32_e32 v3, v1
.LBB265_36:
	s_and_saveexec_b32 s1, s0
	s_cbranch_execz .LBB265_38
; %bb.37:
	v_lshlrev_b32_e32 v1, 2, v2
	ds_load_b32 v2, v3
	ds_load_b32 v1, v1
	s_waitcnt lgkmcnt(0)
	v_add_f32_e32 v6, v2, v1
.LBB265_38:
	s_or_b32 exec_lo, exec_lo, s1
	s_delay_alu instid0(SALU_CYCLE_1)
	s_mov_b32 s0, exec_lo
	v_cmpx_gt_u32_e32 26, v0
	s_cbranch_execz .LBB265_42
; %bb.39:
	v_cmp_eq_f32_e64 s0, s8, 0
	v_mul_f32_e32 v1, s12, v6
	s_delay_alu instid0(VALU_DEP_2)
	s_and_b32 vcc_lo, exec_lo, s0
	s_mov_b32 s0, 0
	s_cbranch_vccz .LBB265_43
; %bb.40:
	s_delay_alu instid0(VALU_DEP_1) | instskip(SKIP_1) | instid1(VALU_DEP_1)
	v_mad_u64_u32 v[2:3], null, s10, 26, v[0:1]
	v_mov_b32_e32 v3, 0
	v_lshlrev_b64 v[2:3], 2, v[2:3]
	s_delay_alu instid0(VALU_DEP_1) | instskip(NEXT) | instid1(VALU_DEP_2)
	v_add_co_u32 v2, vcc_lo, s4, v2
	v_add_co_ci_u32_e32 v3, vcc_lo, s5, v3, vcc_lo
	global_store_b32 v[2:3], v1, off
	s_and_not1_b32 vcc_lo, exec_lo, s0
	s_cbranch_vccnz .LBB265_42
.LBB265_41:
	v_mad_u64_u32 v[2:3], null, s10, 26, v[0:1]
	v_mov_b32_e32 v3, 0
	s_delay_alu instid0(VALU_DEP_1) | instskip(NEXT) | instid1(VALU_DEP_1)
	v_lshlrev_b64 v[2:3], 2, v[2:3]
	v_add_co_u32 v2, vcc_lo, s4, v2
	s_delay_alu instid0(VALU_DEP_2)
	v_add_co_ci_u32_e32 v3, vcc_lo, s5, v3, vcc_lo
	global_load_b32 v0, v[2:3], off
	s_waitcnt vmcnt(0)
	v_fmac_f32_e32 v1, s8, v0
	global_store_b32 v[2:3], v1, off
.LBB265_42:
	s_nop 0
	s_sendmsg sendmsg(MSG_DEALLOC_VGPRS)
	s_endpgm
.LBB265_43:
	s_branch .LBB265_41
	.section	.rodata,"a",@progbits
	.p2align	6, 0x0
	.amdhsa_kernel _ZN9rocsparseL20bsrxmvn_17_32_kernelILj26EfliaafEEvT2_20rocsparse_direction_NS_24const_host_device_scalarIT0_EES1_PKS1_PKT1_SA_S7_PKT3_PKT4_S5_PT5_21rocsparse_index_base_b
		.amdhsa_group_segment_fixed_size 2704
		.amdhsa_private_segment_fixed_size 0
		.amdhsa_kernarg_size 96
		.amdhsa_user_sgpr_count 15
		.amdhsa_user_sgpr_dispatch_ptr 0
		.amdhsa_user_sgpr_queue_ptr 0
		.amdhsa_user_sgpr_kernarg_segment_ptr 1
		.amdhsa_user_sgpr_dispatch_id 0
		.amdhsa_user_sgpr_private_segment_size 0
		.amdhsa_wavefront_size32 1
		.amdhsa_uses_dynamic_stack 0
		.amdhsa_enable_private_segment 0
		.amdhsa_system_sgpr_workgroup_id_x 1
		.amdhsa_system_sgpr_workgroup_id_y 0
		.amdhsa_system_sgpr_workgroup_id_z 0
		.amdhsa_system_sgpr_workgroup_info 0
		.amdhsa_system_vgpr_workitem_id 0
		.amdhsa_next_free_vgpr 12
		.amdhsa_next_free_sgpr 24
		.amdhsa_reserve_vcc 1
		.amdhsa_float_round_mode_32 0
		.amdhsa_float_round_mode_16_64 0
		.amdhsa_float_denorm_mode_32 3
		.amdhsa_float_denorm_mode_16_64 3
		.amdhsa_dx10_clamp 1
		.amdhsa_ieee_mode 1
		.amdhsa_fp16_overflow 0
		.amdhsa_workgroup_processor_mode 1
		.amdhsa_memory_ordered 1
		.amdhsa_forward_progress 0
		.amdhsa_shared_vgpr_count 0
		.amdhsa_exception_fp_ieee_invalid_op 0
		.amdhsa_exception_fp_denorm_src 0
		.amdhsa_exception_fp_ieee_div_zero 0
		.amdhsa_exception_fp_ieee_overflow 0
		.amdhsa_exception_fp_ieee_underflow 0
		.amdhsa_exception_fp_ieee_inexact 0
		.amdhsa_exception_int_div_zero 0
	.end_amdhsa_kernel
	.section	.text._ZN9rocsparseL20bsrxmvn_17_32_kernelILj26EfliaafEEvT2_20rocsparse_direction_NS_24const_host_device_scalarIT0_EES1_PKS1_PKT1_SA_S7_PKT3_PKT4_S5_PT5_21rocsparse_index_base_b,"axG",@progbits,_ZN9rocsparseL20bsrxmvn_17_32_kernelILj26EfliaafEEvT2_20rocsparse_direction_NS_24const_host_device_scalarIT0_EES1_PKS1_PKT1_SA_S7_PKT3_PKT4_S5_PT5_21rocsparse_index_base_b,comdat
.Lfunc_end265:
	.size	_ZN9rocsparseL20bsrxmvn_17_32_kernelILj26EfliaafEEvT2_20rocsparse_direction_NS_24const_host_device_scalarIT0_EES1_PKS1_PKT1_SA_S7_PKT3_PKT4_S5_PT5_21rocsparse_index_base_b, .Lfunc_end265-_ZN9rocsparseL20bsrxmvn_17_32_kernelILj26EfliaafEEvT2_20rocsparse_direction_NS_24const_host_device_scalarIT0_EES1_PKS1_PKT1_SA_S7_PKT3_PKT4_S5_PT5_21rocsparse_index_base_b
                                        ; -- End function
	.section	.AMDGPU.csdata,"",@progbits
; Kernel info:
; codeLenInByte = 1616
; NumSgprs: 26
; NumVgprs: 12
; ScratchSize: 0
; MemoryBound: 0
; FloatMode: 240
; IeeeMode: 1
; LDSByteSize: 2704 bytes/workgroup (compile time only)
; SGPRBlocks: 3
; VGPRBlocks: 1
; NumSGPRsForWavesPerEU: 26
; NumVGPRsForWavesPerEU: 12
; Occupancy: 11
; WaveLimiterHint : 1
; COMPUTE_PGM_RSRC2:SCRATCH_EN: 0
; COMPUTE_PGM_RSRC2:USER_SGPR: 15
; COMPUTE_PGM_RSRC2:TRAP_HANDLER: 0
; COMPUTE_PGM_RSRC2:TGID_X_EN: 1
; COMPUTE_PGM_RSRC2:TGID_Y_EN: 0
; COMPUTE_PGM_RSRC2:TGID_Z_EN: 0
; COMPUTE_PGM_RSRC2:TIDIG_COMP_CNT: 0
	.section	.text._ZN9rocsparseL20bsrxmvn_17_32_kernelILj27EfliaafEEvT2_20rocsparse_direction_NS_24const_host_device_scalarIT0_EES1_PKS1_PKT1_SA_S7_PKT3_PKT4_S5_PT5_21rocsparse_index_base_b,"axG",@progbits,_ZN9rocsparseL20bsrxmvn_17_32_kernelILj27EfliaafEEvT2_20rocsparse_direction_NS_24const_host_device_scalarIT0_EES1_PKS1_PKT1_SA_S7_PKT3_PKT4_S5_PT5_21rocsparse_index_base_b,comdat
	.globl	_ZN9rocsparseL20bsrxmvn_17_32_kernelILj27EfliaafEEvT2_20rocsparse_direction_NS_24const_host_device_scalarIT0_EES1_PKS1_PKT1_SA_S7_PKT3_PKT4_S5_PT5_21rocsparse_index_base_b ; -- Begin function _ZN9rocsparseL20bsrxmvn_17_32_kernelILj27EfliaafEEvT2_20rocsparse_direction_NS_24const_host_device_scalarIT0_EES1_PKS1_PKT1_SA_S7_PKT3_PKT4_S5_PT5_21rocsparse_index_base_b
	.p2align	8
	.type	_ZN9rocsparseL20bsrxmvn_17_32_kernelILj27EfliaafEEvT2_20rocsparse_direction_NS_24const_host_device_scalarIT0_EES1_PKS1_PKT1_SA_S7_PKT3_PKT4_S5_PT5_21rocsparse_index_base_b,@function
_ZN9rocsparseL20bsrxmvn_17_32_kernelILj27EfliaafEEvT2_20rocsparse_direction_NS_24const_host_device_scalarIT0_EES1_PKS1_PKT1_SA_S7_PKT3_PKT4_S5_PT5_21rocsparse_index_base_b: ; @_ZN9rocsparseL20bsrxmvn_17_32_kernelILj27EfliaafEEvT2_20rocsparse_direction_NS_24const_host_device_scalarIT0_EES1_PKS1_PKT1_SA_S7_PKT3_PKT4_S5_PT5_21rocsparse_index_base_b
; %bb.0:
	s_mov_b32 s10, s15
	s_clause 0x2
	s_load_b64 s[14:15], s[0:1], 0x58
	s_load_b64 s[12:13], s[0:1], 0x8
	;; [unrolled: 1-line block ×3, first 2 shown]
	s_waitcnt lgkmcnt(0)
	s_bitcmp1_b32 s15, 0
	s_cselect_b32 s2, -1, 0
	s_delay_alu instid0(SALU_CYCLE_1)
	s_and_b32 vcc_lo, exec_lo, s2
	s_xor_b32 s2, s2, -1
	s_cbranch_vccnz .LBB266_2
; %bb.1:
	s_load_b32 s12, s[12:13], 0x0
.LBB266_2:
	s_and_not1_b32 vcc_lo, exec_lo, s2
	s_cbranch_vccnz .LBB266_4
; %bb.3:
	s_load_b32 s8, s[8:9], 0x0
.LBB266_4:
	s_waitcnt lgkmcnt(0)
	v_cmp_neq_f32_e64 s2, s12, 0
	v_cmp_neq_f32_e64 s3, s8, 1.0
	s_delay_alu instid0(VALU_DEP_1) | instskip(NEXT) | instid1(SALU_CYCLE_1)
	s_or_b32 s2, s2, s3
	s_and_not1_b32 vcc_lo, exec_lo, s2
	s_cbranch_vccnz .LBB266_42
; %bb.5:
	s_clause 0x1
	s_load_b128 s[4:7], s[0:1], 0x18
	s_load_b64 s[16:17], s[0:1], 0x28
	s_waitcnt lgkmcnt(0)
	s_cmp_eq_u64 s[4:5], 0
	s_cbranch_scc1 .LBB266_7
; %bb.6:
	s_ashr_i32 s11, s10, 31
	s_delay_alu instid0(SALU_CYCLE_1) | instskip(NEXT) | instid1(SALU_CYCLE_1)
	s_lshl_b64 s[2:3], s[10:11], 2
	s_add_u32 s2, s4, s2
	s_addc_u32 s3, s5, s3
	s_load_b32 s2, s[2:3], 0x0
	s_waitcnt lgkmcnt(0)
	s_sub_i32 s10, s2, s14
.LBB266_7:
	s_load_b32 s3, s[0:1], 0x4
	v_mul_u32_u24_e32 v1, 0x97c, v0
	v_mov_b32_e32 v6, 0
	s_delay_alu instid0(VALU_DEP_2) | instskip(NEXT) | instid1(VALU_DEP_1)
	v_lshrrev_b32_e32 v1, 16, v1
	v_mul_lo_u16 v2, v1, 27
	s_delay_alu instid0(VALU_DEP_1)
	v_sub_nc_u16 v7, v0, v2
	s_waitcnt lgkmcnt(0)
	s_cmp_eq_u32 s3, 1
	s_cselect_b32 s2, -1, 0
	s_cmp_lg_u32 s3, 1
	s_cselect_b32 s3, -1, 0
	s_ashr_i32 s11, s10, 31
	s_delay_alu instid0(SALU_CYCLE_1) | instskip(NEXT) | instid1(SALU_CYCLE_1)
	s_lshl_b64 s[4:5], s[10:11], 3
	s_add_u32 s6, s6, s4
	s_addc_u32 s7, s7, s5
	s_add_u32 s9, s6, 8
	s_addc_u32 s11, s7, 0
	;; [unrolled: 2-line block ×3, first 2 shown]
	s_cmp_eq_u64 s[16:17], 0
	s_cselect_b32 s5, s11, s5
	s_cselect_b32 s4, s9, s4
	s_load_b64 s[18:19], s[6:7], 0x0
	s_load_b64 s[6:7], s[4:5], 0x0
	;; [unrolled: 1-line block ×3, first 2 shown]
	s_waitcnt lgkmcnt(0)
	v_cmp_ge_i64_e64 s9, s[18:19], s[6:7]
	s_delay_alu instid0(VALU_DEP_1)
	s_and_b32 vcc_lo, exec_lo, s9
	s_cbranch_vccnz .LBB266_12
; %bb.8:
	v_dual_mov_b32 v6, 0 :: v_dual_and_b32 v1, 0xffff, v1
	v_cmp_lt_u32_e32 vcc_lo, 0x2d8, v0
	s_clause 0x1
	s_load_b128 s[20:23], s[0:1], 0x30
	s_load_b64 s[0:1], s[0:1], 0x40
	v_subrev_nc_u32_e32 v3, 27, v1
	s_sub_u32 s6, s6, s14
	v_cndmask_b32_e64 v8, 0, 1, vcc_lo
	v_cmp_gt_u32_e32 vcc_lo, 0x2d9, v0
	v_and_b32_e32 v2, 0xffff, v7
	s_subb_u32 s7, s7, 0
	s_sub_u32 s16, s18, s14
	s_subb_u32 s17, s19, 0
	v_cndmask_b32_e32 v1, v3, v1, vcc_lo
	s_mul_i32 s9, s17, 0x2d9
	s_mul_i32 s11, s16, 0x2d9
	s_delay_alu instid0(VALU_DEP_1) | instskip(SKIP_1) | instid1(VALU_DEP_1)
	v_cndmask_b32_e64 v1, v2, v1, s2
	v_add_co_u32 v2, s2, s18, v8
	v_add_co_ci_u32_e64 v3, null, s19, 0, s2
	s_mul_hi_u32 s2, s16, 0x2d9
	s_delay_alu instid0(VALU_DEP_2) | instskip(NEXT) | instid1(VALU_DEP_2)
	v_sub_co_u32 v2, vcc_lo, v2, s14
	v_subrev_co_ci_u32_e32 v3, vcc_lo, 0, v3, vcc_lo
	s_add_i32 s2, s2, s9
	s_waitcnt lgkmcnt(0)
	s_add_u32 s9, s22, s11
	s_addc_u32 s2, s23, s2
	v_lshlrev_b64 v[4:5], 2, v[2:3]
	v_add_co_u32 v2, s9, s9, v0
	s_delay_alu instid0(VALU_DEP_1) | instskip(NEXT) | instid1(VALU_DEP_3)
	v_add_co_ci_u32_e64 v3, null, s2, 0, s9
	v_add_co_u32 v4, vcc_lo, s20, v4
	s_delay_alu instid0(VALU_DEP_4)
	v_add_co_ci_u32_e32 v5, vcc_lo, s21, v5, vcc_lo
	s_set_inst_prefetch_distance 0x1
	s_branch .LBB266_10
	.p2align	6
.LBB266_9:                              ;   in Loop: Header=BB266_10 Depth=1
	s_or_b32 exec_lo, exec_lo, s2
	s_add_u32 s16, s16, 1
	s_addc_u32 s17, s17, 0
	v_add_co_u32 v4, vcc_lo, v4, 4
	v_cmp_lt_i64_e64 s2, s[16:17], s[6:7]
	v_add_co_ci_u32_e32 v5, vcc_lo, 0, v5, vcc_lo
	s_delay_alu instid0(VALU_DEP_2)
	s_and_b32 vcc_lo, exec_lo, s2
	s_cbranch_vccz .LBB266_12
.LBB266_10:                             ; =>This Inner Loop Header: Depth=1
	v_add_co_u32 v9, s2, v8, s16
	s_delay_alu instid0(VALU_DEP_1) | instskip(SKIP_1) | instid1(VALU_DEP_1)
	v_add_co_ci_u32_e64 v10, null, 0, s17, s2
	s_mov_b32 s2, exec_lo
	v_cmpx_gt_i64_e64 s[6:7], v[9:10]
	s_cbranch_execz .LBB266_9
; %bb.11:                               ;   in Loop: Header=BB266_10 Depth=1
	global_load_b32 v9, v[4:5], off
	s_waitcnt vmcnt(0)
	v_subrev_nc_u32_e32 v11, s14, v9
	s_delay_alu instid0(VALU_DEP_1) | instskip(NEXT) | instid1(VALU_DEP_1)
	v_mad_u64_u32 v[9:10], null, v11, 27, v[1:2]
	v_ashrrev_i32_e32 v10, 31, v9
	v_add_co_u32 v9, vcc_lo, s0, v9
	s_delay_alu instid0(VALU_DEP_2)
	v_add_co_ci_u32_e32 v10, vcc_lo, s1, v10, vcc_lo
	global_load_i8 v11, v[2:3], off
	global_load_i8 v9, v[9:10], off
	v_add_co_u32 v2, vcc_lo, 0x2d9, v2
	v_add_co_ci_u32_e32 v3, vcc_lo, 0, v3, vcc_lo
	s_waitcnt vmcnt(1)
	v_cvt_f32_i32_e32 v10, v11
	s_waitcnt vmcnt(0)
	v_cvt_f32_i32_e32 v9, v9
	s_delay_alu instid0(VALU_DEP_1)
	v_fmac_f32_e32 v6, v10, v9
	s_branch .LBB266_9
.LBB266_12:
	s_set_inst_prefetch_distance 0x2
	v_lshlrev_b32_e32 v1, 2, v0
	s_and_b32 vcc_lo, exec_lo, s3
	ds_store_b32 v1, v6
	s_waitcnt lgkmcnt(0)
	s_barrier
	buffer_gl0_inv
	s_cbranch_vccz .LBB266_24
; %bb.13:
	s_mov_b32 s0, exec_lo
	v_cmpx_gt_u16_e32 11, v7
	s_cbranch_execz .LBB266_15
; %bb.14:
	ds_load_2addr_b32 v[2:3], v1 offset1:16
	s_waitcnt lgkmcnt(0)
	v_add_f32_e32 v2, v3, v2
	ds_store_b32 v1, v2
.LBB266_15:
	s_or_b32 exec_lo, exec_lo, s0
	s_delay_alu instid0(SALU_CYCLE_1)
	s_mov_b32 s0, exec_lo
	s_waitcnt lgkmcnt(0)
	s_barrier
	buffer_gl0_inv
	v_cmpx_gt_u16_e32 8, v7
	s_cbranch_execz .LBB266_17
; %bb.16:
	ds_load_2addr_b32 v[2:3], v1 offset1:8
	s_waitcnt lgkmcnt(0)
	v_add_f32_e32 v2, v3, v2
	ds_store_b32 v1, v2
.LBB266_17:
	s_or_b32 exec_lo, exec_lo, s0
	s_delay_alu instid0(SALU_CYCLE_1)
	s_mov_b32 s0, exec_lo
	s_waitcnt lgkmcnt(0)
	s_barrier
	buffer_gl0_inv
	;; [unrolled: 14-line block ×3, first 2 shown]
	v_cmpx_gt_u16_e32 2, v7
	s_cbranch_execz .LBB266_21
; %bb.20:
	ds_load_2addr_b32 v[2:3], v1 offset1:2
	s_waitcnt lgkmcnt(0)
	v_add_f32_e32 v2, v3, v2
	ds_store_b32 v1, v2
.LBB266_21:
	s_or_b32 exec_lo, exec_lo, s0
	s_mov_b32 s1, 0
	s_mov_b32 s0, 0
	s_mov_b32 s2, exec_lo
	s_waitcnt lgkmcnt(0)
	s_barrier
	buffer_gl0_inv
                                        ; implicit-def: $vgpr2
                                        ; implicit-def: $vgpr3
	v_cmpx_gt_u32_e32 27, v0
	s_xor_b32 s2, exec_lo, s2
; %bb.22:
	v_mad_u32_u24 v2, v0, 27, 1
	v_mad_u32_u24 v3, 0x68, v0, v1
	s_mov_b32 s0, exec_lo
; %bb.23:
	s_or_b32 exec_lo, exec_lo, s2
	s_delay_alu instid0(SALU_CYCLE_1)
	s_and_b32 vcc_lo, exec_lo, s1
	s_cbranch_vccnz .LBB266_25
	s_branch .LBB266_36
.LBB266_24:
	s_mov_b32 s0, 0
                                        ; implicit-def: $vgpr2
                                        ; implicit-def: $vgpr3
	s_cbranch_execz .LBB266_36
.LBB266_25:
	s_mov_b32 s1, exec_lo
	v_cmpx_gt_u32_e32 0x129, v0
	s_cbranch_execz .LBB266_27
; %bb.26:
	ds_load_b32 v2, v1 offset:1728
	ds_load_b32 v3, v1
	s_waitcnt lgkmcnt(0)
	v_add_f32_e32 v2, v2, v3
	ds_store_b32 v1, v2
.LBB266_27:
	s_or_b32 exec_lo, exec_lo, s1
	s_delay_alu instid0(SALU_CYCLE_1)
	s_mov_b32 s1, exec_lo
	s_waitcnt lgkmcnt(0)
	s_barrier
	buffer_gl0_inv
	v_cmpx_gt_u32_e32 0xd8, v0
	s_cbranch_execz .LBB266_29
; %bb.28:
	ds_load_2addr_b32 v[2:3], v1 offset1:216
	s_waitcnt lgkmcnt(0)
	v_add_f32_e32 v2, v3, v2
	ds_store_b32 v1, v2
.LBB266_29:
	s_or_b32 exec_lo, exec_lo, s1
	s_delay_alu instid0(SALU_CYCLE_1)
	s_mov_b32 s1, exec_lo
	s_waitcnt lgkmcnt(0)
	s_barrier
	buffer_gl0_inv
	v_cmpx_gt_u32_e32 0x6c, v0
	s_cbranch_execz .LBB266_31
; %bb.30:
	ds_load_2addr_b32 v[2:3], v1 offset1:108
	s_waitcnt lgkmcnt(0)
	v_add_f32_e32 v2, v3, v2
	ds_store_b32 v1, v2
.LBB266_31:
	;; [unrolled: 14-line block ×3, first 2 shown]
	s_or_b32 exec_lo, exec_lo, s1
	s_delay_alu instid0(SALU_CYCLE_1)
	s_mov_b32 s1, exec_lo
	s_waitcnt lgkmcnt(0)
	buffer_gl0_inv
                                        ; implicit-def: $vgpr2
	v_cmpx_gt_u32_e32 27, v0
; %bb.34:
	v_add_nc_u32_e32 v2, 27, v0
	s_or_b32 s0, s0, exec_lo
                                        ; implicit-def: $vgpr6
; %bb.35:
	s_or_b32 exec_lo, exec_lo, s1
	v_mov_b32_e32 v3, v1
.LBB266_36:
	s_and_saveexec_b32 s1, s0
	s_cbranch_execz .LBB266_38
; %bb.37:
	v_lshlrev_b32_e32 v1, 2, v2
	ds_load_b32 v2, v3
	ds_load_b32 v1, v1
	s_waitcnt lgkmcnt(0)
	v_add_f32_e32 v6, v2, v1
.LBB266_38:
	s_or_b32 exec_lo, exec_lo, s1
	s_delay_alu instid0(SALU_CYCLE_1)
	s_mov_b32 s0, exec_lo
	v_cmpx_gt_u32_e32 27, v0
	s_cbranch_execz .LBB266_42
; %bb.39:
	v_cmp_eq_f32_e64 s0, s8, 0
	v_mul_f32_e32 v1, s12, v6
	s_delay_alu instid0(VALU_DEP_2)
	s_and_b32 vcc_lo, exec_lo, s0
	s_mov_b32 s0, 0
	s_cbranch_vccz .LBB266_43
; %bb.40:
	s_delay_alu instid0(VALU_DEP_1) | instskip(SKIP_1) | instid1(VALU_DEP_1)
	v_mad_u64_u32 v[2:3], null, s10, 27, v[0:1]
	v_mov_b32_e32 v3, 0
	v_lshlrev_b64 v[2:3], 2, v[2:3]
	s_delay_alu instid0(VALU_DEP_1) | instskip(NEXT) | instid1(VALU_DEP_2)
	v_add_co_u32 v2, vcc_lo, s4, v2
	v_add_co_ci_u32_e32 v3, vcc_lo, s5, v3, vcc_lo
	global_store_b32 v[2:3], v1, off
	s_and_not1_b32 vcc_lo, exec_lo, s0
	s_cbranch_vccnz .LBB266_42
.LBB266_41:
	v_mad_u64_u32 v[2:3], null, s10, 27, v[0:1]
	v_mov_b32_e32 v3, 0
	s_delay_alu instid0(VALU_DEP_1) | instskip(NEXT) | instid1(VALU_DEP_1)
	v_lshlrev_b64 v[2:3], 2, v[2:3]
	v_add_co_u32 v2, vcc_lo, s4, v2
	s_delay_alu instid0(VALU_DEP_2)
	v_add_co_ci_u32_e32 v3, vcc_lo, s5, v3, vcc_lo
	global_load_b32 v0, v[2:3], off
	s_waitcnt vmcnt(0)
	v_fmac_f32_e32 v1, s8, v0
	global_store_b32 v[2:3], v1, off
.LBB266_42:
	s_nop 0
	s_sendmsg sendmsg(MSG_DEALLOC_VGPRS)
	s_endpgm
.LBB266_43:
	s_branch .LBB266_41
	.section	.rodata,"a",@progbits
	.p2align	6, 0x0
	.amdhsa_kernel _ZN9rocsparseL20bsrxmvn_17_32_kernelILj27EfliaafEEvT2_20rocsparse_direction_NS_24const_host_device_scalarIT0_EES1_PKS1_PKT1_SA_S7_PKT3_PKT4_S5_PT5_21rocsparse_index_base_b
		.amdhsa_group_segment_fixed_size 2916
		.amdhsa_private_segment_fixed_size 0
		.amdhsa_kernarg_size 96
		.amdhsa_user_sgpr_count 15
		.amdhsa_user_sgpr_dispatch_ptr 0
		.amdhsa_user_sgpr_queue_ptr 0
		.amdhsa_user_sgpr_kernarg_segment_ptr 1
		.amdhsa_user_sgpr_dispatch_id 0
		.amdhsa_user_sgpr_private_segment_size 0
		.amdhsa_wavefront_size32 1
		.amdhsa_uses_dynamic_stack 0
		.amdhsa_enable_private_segment 0
		.amdhsa_system_sgpr_workgroup_id_x 1
		.amdhsa_system_sgpr_workgroup_id_y 0
		.amdhsa_system_sgpr_workgroup_id_z 0
		.amdhsa_system_sgpr_workgroup_info 0
		.amdhsa_system_vgpr_workitem_id 0
		.amdhsa_next_free_vgpr 12
		.amdhsa_next_free_sgpr 24
		.amdhsa_reserve_vcc 1
		.amdhsa_float_round_mode_32 0
		.amdhsa_float_round_mode_16_64 0
		.amdhsa_float_denorm_mode_32 3
		.amdhsa_float_denorm_mode_16_64 3
		.amdhsa_dx10_clamp 1
		.amdhsa_ieee_mode 1
		.amdhsa_fp16_overflow 0
		.amdhsa_workgroup_processor_mode 1
		.amdhsa_memory_ordered 1
		.amdhsa_forward_progress 0
		.amdhsa_shared_vgpr_count 0
		.amdhsa_exception_fp_ieee_invalid_op 0
		.amdhsa_exception_fp_denorm_src 0
		.amdhsa_exception_fp_ieee_div_zero 0
		.amdhsa_exception_fp_ieee_overflow 0
		.amdhsa_exception_fp_ieee_underflow 0
		.amdhsa_exception_fp_ieee_inexact 0
		.amdhsa_exception_int_div_zero 0
	.end_amdhsa_kernel
	.section	.text._ZN9rocsparseL20bsrxmvn_17_32_kernelILj27EfliaafEEvT2_20rocsparse_direction_NS_24const_host_device_scalarIT0_EES1_PKS1_PKT1_SA_S7_PKT3_PKT4_S5_PT5_21rocsparse_index_base_b,"axG",@progbits,_ZN9rocsparseL20bsrxmvn_17_32_kernelILj27EfliaafEEvT2_20rocsparse_direction_NS_24const_host_device_scalarIT0_EES1_PKS1_PKT1_SA_S7_PKT3_PKT4_S5_PT5_21rocsparse_index_base_b,comdat
.Lfunc_end266:
	.size	_ZN9rocsparseL20bsrxmvn_17_32_kernelILj27EfliaafEEvT2_20rocsparse_direction_NS_24const_host_device_scalarIT0_EES1_PKS1_PKT1_SA_S7_PKT3_PKT4_S5_PT5_21rocsparse_index_base_b, .Lfunc_end266-_ZN9rocsparseL20bsrxmvn_17_32_kernelILj27EfliaafEEvT2_20rocsparse_direction_NS_24const_host_device_scalarIT0_EES1_PKS1_PKT1_SA_S7_PKT3_PKT4_S5_PT5_21rocsparse_index_base_b
                                        ; -- End function
	.section	.AMDGPU.csdata,"",@progbits
; Kernel info:
; codeLenInByte = 1612
; NumSgprs: 26
; NumVgprs: 12
; ScratchSize: 0
; MemoryBound: 0
; FloatMode: 240
; IeeeMode: 1
; LDSByteSize: 2916 bytes/workgroup (compile time only)
; SGPRBlocks: 3
; VGPRBlocks: 1
; NumSGPRsForWavesPerEU: 26
; NumVGPRsForWavesPerEU: 12
; Occupancy: 12
; WaveLimiterHint : 1
; COMPUTE_PGM_RSRC2:SCRATCH_EN: 0
; COMPUTE_PGM_RSRC2:USER_SGPR: 15
; COMPUTE_PGM_RSRC2:TRAP_HANDLER: 0
; COMPUTE_PGM_RSRC2:TGID_X_EN: 1
; COMPUTE_PGM_RSRC2:TGID_Y_EN: 0
; COMPUTE_PGM_RSRC2:TGID_Z_EN: 0
; COMPUTE_PGM_RSRC2:TIDIG_COMP_CNT: 0
	.section	.text._ZN9rocsparseL20bsrxmvn_17_32_kernelILj28EfliaafEEvT2_20rocsparse_direction_NS_24const_host_device_scalarIT0_EES1_PKS1_PKT1_SA_S7_PKT3_PKT4_S5_PT5_21rocsparse_index_base_b,"axG",@progbits,_ZN9rocsparseL20bsrxmvn_17_32_kernelILj28EfliaafEEvT2_20rocsparse_direction_NS_24const_host_device_scalarIT0_EES1_PKS1_PKT1_SA_S7_PKT3_PKT4_S5_PT5_21rocsparse_index_base_b,comdat
	.globl	_ZN9rocsparseL20bsrxmvn_17_32_kernelILj28EfliaafEEvT2_20rocsparse_direction_NS_24const_host_device_scalarIT0_EES1_PKS1_PKT1_SA_S7_PKT3_PKT4_S5_PT5_21rocsparse_index_base_b ; -- Begin function _ZN9rocsparseL20bsrxmvn_17_32_kernelILj28EfliaafEEvT2_20rocsparse_direction_NS_24const_host_device_scalarIT0_EES1_PKS1_PKT1_SA_S7_PKT3_PKT4_S5_PT5_21rocsparse_index_base_b
	.p2align	8
	.type	_ZN9rocsparseL20bsrxmvn_17_32_kernelILj28EfliaafEEvT2_20rocsparse_direction_NS_24const_host_device_scalarIT0_EES1_PKS1_PKT1_SA_S7_PKT3_PKT4_S5_PT5_21rocsparse_index_base_b,@function
_ZN9rocsparseL20bsrxmvn_17_32_kernelILj28EfliaafEEvT2_20rocsparse_direction_NS_24const_host_device_scalarIT0_EES1_PKS1_PKT1_SA_S7_PKT3_PKT4_S5_PT5_21rocsparse_index_base_b: ; @_ZN9rocsparseL20bsrxmvn_17_32_kernelILj28EfliaafEEvT2_20rocsparse_direction_NS_24const_host_device_scalarIT0_EES1_PKS1_PKT1_SA_S7_PKT3_PKT4_S5_PT5_21rocsparse_index_base_b
; %bb.0:
	s_mov_b32 s10, s15
	s_clause 0x2
	s_load_b64 s[14:15], s[0:1], 0x58
	s_load_b64 s[12:13], s[0:1], 0x8
	;; [unrolled: 1-line block ×3, first 2 shown]
	s_waitcnt lgkmcnt(0)
	s_bitcmp1_b32 s15, 0
	s_cselect_b32 s2, -1, 0
	s_delay_alu instid0(SALU_CYCLE_1)
	s_and_b32 vcc_lo, exec_lo, s2
	s_xor_b32 s2, s2, -1
	s_cbranch_vccnz .LBB267_2
; %bb.1:
	s_load_b32 s12, s[12:13], 0x0
.LBB267_2:
	s_and_not1_b32 vcc_lo, exec_lo, s2
	s_cbranch_vccnz .LBB267_4
; %bb.3:
	s_load_b32 s8, s[8:9], 0x0
.LBB267_4:
	s_waitcnt lgkmcnt(0)
	v_cmp_neq_f32_e64 s2, s12, 0
	v_cmp_neq_f32_e64 s3, s8, 1.0
	s_delay_alu instid0(VALU_DEP_1) | instskip(NEXT) | instid1(SALU_CYCLE_1)
	s_or_b32 s2, s2, s3
	s_and_not1_b32 vcc_lo, exec_lo, s2
	s_cbranch_vccnz .LBB267_42
; %bb.5:
	s_clause 0x1
	s_load_b128 s[4:7], s[0:1], 0x18
	s_load_b64 s[16:17], s[0:1], 0x28
	s_waitcnt lgkmcnt(0)
	s_cmp_eq_u64 s[4:5], 0
	s_cbranch_scc1 .LBB267_7
; %bb.6:
	s_ashr_i32 s11, s10, 31
	s_delay_alu instid0(SALU_CYCLE_1) | instskip(NEXT) | instid1(SALU_CYCLE_1)
	s_lshl_b64 s[2:3], s[10:11], 2
	s_add_u32 s2, s4, s2
	s_addc_u32 s3, s5, s3
	s_load_b32 s2, s[2:3], 0x0
	s_waitcnt lgkmcnt(0)
	s_sub_i32 s10, s2, s14
.LBB267_7:
	s_load_b32 s3, s[0:1], 0x4
	v_mul_u32_u24_e32 v1, 0x925, v0
	v_mov_b32_e32 v6, 0
	s_delay_alu instid0(VALU_DEP_2) | instskip(NEXT) | instid1(VALU_DEP_1)
	v_lshrrev_b32_e32 v1, 16, v1
	v_mul_lo_u16 v2, v1, 28
	s_delay_alu instid0(VALU_DEP_1)
	v_sub_nc_u16 v7, v0, v2
	s_waitcnt lgkmcnt(0)
	s_cmp_eq_u32 s3, 1
	s_cselect_b32 s2, -1, 0
	s_cmp_lg_u32 s3, 1
	s_cselect_b32 s3, -1, 0
	s_ashr_i32 s11, s10, 31
	s_delay_alu instid0(SALU_CYCLE_1) | instskip(NEXT) | instid1(SALU_CYCLE_1)
	s_lshl_b64 s[4:5], s[10:11], 3
	s_add_u32 s6, s6, s4
	s_addc_u32 s7, s7, s5
	s_add_u32 s9, s6, 8
	s_addc_u32 s11, s7, 0
	;; [unrolled: 2-line block ×3, first 2 shown]
	s_cmp_eq_u64 s[16:17], 0
	s_cselect_b32 s5, s11, s5
	s_cselect_b32 s4, s9, s4
	s_load_b64 s[18:19], s[6:7], 0x0
	s_load_b64 s[6:7], s[4:5], 0x0
	;; [unrolled: 1-line block ×3, first 2 shown]
	s_waitcnt lgkmcnt(0)
	v_cmp_ge_i64_e64 s9, s[18:19], s[6:7]
	s_delay_alu instid0(VALU_DEP_1)
	s_and_b32 vcc_lo, exec_lo, s9
	s_cbranch_vccnz .LBB267_12
; %bb.8:
	v_dual_mov_b32 v6, 0 :: v_dual_and_b32 v1, 0xffff, v1
	v_cmp_lt_u32_e32 vcc_lo, 0x30f, v0
	s_clause 0x1
	s_load_b128 s[20:23], s[0:1], 0x30
	s_load_b64 s[0:1], s[0:1], 0x40
	v_subrev_nc_u32_e32 v3, 28, v1
	s_sub_u32 s6, s6, s14
	v_cndmask_b32_e64 v8, 0, 1, vcc_lo
	v_cmp_gt_u32_e32 vcc_lo, 0x310, v0
	v_and_b32_e32 v2, 0xffff, v7
	s_subb_u32 s7, s7, 0
	s_sub_u32 s16, s18, s14
	s_subb_u32 s17, s19, 0
	v_cndmask_b32_e32 v1, v3, v1, vcc_lo
	s_mul_i32 s9, s17, 0x310
	s_mul_i32 s11, s16, 0x310
	s_delay_alu instid0(VALU_DEP_1) | instskip(SKIP_1) | instid1(VALU_DEP_1)
	v_cndmask_b32_e64 v1, v2, v1, s2
	v_add_co_u32 v2, s2, s18, v8
	v_add_co_ci_u32_e64 v3, null, s19, 0, s2
	s_mul_hi_u32 s2, s16, 0x310
	s_delay_alu instid0(VALU_DEP_2) | instskip(NEXT) | instid1(VALU_DEP_2)
	v_sub_co_u32 v2, vcc_lo, v2, s14
	v_subrev_co_ci_u32_e32 v3, vcc_lo, 0, v3, vcc_lo
	s_add_i32 s2, s2, s9
	s_waitcnt lgkmcnt(0)
	s_add_u32 s9, s22, s11
	s_addc_u32 s2, s23, s2
	v_lshlrev_b64 v[4:5], 2, v[2:3]
	v_add_co_u32 v2, s9, s9, v0
	s_delay_alu instid0(VALU_DEP_1) | instskip(NEXT) | instid1(VALU_DEP_3)
	v_add_co_ci_u32_e64 v3, null, s2, 0, s9
	v_add_co_u32 v4, vcc_lo, s20, v4
	s_delay_alu instid0(VALU_DEP_4)
	v_add_co_ci_u32_e32 v5, vcc_lo, s21, v5, vcc_lo
	s_set_inst_prefetch_distance 0x1
	s_branch .LBB267_10
	.p2align	6
.LBB267_9:                              ;   in Loop: Header=BB267_10 Depth=1
	s_or_b32 exec_lo, exec_lo, s2
	s_add_u32 s16, s16, 1
	s_addc_u32 s17, s17, 0
	v_add_co_u32 v4, vcc_lo, v4, 4
	v_cmp_lt_i64_e64 s2, s[16:17], s[6:7]
	v_add_co_ci_u32_e32 v5, vcc_lo, 0, v5, vcc_lo
	s_delay_alu instid0(VALU_DEP_2)
	s_and_b32 vcc_lo, exec_lo, s2
	s_cbranch_vccz .LBB267_12
.LBB267_10:                             ; =>This Inner Loop Header: Depth=1
	v_add_co_u32 v9, s2, v8, s16
	s_delay_alu instid0(VALU_DEP_1) | instskip(SKIP_1) | instid1(VALU_DEP_1)
	v_add_co_ci_u32_e64 v10, null, 0, s17, s2
	s_mov_b32 s2, exec_lo
	v_cmpx_gt_i64_e64 s[6:7], v[9:10]
	s_cbranch_execz .LBB267_9
; %bb.11:                               ;   in Loop: Header=BB267_10 Depth=1
	global_load_b32 v9, v[4:5], off
	s_waitcnt vmcnt(0)
	v_subrev_nc_u32_e32 v11, s14, v9
	s_delay_alu instid0(VALU_DEP_1) | instskip(NEXT) | instid1(VALU_DEP_1)
	v_mad_u64_u32 v[9:10], null, v11, 28, v[1:2]
	v_ashrrev_i32_e32 v10, 31, v9
	v_add_co_u32 v9, vcc_lo, s0, v9
	s_delay_alu instid0(VALU_DEP_2)
	v_add_co_ci_u32_e32 v10, vcc_lo, s1, v10, vcc_lo
	global_load_i8 v11, v[2:3], off
	global_load_i8 v9, v[9:10], off
	v_add_co_u32 v2, vcc_lo, 0x310, v2
	v_add_co_ci_u32_e32 v3, vcc_lo, 0, v3, vcc_lo
	s_waitcnt vmcnt(1)
	v_cvt_f32_i32_e32 v10, v11
	s_waitcnt vmcnt(0)
	v_cvt_f32_i32_e32 v9, v9
	s_delay_alu instid0(VALU_DEP_1)
	v_fmac_f32_e32 v6, v10, v9
	s_branch .LBB267_9
.LBB267_12:
	s_set_inst_prefetch_distance 0x2
	v_lshlrev_b32_e32 v1, 2, v0
	s_and_b32 vcc_lo, exec_lo, s3
	ds_store_b32 v1, v6
	s_waitcnt lgkmcnt(0)
	s_barrier
	buffer_gl0_inv
	s_cbranch_vccz .LBB267_24
; %bb.13:
	s_mov_b32 s0, exec_lo
	v_cmpx_gt_u16_e32 12, v7
	s_cbranch_execz .LBB267_15
; %bb.14:
	ds_load_2addr_b32 v[2:3], v1 offset1:16
	s_waitcnt lgkmcnt(0)
	v_add_f32_e32 v2, v3, v2
	ds_store_b32 v1, v2
.LBB267_15:
	s_or_b32 exec_lo, exec_lo, s0
	s_delay_alu instid0(SALU_CYCLE_1)
	s_mov_b32 s0, exec_lo
	s_waitcnt lgkmcnt(0)
	s_barrier
	buffer_gl0_inv
	v_cmpx_gt_u16_e32 8, v7
	s_cbranch_execz .LBB267_17
; %bb.16:
	ds_load_2addr_b32 v[2:3], v1 offset1:8
	s_waitcnt lgkmcnt(0)
	v_add_f32_e32 v2, v3, v2
	ds_store_b32 v1, v2
.LBB267_17:
	s_or_b32 exec_lo, exec_lo, s0
	s_delay_alu instid0(SALU_CYCLE_1)
	s_mov_b32 s0, exec_lo
	s_waitcnt lgkmcnt(0)
	s_barrier
	buffer_gl0_inv
	;; [unrolled: 14-line block ×3, first 2 shown]
	v_cmpx_gt_u16_e32 2, v7
	s_cbranch_execz .LBB267_21
; %bb.20:
	ds_load_2addr_b32 v[2:3], v1 offset1:2
	s_waitcnt lgkmcnt(0)
	v_add_f32_e32 v2, v3, v2
	ds_store_b32 v1, v2
.LBB267_21:
	s_or_b32 exec_lo, exec_lo, s0
	s_mov_b32 s1, 0
	s_mov_b32 s0, 0
	s_mov_b32 s2, exec_lo
	s_waitcnt lgkmcnt(0)
	s_barrier
	buffer_gl0_inv
                                        ; implicit-def: $vgpr2
                                        ; implicit-def: $vgpr3
	v_cmpx_gt_u32_e32 28, v0
	s_xor_b32 s2, exec_lo, s2
; %bb.22:
	v_mul_u32_u24_e32 v2, 28, v0
	v_mad_u32_u24 v3, 0x6c, v0, v1
	s_mov_b32 s0, exec_lo
	s_delay_alu instid0(VALU_DEP_2)
	v_or_b32_e32 v2, 1, v2
; %bb.23:
	s_or_b32 exec_lo, exec_lo, s2
	s_delay_alu instid0(SALU_CYCLE_1)
	s_and_b32 vcc_lo, exec_lo, s1
	s_cbranch_vccnz .LBB267_25
	s_branch .LBB267_36
.LBB267_24:
	s_mov_b32 s0, 0
                                        ; implicit-def: $vgpr2
                                        ; implicit-def: $vgpr3
	s_cbranch_execz .LBB267_36
.LBB267_25:
	s_mov_b32 s1, exec_lo
	v_cmpx_gt_u32_e32 0x150, v0
	s_cbranch_execz .LBB267_27
; %bb.26:
	ds_load_2addr_stride64_b32 v[2:3], v1 offset1:7
	s_waitcnt lgkmcnt(0)
	v_add_f32_e32 v2, v3, v2
	ds_store_b32 v1, v2
.LBB267_27:
	s_or_b32 exec_lo, exec_lo, s1
	s_delay_alu instid0(SALU_CYCLE_1)
	s_mov_b32 s1, exec_lo
	s_waitcnt lgkmcnt(0)
	s_barrier
	buffer_gl0_inv
	v_cmpx_gt_u32_e32 0xe0, v0
	s_cbranch_execz .LBB267_29
; %bb.28:
	ds_load_2addr_b32 v[2:3], v1 offset1:224
	s_waitcnt lgkmcnt(0)
	v_add_f32_e32 v2, v3, v2
	ds_store_b32 v1, v2
.LBB267_29:
	s_or_b32 exec_lo, exec_lo, s1
	s_delay_alu instid0(SALU_CYCLE_1)
	s_mov_b32 s1, exec_lo
	s_waitcnt lgkmcnt(0)
	s_barrier
	buffer_gl0_inv
	v_cmpx_gt_u32_e32 0x70, v0
	s_cbranch_execz .LBB267_31
; %bb.30:
	ds_load_2addr_b32 v[2:3], v1 offset1:112
	s_waitcnt lgkmcnt(0)
	v_add_f32_e32 v2, v3, v2
	ds_store_b32 v1, v2
.LBB267_31:
	;; [unrolled: 14-line block ×3, first 2 shown]
	s_or_b32 exec_lo, exec_lo, s1
	s_delay_alu instid0(SALU_CYCLE_1)
	s_mov_b32 s1, exec_lo
	s_waitcnt lgkmcnt(0)
	buffer_gl0_inv
                                        ; implicit-def: $vgpr2
	v_cmpx_gt_u32_e32 28, v0
; %bb.34:
	v_add_nc_u32_e32 v2, 28, v0
	s_or_b32 s0, s0, exec_lo
                                        ; implicit-def: $vgpr6
; %bb.35:
	s_or_b32 exec_lo, exec_lo, s1
	v_mov_b32_e32 v3, v1
.LBB267_36:
	s_and_saveexec_b32 s1, s0
	s_cbranch_execz .LBB267_38
; %bb.37:
	v_lshlrev_b32_e32 v1, 2, v2
	ds_load_b32 v2, v3
	ds_load_b32 v1, v1
	s_waitcnt lgkmcnt(0)
	v_add_f32_e32 v6, v2, v1
.LBB267_38:
	s_or_b32 exec_lo, exec_lo, s1
	s_delay_alu instid0(SALU_CYCLE_1)
	s_mov_b32 s0, exec_lo
	v_cmpx_gt_u32_e32 28, v0
	s_cbranch_execz .LBB267_42
; %bb.39:
	v_cmp_eq_f32_e64 s0, s8, 0
	v_mul_f32_e32 v1, s12, v6
	s_delay_alu instid0(VALU_DEP_2)
	s_and_b32 vcc_lo, exec_lo, s0
	s_mov_b32 s0, 0
	s_cbranch_vccz .LBB267_43
; %bb.40:
	s_delay_alu instid0(VALU_DEP_1) | instskip(SKIP_1) | instid1(VALU_DEP_1)
	v_mad_u64_u32 v[2:3], null, s10, 28, v[0:1]
	v_mov_b32_e32 v3, 0
	v_lshlrev_b64 v[2:3], 2, v[2:3]
	s_delay_alu instid0(VALU_DEP_1) | instskip(NEXT) | instid1(VALU_DEP_2)
	v_add_co_u32 v2, vcc_lo, s4, v2
	v_add_co_ci_u32_e32 v3, vcc_lo, s5, v3, vcc_lo
	global_store_b32 v[2:3], v1, off
	s_and_not1_b32 vcc_lo, exec_lo, s0
	s_cbranch_vccnz .LBB267_42
.LBB267_41:
	v_mad_u64_u32 v[2:3], null, s10, 28, v[0:1]
	v_mov_b32_e32 v3, 0
	s_delay_alu instid0(VALU_DEP_1) | instskip(NEXT) | instid1(VALU_DEP_1)
	v_lshlrev_b64 v[2:3], 2, v[2:3]
	v_add_co_u32 v2, vcc_lo, s4, v2
	s_delay_alu instid0(VALU_DEP_2)
	v_add_co_ci_u32_e32 v3, vcc_lo, s5, v3, vcc_lo
	global_load_b32 v0, v[2:3], off
	s_waitcnt vmcnt(0)
	v_fmac_f32_e32 v1, s8, v0
	global_store_b32 v[2:3], v1, off
.LBB267_42:
	s_nop 0
	s_sendmsg sendmsg(MSG_DEALLOC_VGPRS)
	s_endpgm
.LBB267_43:
	s_branch .LBB267_41
	.section	.rodata,"a",@progbits
	.p2align	6, 0x0
	.amdhsa_kernel _ZN9rocsparseL20bsrxmvn_17_32_kernelILj28EfliaafEEvT2_20rocsparse_direction_NS_24const_host_device_scalarIT0_EES1_PKS1_PKT1_SA_S7_PKT3_PKT4_S5_PT5_21rocsparse_index_base_b
		.amdhsa_group_segment_fixed_size 3136
		.amdhsa_private_segment_fixed_size 0
		.amdhsa_kernarg_size 96
		.amdhsa_user_sgpr_count 15
		.amdhsa_user_sgpr_dispatch_ptr 0
		.amdhsa_user_sgpr_queue_ptr 0
		.amdhsa_user_sgpr_kernarg_segment_ptr 1
		.amdhsa_user_sgpr_dispatch_id 0
		.amdhsa_user_sgpr_private_segment_size 0
		.amdhsa_wavefront_size32 1
		.amdhsa_uses_dynamic_stack 0
		.amdhsa_enable_private_segment 0
		.amdhsa_system_sgpr_workgroup_id_x 1
		.amdhsa_system_sgpr_workgroup_id_y 0
		.amdhsa_system_sgpr_workgroup_id_z 0
		.amdhsa_system_sgpr_workgroup_info 0
		.amdhsa_system_vgpr_workitem_id 0
		.amdhsa_next_free_vgpr 12
		.amdhsa_next_free_sgpr 24
		.amdhsa_reserve_vcc 1
		.amdhsa_float_round_mode_32 0
		.amdhsa_float_round_mode_16_64 0
		.amdhsa_float_denorm_mode_32 3
		.amdhsa_float_denorm_mode_16_64 3
		.amdhsa_dx10_clamp 1
		.amdhsa_ieee_mode 1
		.amdhsa_fp16_overflow 0
		.amdhsa_workgroup_processor_mode 1
		.amdhsa_memory_ordered 1
		.amdhsa_forward_progress 0
		.amdhsa_shared_vgpr_count 0
		.amdhsa_exception_fp_ieee_invalid_op 0
		.amdhsa_exception_fp_denorm_src 0
		.amdhsa_exception_fp_ieee_div_zero 0
		.amdhsa_exception_fp_ieee_overflow 0
		.amdhsa_exception_fp_ieee_underflow 0
		.amdhsa_exception_fp_ieee_inexact 0
		.amdhsa_exception_int_div_zero 0
	.end_amdhsa_kernel
	.section	.text._ZN9rocsparseL20bsrxmvn_17_32_kernelILj28EfliaafEEvT2_20rocsparse_direction_NS_24const_host_device_scalarIT0_EES1_PKS1_PKT1_SA_S7_PKT3_PKT4_S5_PT5_21rocsparse_index_base_b,"axG",@progbits,_ZN9rocsparseL20bsrxmvn_17_32_kernelILj28EfliaafEEvT2_20rocsparse_direction_NS_24const_host_device_scalarIT0_EES1_PKS1_PKT1_SA_S7_PKT3_PKT4_S5_PT5_21rocsparse_index_base_b,comdat
.Lfunc_end267:
	.size	_ZN9rocsparseL20bsrxmvn_17_32_kernelILj28EfliaafEEvT2_20rocsparse_direction_NS_24const_host_device_scalarIT0_EES1_PKS1_PKT1_SA_S7_PKT3_PKT4_S5_PT5_21rocsparse_index_base_b, .Lfunc_end267-_ZN9rocsparseL20bsrxmvn_17_32_kernelILj28EfliaafEEvT2_20rocsparse_direction_NS_24const_host_device_scalarIT0_EES1_PKS1_PKT1_SA_S7_PKT3_PKT4_S5_PT5_21rocsparse_index_base_b
                                        ; -- End function
	.section	.AMDGPU.csdata,"",@progbits
; Kernel info:
; codeLenInByte = 1608
; NumSgprs: 26
; NumVgprs: 12
; ScratchSize: 0
; MemoryBound: 0
; FloatMode: 240
; IeeeMode: 1
; LDSByteSize: 3136 bytes/workgroup (compile time only)
; SGPRBlocks: 3
; VGPRBlocks: 1
; NumSGPRsForWavesPerEU: 26
; NumVGPRsForWavesPerEU: 12
; Occupancy: 13
; WaveLimiterHint : 1
; COMPUTE_PGM_RSRC2:SCRATCH_EN: 0
; COMPUTE_PGM_RSRC2:USER_SGPR: 15
; COMPUTE_PGM_RSRC2:TRAP_HANDLER: 0
; COMPUTE_PGM_RSRC2:TGID_X_EN: 1
; COMPUTE_PGM_RSRC2:TGID_Y_EN: 0
; COMPUTE_PGM_RSRC2:TGID_Z_EN: 0
; COMPUTE_PGM_RSRC2:TIDIG_COMP_CNT: 0
	.section	.text._ZN9rocsparseL20bsrxmvn_17_32_kernelILj29EfliaafEEvT2_20rocsparse_direction_NS_24const_host_device_scalarIT0_EES1_PKS1_PKT1_SA_S7_PKT3_PKT4_S5_PT5_21rocsparse_index_base_b,"axG",@progbits,_ZN9rocsparseL20bsrxmvn_17_32_kernelILj29EfliaafEEvT2_20rocsparse_direction_NS_24const_host_device_scalarIT0_EES1_PKS1_PKT1_SA_S7_PKT3_PKT4_S5_PT5_21rocsparse_index_base_b,comdat
	.globl	_ZN9rocsparseL20bsrxmvn_17_32_kernelILj29EfliaafEEvT2_20rocsparse_direction_NS_24const_host_device_scalarIT0_EES1_PKS1_PKT1_SA_S7_PKT3_PKT4_S5_PT5_21rocsparse_index_base_b ; -- Begin function _ZN9rocsparseL20bsrxmvn_17_32_kernelILj29EfliaafEEvT2_20rocsparse_direction_NS_24const_host_device_scalarIT0_EES1_PKS1_PKT1_SA_S7_PKT3_PKT4_S5_PT5_21rocsparse_index_base_b
	.p2align	8
	.type	_ZN9rocsparseL20bsrxmvn_17_32_kernelILj29EfliaafEEvT2_20rocsparse_direction_NS_24const_host_device_scalarIT0_EES1_PKS1_PKT1_SA_S7_PKT3_PKT4_S5_PT5_21rocsparse_index_base_b,@function
_ZN9rocsparseL20bsrxmvn_17_32_kernelILj29EfliaafEEvT2_20rocsparse_direction_NS_24const_host_device_scalarIT0_EES1_PKS1_PKT1_SA_S7_PKT3_PKT4_S5_PT5_21rocsparse_index_base_b: ; @_ZN9rocsparseL20bsrxmvn_17_32_kernelILj29EfliaafEEvT2_20rocsparse_direction_NS_24const_host_device_scalarIT0_EES1_PKS1_PKT1_SA_S7_PKT3_PKT4_S5_PT5_21rocsparse_index_base_b
; %bb.0:
	s_mov_b32 s10, s15
	s_clause 0x2
	s_load_b64 s[14:15], s[0:1], 0x58
	s_load_b64 s[12:13], s[0:1], 0x8
	;; [unrolled: 1-line block ×3, first 2 shown]
	s_waitcnt lgkmcnt(0)
	s_bitcmp1_b32 s15, 0
	s_cselect_b32 s2, -1, 0
	s_delay_alu instid0(SALU_CYCLE_1)
	s_and_b32 vcc_lo, exec_lo, s2
	s_xor_b32 s2, s2, -1
	s_cbranch_vccnz .LBB268_2
; %bb.1:
	s_load_b32 s12, s[12:13], 0x0
.LBB268_2:
	s_and_not1_b32 vcc_lo, exec_lo, s2
	s_cbranch_vccnz .LBB268_4
; %bb.3:
	s_load_b32 s8, s[8:9], 0x0
.LBB268_4:
	s_waitcnt lgkmcnt(0)
	v_cmp_neq_f32_e64 s2, s12, 0
	v_cmp_neq_f32_e64 s3, s8, 1.0
	s_delay_alu instid0(VALU_DEP_1) | instskip(NEXT) | instid1(SALU_CYCLE_1)
	s_or_b32 s2, s2, s3
	s_and_not1_b32 vcc_lo, exec_lo, s2
	s_cbranch_vccnz .LBB268_42
; %bb.5:
	s_clause 0x1
	s_load_b128 s[4:7], s[0:1], 0x18
	s_load_b64 s[16:17], s[0:1], 0x28
	s_waitcnt lgkmcnt(0)
	s_cmp_eq_u64 s[4:5], 0
	s_cbranch_scc1 .LBB268_7
; %bb.6:
	s_ashr_i32 s11, s10, 31
	s_delay_alu instid0(SALU_CYCLE_1) | instskip(NEXT) | instid1(SALU_CYCLE_1)
	s_lshl_b64 s[2:3], s[10:11], 2
	s_add_u32 s2, s4, s2
	s_addc_u32 s3, s5, s3
	s_load_b32 s2, s[2:3], 0x0
	s_waitcnt lgkmcnt(0)
	s_sub_i32 s10, s2, s14
.LBB268_7:
	s_load_b32 s3, s[0:1], 0x4
	v_mul_u32_u24_e32 v1, 0x8d4, v0
	v_mov_b32_e32 v6, 0
	s_delay_alu instid0(VALU_DEP_2) | instskip(NEXT) | instid1(VALU_DEP_1)
	v_lshrrev_b32_e32 v1, 16, v1
	v_mul_lo_u16 v2, v1, 29
	s_delay_alu instid0(VALU_DEP_1)
	v_sub_nc_u16 v7, v0, v2
	s_waitcnt lgkmcnt(0)
	s_cmp_eq_u32 s3, 1
	s_cselect_b32 s2, -1, 0
	s_cmp_lg_u32 s3, 1
	s_cselect_b32 s3, -1, 0
	s_ashr_i32 s11, s10, 31
	s_delay_alu instid0(SALU_CYCLE_1) | instskip(NEXT) | instid1(SALU_CYCLE_1)
	s_lshl_b64 s[4:5], s[10:11], 3
	s_add_u32 s6, s6, s4
	s_addc_u32 s7, s7, s5
	s_add_u32 s9, s6, 8
	s_addc_u32 s11, s7, 0
	;; [unrolled: 2-line block ×3, first 2 shown]
	s_cmp_eq_u64 s[16:17], 0
	s_cselect_b32 s5, s11, s5
	s_cselect_b32 s4, s9, s4
	s_load_b64 s[18:19], s[6:7], 0x0
	s_load_b64 s[6:7], s[4:5], 0x0
	;; [unrolled: 1-line block ×3, first 2 shown]
	s_waitcnt lgkmcnt(0)
	v_cmp_ge_i64_e64 s9, s[18:19], s[6:7]
	s_delay_alu instid0(VALU_DEP_1)
	s_and_b32 vcc_lo, exec_lo, s9
	s_cbranch_vccnz .LBB268_12
; %bb.8:
	v_dual_mov_b32 v6, 0 :: v_dual_and_b32 v1, 0xffff, v1
	v_cmp_lt_u32_e32 vcc_lo, 0x348, v0
	s_clause 0x1
	s_load_b128 s[20:23], s[0:1], 0x30
	s_load_b64 s[0:1], s[0:1], 0x40
	v_subrev_nc_u32_e32 v3, 29, v1
	s_sub_u32 s6, s6, s14
	v_cndmask_b32_e64 v8, 0, 1, vcc_lo
	v_cmp_gt_u32_e32 vcc_lo, 0x349, v0
	v_and_b32_e32 v2, 0xffff, v7
	s_subb_u32 s7, s7, 0
	s_sub_u32 s16, s18, s14
	s_subb_u32 s17, s19, 0
	v_cndmask_b32_e32 v1, v3, v1, vcc_lo
	s_mul_i32 s9, s17, 0x349
	s_mul_i32 s11, s16, 0x349
	s_delay_alu instid0(VALU_DEP_1) | instskip(SKIP_1) | instid1(VALU_DEP_1)
	v_cndmask_b32_e64 v1, v2, v1, s2
	v_add_co_u32 v2, s2, s18, v8
	v_add_co_ci_u32_e64 v3, null, s19, 0, s2
	s_mul_hi_u32 s2, s16, 0x349
	s_delay_alu instid0(VALU_DEP_2) | instskip(NEXT) | instid1(VALU_DEP_2)
	v_sub_co_u32 v2, vcc_lo, v2, s14
	v_subrev_co_ci_u32_e32 v3, vcc_lo, 0, v3, vcc_lo
	s_add_i32 s2, s2, s9
	s_waitcnt lgkmcnt(0)
	s_add_u32 s9, s22, s11
	s_addc_u32 s2, s23, s2
	v_lshlrev_b64 v[4:5], 2, v[2:3]
	v_add_co_u32 v2, s9, s9, v0
	s_delay_alu instid0(VALU_DEP_1) | instskip(NEXT) | instid1(VALU_DEP_3)
	v_add_co_ci_u32_e64 v3, null, s2, 0, s9
	v_add_co_u32 v4, vcc_lo, s20, v4
	s_delay_alu instid0(VALU_DEP_4)
	v_add_co_ci_u32_e32 v5, vcc_lo, s21, v5, vcc_lo
	s_set_inst_prefetch_distance 0x1
	s_branch .LBB268_10
	.p2align	6
.LBB268_9:                              ;   in Loop: Header=BB268_10 Depth=1
	s_or_b32 exec_lo, exec_lo, s2
	s_add_u32 s16, s16, 1
	s_addc_u32 s17, s17, 0
	v_add_co_u32 v4, vcc_lo, v4, 4
	v_cmp_lt_i64_e64 s2, s[16:17], s[6:7]
	v_add_co_ci_u32_e32 v5, vcc_lo, 0, v5, vcc_lo
	s_delay_alu instid0(VALU_DEP_2)
	s_and_b32 vcc_lo, exec_lo, s2
	s_cbranch_vccz .LBB268_12
.LBB268_10:                             ; =>This Inner Loop Header: Depth=1
	v_add_co_u32 v9, s2, v8, s16
	s_delay_alu instid0(VALU_DEP_1) | instskip(SKIP_1) | instid1(VALU_DEP_1)
	v_add_co_ci_u32_e64 v10, null, 0, s17, s2
	s_mov_b32 s2, exec_lo
	v_cmpx_gt_i64_e64 s[6:7], v[9:10]
	s_cbranch_execz .LBB268_9
; %bb.11:                               ;   in Loop: Header=BB268_10 Depth=1
	global_load_b32 v9, v[4:5], off
	s_waitcnt vmcnt(0)
	v_subrev_nc_u32_e32 v11, s14, v9
	s_delay_alu instid0(VALU_DEP_1) | instskip(NEXT) | instid1(VALU_DEP_1)
	v_mad_u64_u32 v[9:10], null, v11, 29, v[1:2]
	v_ashrrev_i32_e32 v10, 31, v9
	v_add_co_u32 v9, vcc_lo, s0, v9
	s_delay_alu instid0(VALU_DEP_2)
	v_add_co_ci_u32_e32 v10, vcc_lo, s1, v10, vcc_lo
	global_load_i8 v11, v[2:3], off
	global_load_i8 v9, v[9:10], off
	v_add_co_u32 v2, vcc_lo, 0x349, v2
	v_add_co_ci_u32_e32 v3, vcc_lo, 0, v3, vcc_lo
	s_waitcnt vmcnt(1)
	v_cvt_f32_i32_e32 v10, v11
	s_waitcnt vmcnt(0)
	v_cvt_f32_i32_e32 v9, v9
	s_delay_alu instid0(VALU_DEP_1)
	v_fmac_f32_e32 v6, v10, v9
	s_branch .LBB268_9
.LBB268_12:
	s_set_inst_prefetch_distance 0x2
	v_lshlrev_b32_e32 v1, 2, v0
	s_and_b32 vcc_lo, exec_lo, s3
	ds_store_b32 v1, v6
	s_waitcnt lgkmcnt(0)
	s_barrier
	buffer_gl0_inv
	s_cbranch_vccz .LBB268_24
; %bb.13:
	s_mov_b32 s0, exec_lo
	v_cmpx_gt_u16_e32 13, v7
	s_cbranch_execz .LBB268_15
; %bb.14:
	ds_load_2addr_b32 v[2:3], v1 offset1:16
	s_waitcnt lgkmcnt(0)
	v_add_f32_e32 v2, v3, v2
	ds_store_b32 v1, v2
.LBB268_15:
	s_or_b32 exec_lo, exec_lo, s0
	s_delay_alu instid0(SALU_CYCLE_1)
	s_mov_b32 s0, exec_lo
	s_waitcnt lgkmcnt(0)
	s_barrier
	buffer_gl0_inv
	v_cmpx_gt_u16_e32 8, v7
	s_cbranch_execz .LBB268_17
; %bb.16:
	ds_load_2addr_b32 v[2:3], v1 offset1:8
	s_waitcnt lgkmcnt(0)
	v_add_f32_e32 v2, v3, v2
	ds_store_b32 v1, v2
.LBB268_17:
	s_or_b32 exec_lo, exec_lo, s0
	s_delay_alu instid0(SALU_CYCLE_1)
	s_mov_b32 s0, exec_lo
	s_waitcnt lgkmcnt(0)
	s_barrier
	buffer_gl0_inv
	;; [unrolled: 14-line block ×3, first 2 shown]
	v_cmpx_gt_u16_e32 2, v7
	s_cbranch_execz .LBB268_21
; %bb.20:
	ds_load_2addr_b32 v[2:3], v1 offset1:2
	s_waitcnt lgkmcnt(0)
	v_add_f32_e32 v2, v3, v2
	ds_store_b32 v1, v2
.LBB268_21:
	s_or_b32 exec_lo, exec_lo, s0
	s_mov_b32 s1, 0
	s_mov_b32 s0, 0
	s_mov_b32 s2, exec_lo
	s_waitcnt lgkmcnt(0)
	s_barrier
	buffer_gl0_inv
                                        ; implicit-def: $vgpr2
                                        ; implicit-def: $vgpr3
	v_cmpx_gt_u32_e32 29, v0
	s_xor_b32 s2, exec_lo, s2
; %bb.22:
	v_mad_u32_u24 v2, v0, 29, 1
	v_mad_u32_u24 v3, 0x70, v0, v1
	s_mov_b32 s0, exec_lo
; %bb.23:
	s_or_b32 exec_lo, exec_lo, s2
	s_delay_alu instid0(SALU_CYCLE_1)
	s_and_b32 vcc_lo, exec_lo, s1
	s_cbranch_vccnz .LBB268_25
	s_branch .LBB268_36
.LBB268_24:
	s_mov_b32 s0, 0
                                        ; implicit-def: $vgpr2
                                        ; implicit-def: $vgpr3
	s_cbranch_execz .LBB268_36
.LBB268_25:
	s_mov_b32 s1, exec_lo
	v_cmpx_gt_u32_e32 0x179, v0
	s_cbranch_execz .LBB268_27
; %bb.26:
	ds_load_b32 v2, v1 offset:1856
	ds_load_b32 v3, v1
	s_waitcnt lgkmcnt(0)
	v_add_f32_e32 v2, v2, v3
	ds_store_b32 v1, v2
.LBB268_27:
	s_or_b32 exec_lo, exec_lo, s1
	s_delay_alu instid0(SALU_CYCLE_1)
	s_mov_b32 s1, exec_lo
	s_waitcnt lgkmcnt(0)
	s_barrier
	buffer_gl0_inv
	v_cmpx_gt_u32_e32 0xe8, v0
	s_cbranch_execz .LBB268_29
; %bb.28:
	ds_load_2addr_b32 v[2:3], v1 offset1:232
	s_waitcnt lgkmcnt(0)
	v_add_f32_e32 v2, v3, v2
	ds_store_b32 v1, v2
.LBB268_29:
	s_or_b32 exec_lo, exec_lo, s1
	s_delay_alu instid0(SALU_CYCLE_1)
	s_mov_b32 s1, exec_lo
	s_waitcnt lgkmcnt(0)
	s_barrier
	buffer_gl0_inv
	v_cmpx_gt_u32_e32 0x74, v0
	s_cbranch_execz .LBB268_31
; %bb.30:
	ds_load_2addr_b32 v[2:3], v1 offset1:116
	s_waitcnt lgkmcnt(0)
	v_add_f32_e32 v2, v3, v2
	ds_store_b32 v1, v2
.LBB268_31:
	s_or_b32 exec_lo, exec_lo, s1
	s_delay_alu instid0(SALU_CYCLE_1)
	s_mov_b32 s1, exec_lo
	s_waitcnt lgkmcnt(0)
	s_barrier
	buffer_gl0_inv
	v_cmpx_gt_u32_e32 58, v0
	s_cbranch_execz .LBB268_33
; %bb.32:
	ds_load_2addr_b32 v[2:3], v1 offset1:58
	s_waitcnt lgkmcnt(0)
	v_add_f32_e32 v2, v3, v2
	ds_store_b32 v1, v2
.LBB268_33:
	s_or_b32 exec_lo, exec_lo, s1
	s_delay_alu instid0(SALU_CYCLE_1)
	s_mov_b32 s1, exec_lo
	s_waitcnt lgkmcnt(0)
	buffer_gl0_inv
                                        ; implicit-def: $vgpr2
	v_cmpx_gt_u32_e32 29, v0
; %bb.34:
	v_add_nc_u32_e32 v2, 29, v0
	s_or_b32 s0, s0, exec_lo
                                        ; implicit-def: $vgpr6
; %bb.35:
	s_or_b32 exec_lo, exec_lo, s1
	v_mov_b32_e32 v3, v1
.LBB268_36:
	s_and_saveexec_b32 s1, s0
	s_cbranch_execz .LBB268_38
; %bb.37:
	v_lshlrev_b32_e32 v1, 2, v2
	ds_load_b32 v2, v3
	ds_load_b32 v1, v1
	s_waitcnt lgkmcnt(0)
	v_add_f32_e32 v6, v2, v1
.LBB268_38:
	s_or_b32 exec_lo, exec_lo, s1
	s_delay_alu instid0(SALU_CYCLE_1)
	s_mov_b32 s0, exec_lo
	v_cmpx_gt_u32_e32 29, v0
	s_cbranch_execz .LBB268_42
; %bb.39:
	v_cmp_eq_f32_e64 s0, s8, 0
	v_mul_f32_e32 v1, s12, v6
	s_delay_alu instid0(VALU_DEP_2)
	s_and_b32 vcc_lo, exec_lo, s0
	s_mov_b32 s0, 0
	s_cbranch_vccz .LBB268_43
; %bb.40:
	s_delay_alu instid0(VALU_DEP_1) | instskip(SKIP_1) | instid1(VALU_DEP_1)
	v_mad_u64_u32 v[2:3], null, s10, 29, v[0:1]
	v_mov_b32_e32 v3, 0
	v_lshlrev_b64 v[2:3], 2, v[2:3]
	s_delay_alu instid0(VALU_DEP_1) | instskip(NEXT) | instid1(VALU_DEP_2)
	v_add_co_u32 v2, vcc_lo, s4, v2
	v_add_co_ci_u32_e32 v3, vcc_lo, s5, v3, vcc_lo
	global_store_b32 v[2:3], v1, off
	s_and_not1_b32 vcc_lo, exec_lo, s0
	s_cbranch_vccnz .LBB268_42
.LBB268_41:
	v_mad_u64_u32 v[2:3], null, s10, 29, v[0:1]
	v_mov_b32_e32 v3, 0
	s_delay_alu instid0(VALU_DEP_1) | instskip(NEXT) | instid1(VALU_DEP_1)
	v_lshlrev_b64 v[2:3], 2, v[2:3]
	v_add_co_u32 v2, vcc_lo, s4, v2
	s_delay_alu instid0(VALU_DEP_2)
	v_add_co_ci_u32_e32 v3, vcc_lo, s5, v3, vcc_lo
	global_load_b32 v0, v[2:3], off
	s_waitcnt vmcnt(0)
	v_fmac_f32_e32 v1, s8, v0
	global_store_b32 v[2:3], v1, off
.LBB268_42:
	s_nop 0
	s_sendmsg sendmsg(MSG_DEALLOC_VGPRS)
	s_endpgm
.LBB268_43:
	s_branch .LBB268_41
	.section	.rodata,"a",@progbits
	.p2align	6, 0x0
	.amdhsa_kernel _ZN9rocsparseL20bsrxmvn_17_32_kernelILj29EfliaafEEvT2_20rocsparse_direction_NS_24const_host_device_scalarIT0_EES1_PKS1_PKT1_SA_S7_PKT3_PKT4_S5_PT5_21rocsparse_index_base_b
		.amdhsa_group_segment_fixed_size 3364
		.amdhsa_private_segment_fixed_size 0
		.amdhsa_kernarg_size 96
		.amdhsa_user_sgpr_count 15
		.amdhsa_user_sgpr_dispatch_ptr 0
		.amdhsa_user_sgpr_queue_ptr 0
		.amdhsa_user_sgpr_kernarg_segment_ptr 1
		.amdhsa_user_sgpr_dispatch_id 0
		.amdhsa_user_sgpr_private_segment_size 0
		.amdhsa_wavefront_size32 1
		.amdhsa_uses_dynamic_stack 0
		.amdhsa_enable_private_segment 0
		.amdhsa_system_sgpr_workgroup_id_x 1
		.amdhsa_system_sgpr_workgroup_id_y 0
		.amdhsa_system_sgpr_workgroup_id_z 0
		.amdhsa_system_sgpr_workgroup_info 0
		.amdhsa_system_vgpr_workitem_id 0
		.amdhsa_next_free_vgpr 12
		.amdhsa_next_free_sgpr 24
		.amdhsa_reserve_vcc 1
		.amdhsa_float_round_mode_32 0
		.amdhsa_float_round_mode_16_64 0
		.amdhsa_float_denorm_mode_32 3
		.amdhsa_float_denorm_mode_16_64 3
		.amdhsa_dx10_clamp 1
		.amdhsa_ieee_mode 1
		.amdhsa_fp16_overflow 0
		.amdhsa_workgroup_processor_mode 1
		.amdhsa_memory_ordered 1
		.amdhsa_forward_progress 0
		.amdhsa_shared_vgpr_count 0
		.amdhsa_exception_fp_ieee_invalid_op 0
		.amdhsa_exception_fp_denorm_src 0
		.amdhsa_exception_fp_ieee_div_zero 0
		.amdhsa_exception_fp_ieee_overflow 0
		.amdhsa_exception_fp_ieee_underflow 0
		.amdhsa_exception_fp_ieee_inexact 0
		.amdhsa_exception_int_div_zero 0
	.end_amdhsa_kernel
	.section	.text._ZN9rocsparseL20bsrxmvn_17_32_kernelILj29EfliaafEEvT2_20rocsparse_direction_NS_24const_host_device_scalarIT0_EES1_PKS1_PKT1_SA_S7_PKT3_PKT4_S5_PT5_21rocsparse_index_base_b,"axG",@progbits,_ZN9rocsparseL20bsrxmvn_17_32_kernelILj29EfliaafEEvT2_20rocsparse_direction_NS_24const_host_device_scalarIT0_EES1_PKS1_PKT1_SA_S7_PKT3_PKT4_S5_PT5_21rocsparse_index_base_b,comdat
.Lfunc_end268:
	.size	_ZN9rocsparseL20bsrxmvn_17_32_kernelILj29EfliaafEEvT2_20rocsparse_direction_NS_24const_host_device_scalarIT0_EES1_PKS1_PKT1_SA_S7_PKT3_PKT4_S5_PT5_21rocsparse_index_base_b, .Lfunc_end268-_ZN9rocsparseL20bsrxmvn_17_32_kernelILj29EfliaafEEvT2_20rocsparse_direction_NS_24const_host_device_scalarIT0_EES1_PKS1_PKT1_SA_S7_PKT3_PKT4_S5_PT5_21rocsparse_index_base_b
                                        ; -- End function
	.section	.AMDGPU.csdata,"",@progbits
; Kernel info:
; codeLenInByte = 1612
; NumSgprs: 26
; NumVgprs: 12
; ScratchSize: 0
; MemoryBound: 0
; FloatMode: 240
; IeeeMode: 1
; LDSByteSize: 3364 bytes/workgroup (compile time only)
; SGPRBlocks: 3
; VGPRBlocks: 1
; NumSGPRsForWavesPerEU: 26
; NumVGPRsForWavesPerEU: 12
; Occupancy: 14
; WaveLimiterHint : 1
; COMPUTE_PGM_RSRC2:SCRATCH_EN: 0
; COMPUTE_PGM_RSRC2:USER_SGPR: 15
; COMPUTE_PGM_RSRC2:TRAP_HANDLER: 0
; COMPUTE_PGM_RSRC2:TGID_X_EN: 1
; COMPUTE_PGM_RSRC2:TGID_Y_EN: 0
; COMPUTE_PGM_RSRC2:TGID_Z_EN: 0
; COMPUTE_PGM_RSRC2:TIDIG_COMP_CNT: 0
	.section	.text._ZN9rocsparseL20bsrxmvn_17_32_kernelILj30EfliaafEEvT2_20rocsparse_direction_NS_24const_host_device_scalarIT0_EES1_PKS1_PKT1_SA_S7_PKT3_PKT4_S5_PT5_21rocsparse_index_base_b,"axG",@progbits,_ZN9rocsparseL20bsrxmvn_17_32_kernelILj30EfliaafEEvT2_20rocsparse_direction_NS_24const_host_device_scalarIT0_EES1_PKS1_PKT1_SA_S7_PKT3_PKT4_S5_PT5_21rocsparse_index_base_b,comdat
	.globl	_ZN9rocsparseL20bsrxmvn_17_32_kernelILj30EfliaafEEvT2_20rocsparse_direction_NS_24const_host_device_scalarIT0_EES1_PKS1_PKT1_SA_S7_PKT3_PKT4_S5_PT5_21rocsparse_index_base_b ; -- Begin function _ZN9rocsparseL20bsrxmvn_17_32_kernelILj30EfliaafEEvT2_20rocsparse_direction_NS_24const_host_device_scalarIT0_EES1_PKS1_PKT1_SA_S7_PKT3_PKT4_S5_PT5_21rocsparse_index_base_b
	.p2align	8
	.type	_ZN9rocsparseL20bsrxmvn_17_32_kernelILj30EfliaafEEvT2_20rocsparse_direction_NS_24const_host_device_scalarIT0_EES1_PKS1_PKT1_SA_S7_PKT3_PKT4_S5_PT5_21rocsparse_index_base_b,@function
_ZN9rocsparseL20bsrxmvn_17_32_kernelILj30EfliaafEEvT2_20rocsparse_direction_NS_24const_host_device_scalarIT0_EES1_PKS1_PKT1_SA_S7_PKT3_PKT4_S5_PT5_21rocsparse_index_base_b: ; @_ZN9rocsparseL20bsrxmvn_17_32_kernelILj30EfliaafEEvT2_20rocsparse_direction_NS_24const_host_device_scalarIT0_EES1_PKS1_PKT1_SA_S7_PKT3_PKT4_S5_PT5_21rocsparse_index_base_b
; %bb.0:
	s_mov_b32 s10, s15
	s_clause 0x2
	s_load_b64 s[14:15], s[0:1], 0x58
	s_load_b64 s[12:13], s[0:1], 0x8
	;; [unrolled: 1-line block ×3, first 2 shown]
	s_waitcnt lgkmcnt(0)
	s_bitcmp1_b32 s15, 0
	s_cselect_b32 s2, -1, 0
	s_delay_alu instid0(SALU_CYCLE_1)
	s_and_b32 vcc_lo, exec_lo, s2
	s_xor_b32 s2, s2, -1
	s_cbranch_vccnz .LBB269_2
; %bb.1:
	s_load_b32 s12, s[12:13], 0x0
.LBB269_2:
	s_and_not1_b32 vcc_lo, exec_lo, s2
	s_cbranch_vccnz .LBB269_4
; %bb.3:
	s_load_b32 s8, s[8:9], 0x0
.LBB269_4:
	s_waitcnt lgkmcnt(0)
	v_cmp_neq_f32_e64 s2, s12, 0
	v_cmp_neq_f32_e64 s3, s8, 1.0
	s_delay_alu instid0(VALU_DEP_1) | instskip(NEXT) | instid1(SALU_CYCLE_1)
	s_or_b32 s2, s2, s3
	s_and_not1_b32 vcc_lo, exec_lo, s2
	s_cbranch_vccnz .LBB269_42
; %bb.5:
	s_clause 0x1
	s_load_b128 s[4:7], s[0:1], 0x18
	s_load_b64 s[16:17], s[0:1], 0x28
	s_waitcnt lgkmcnt(0)
	s_cmp_eq_u64 s[4:5], 0
	s_cbranch_scc1 .LBB269_7
; %bb.6:
	s_ashr_i32 s11, s10, 31
	s_delay_alu instid0(SALU_CYCLE_1) | instskip(NEXT) | instid1(SALU_CYCLE_1)
	s_lshl_b64 s[2:3], s[10:11], 2
	s_add_u32 s2, s4, s2
	s_addc_u32 s3, s5, s3
	s_load_b32 s2, s[2:3], 0x0
	s_waitcnt lgkmcnt(0)
	s_sub_i32 s10, s2, s14
.LBB269_7:
	s_load_b32 s3, s[0:1], 0x4
	v_mul_u32_u24_e32 v1, 0x889, v0
	v_mov_b32_e32 v6, 0
	s_delay_alu instid0(VALU_DEP_2) | instskip(NEXT) | instid1(VALU_DEP_1)
	v_lshrrev_b32_e32 v1, 16, v1
	v_mul_lo_u16 v2, v1, 30
	s_delay_alu instid0(VALU_DEP_1)
	v_sub_nc_u16 v7, v0, v2
	s_waitcnt lgkmcnt(0)
	s_cmp_eq_u32 s3, 1
	s_cselect_b32 s2, -1, 0
	s_cmp_lg_u32 s3, 1
	s_cselect_b32 s3, -1, 0
	s_ashr_i32 s11, s10, 31
	s_delay_alu instid0(SALU_CYCLE_1) | instskip(NEXT) | instid1(SALU_CYCLE_1)
	s_lshl_b64 s[4:5], s[10:11], 3
	s_add_u32 s6, s6, s4
	s_addc_u32 s7, s7, s5
	s_add_u32 s9, s6, 8
	s_addc_u32 s11, s7, 0
	;; [unrolled: 2-line block ×3, first 2 shown]
	s_cmp_eq_u64 s[16:17], 0
	s_cselect_b32 s5, s11, s5
	s_cselect_b32 s4, s9, s4
	s_load_b64 s[18:19], s[6:7], 0x0
	s_load_b64 s[6:7], s[4:5], 0x0
	;; [unrolled: 1-line block ×3, first 2 shown]
	s_waitcnt lgkmcnt(0)
	v_cmp_ge_i64_e64 s9, s[18:19], s[6:7]
	s_delay_alu instid0(VALU_DEP_1)
	s_and_b32 vcc_lo, exec_lo, s9
	s_cbranch_vccnz .LBB269_12
; %bb.8:
	v_dual_mov_b32 v6, 0 :: v_dual_and_b32 v1, 0xffff, v1
	v_cmp_lt_u32_e32 vcc_lo, 0x383, v0
	s_clause 0x1
	s_load_b128 s[20:23], s[0:1], 0x30
	s_load_b64 s[0:1], s[0:1], 0x40
	v_subrev_nc_u32_e32 v3, 30, v1
	s_sub_u32 s6, s6, s14
	v_cndmask_b32_e64 v8, 0, 1, vcc_lo
	v_cmp_gt_u32_e32 vcc_lo, 0x384, v0
	v_and_b32_e32 v2, 0xffff, v7
	s_subb_u32 s7, s7, 0
	s_sub_u32 s16, s18, s14
	s_subb_u32 s17, s19, 0
	v_cndmask_b32_e32 v1, v3, v1, vcc_lo
	s_mul_i32 s9, s17, 0x384
	s_mul_i32 s11, s16, 0x384
	s_delay_alu instid0(VALU_DEP_1) | instskip(SKIP_1) | instid1(VALU_DEP_1)
	v_cndmask_b32_e64 v1, v2, v1, s2
	v_add_co_u32 v2, s2, s18, v8
	v_add_co_ci_u32_e64 v3, null, s19, 0, s2
	s_mul_hi_u32 s2, s16, 0x384
	s_delay_alu instid0(VALU_DEP_2) | instskip(NEXT) | instid1(VALU_DEP_2)
	v_sub_co_u32 v2, vcc_lo, v2, s14
	v_subrev_co_ci_u32_e32 v3, vcc_lo, 0, v3, vcc_lo
	s_add_i32 s2, s2, s9
	s_waitcnt lgkmcnt(0)
	s_add_u32 s9, s22, s11
	s_addc_u32 s2, s23, s2
	v_lshlrev_b64 v[4:5], 2, v[2:3]
	v_add_co_u32 v2, s9, s9, v0
	s_delay_alu instid0(VALU_DEP_1) | instskip(NEXT) | instid1(VALU_DEP_3)
	v_add_co_ci_u32_e64 v3, null, s2, 0, s9
	v_add_co_u32 v4, vcc_lo, s20, v4
	s_delay_alu instid0(VALU_DEP_4)
	v_add_co_ci_u32_e32 v5, vcc_lo, s21, v5, vcc_lo
	s_set_inst_prefetch_distance 0x1
	s_branch .LBB269_10
	.p2align	6
.LBB269_9:                              ;   in Loop: Header=BB269_10 Depth=1
	s_or_b32 exec_lo, exec_lo, s2
	s_add_u32 s16, s16, 1
	s_addc_u32 s17, s17, 0
	v_add_co_u32 v4, vcc_lo, v4, 4
	v_cmp_lt_i64_e64 s2, s[16:17], s[6:7]
	v_add_co_ci_u32_e32 v5, vcc_lo, 0, v5, vcc_lo
	s_delay_alu instid0(VALU_DEP_2)
	s_and_b32 vcc_lo, exec_lo, s2
	s_cbranch_vccz .LBB269_12
.LBB269_10:                             ; =>This Inner Loop Header: Depth=1
	v_add_co_u32 v9, s2, v8, s16
	s_delay_alu instid0(VALU_DEP_1) | instskip(SKIP_1) | instid1(VALU_DEP_1)
	v_add_co_ci_u32_e64 v10, null, 0, s17, s2
	s_mov_b32 s2, exec_lo
	v_cmpx_gt_i64_e64 s[6:7], v[9:10]
	s_cbranch_execz .LBB269_9
; %bb.11:                               ;   in Loop: Header=BB269_10 Depth=1
	global_load_b32 v9, v[4:5], off
	s_waitcnt vmcnt(0)
	v_subrev_nc_u32_e32 v11, s14, v9
	s_delay_alu instid0(VALU_DEP_1) | instskip(NEXT) | instid1(VALU_DEP_1)
	v_mad_u64_u32 v[9:10], null, v11, 30, v[1:2]
	v_ashrrev_i32_e32 v10, 31, v9
	v_add_co_u32 v9, vcc_lo, s0, v9
	s_delay_alu instid0(VALU_DEP_2)
	v_add_co_ci_u32_e32 v10, vcc_lo, s1, v10, vcc_lo
	global_load_i8 v11, v[2:3], off
	global_load_i8 v9, v[9:10], off
	v_add_co_u32 v2, vcc_lo, 0x384, v2
	v_add_co_ci_u32_e32 v3, vcc_lo, 0, v3, vcc_lo
	s_waitcnt vmcnt(1)
	v_cvt_f32_i32_e32 v10, v11
	s_waitcnt vmcnt(0)
	v_cvt_f32_i32_e32 v9, v9
	s_delay_alu instid0(VALU_DEP_1)
	v_fmac_f32_e32 v6, v10, v9
	s_branch .LBB269_9
.LBB269_12:
	s_set_inst_prefetch_distance 0x2
	v_lshlrev_b32_e32 v1, 2, v0
	s_and_b32 vcc_lo, exec_lo, s3
	ds_store_b32 v1, v6
	s_waitcnt lgkmcnt(0)
	s_barrier
	buffer_gl0_inv
	s_cbranch_vccz .LBB269_24
; %bb.13:
	s_mov_b32 s0, exec_lo
	v_cmpx_gt_u16_e32 14, v7
	s_cbranch_execz .LBB269_15
; %bb.14:
	ds_load_2addr_b32 v[2:3], v1 offset1:16
	s_waitcnt lgkmcnt(0)
	v_add_f32_e32 v2, v3, v2
	ds_store_b32 v1, v2
.LBB269_15:
	s_or_b32 exec_lo, exec_lo, s0
	s_delay_alu instid0(SALU_CYCLE_1)
	s_mov_b32 s0, exec_lo
	s_waitcnt lgkmcnt(0)
	s_barrier
	buffer_gl0_inv
	v_cmpx_gt_u16_e32 8, v7
	s_cbranch_execz .LBB269_17
; %bb.16:
	ds_load_2addr_b32 v[2:3], v1 offset1:8
	s_waitcnt lgkmcnt(0)
	v_add_f32_e32 v2, v3, v2
	ds_store_b32 v1, v2
.LBB269_17:
	s_or_b32 exec_lo, exec_lo, s0
	s_delay_alu instid0(SALU_CYCLE_1)
	s_mov_b32 s0, exec_lo
	s_waitcnt lgkmcnt(0)
	s_barrier
	buffer_gl0_inv
	;; [unrolled: 14-line block ×3, first 2 shown]
	v_cmpx_gt_u16_e32 2, v7
	s_cbranch_execz .LBB269_21
; %bb.20:
	ds_load_2addr_b32 v[2:3], v1 offset1:2
	s_waitcnt lgkmcnt(0)
	v_add_f32_e32 v2, v3, v2
	ds_store_b32 v1, v2
.LBB269_21:
	s_or_b32 exec_lo, exec_lo, s0
	s_mov_b32 s1, 0
	s_mov_b32 s0, 0
	s_mov_b32 s2, exec_lo
	s_waitcnt lgkmcnt(0)
	s_barrier
	buffer_gl0_inv
                                        ; implicit-def: $vgpr2
                                        ; implicit-def: $vgpr3
	v_cmpx_gt_u32_e32 30, v0
	s_xor_b32 s2, exec_lo, s2
; %bb.22:
	v_mul_u32_u24_e32 v2, 30, v0
	v_mad_u32_u24 v3, 0x74, v0, v1
	s_mov_b32 s0, exec_lo
	s_delay_alu instid0(VALU_DEP_2)
	v_or_b32_e32 v2, 1, v2
; %bb.23:
	s_or_b32 exec_lo, exec_lo, s2
	s_delay_alu instid0(SALU_CYCLE_1)
	s_and_b32 vcc_lo, exec_lo, s1
	s_cbranch_vccnz .LBB269_25
	s_branch .LBB269_36
.LBB269_24:
	s_mov_b32 s0, 0
                                        ; implicit-def: $vgpr2
                                        ; implicit-def: $vgpr3
	s_cbranch_execz .LBB269_36
.LBB269_25:
	s_mov_b32 s1, exec_lo
	v_cmpx_gt_u32_e32 0x1a4, v0
	s_cbranch_execz .LBB269_27
; %bb.26:
	ds_load_b32 v2, v1 offset:1920
	ds_load_b32 v3, v1
	s_waitcnt lgkmcnt(0)
	v_add_f32_e32 v2, v2, v3
	ds_store_b32 v1, v2
.LBB269_27:
	s_or_b32 exec_lo, exec_lo, s1
	s_delay_alu instid0(SALU_CYCLE_1)
	s_mov_b32 s1, exec_lo
	s_waitcnt lgkmcnt(0)
	s_barrier
	buffer_gl0_inv
	v_cmpx_gt_u32_e32 0xf0, v0
	s_cbranch_execz .LBB269_29
; %bb.28:
	ds_load_2addr_b32 v[2:3], v1 offset1:240
	s_waitcnt lgkmcnt(0)
	v_add_f32_e32 v2, v3, v2
	ds_store_b32 v1, v2
.LBB269_29:
	s_or_b32 exec_lo, exec_lo, s1
	s_delay_alu instid0(SALU_CYCLE_1)
	s_mov_b32 s1, exec_lo
	s_waitcnt lgkmcnt(0)
	s_barrier
	buffer_gl0_inv
	v_cmpx_gt_u32_e32 0x78, v0
	s_cbranch_execz .LBB269_31
; %bb.30:
	ds_load_2addr_b32 v[2:3], v1 offset1:120
	s_waitcnt lgkmcnt(0)
	v_add_f32_e32 v2, v3, v2
	ds_store_b32 v1, v2
.LBB269_31:
	;; [unrolled: 14-line block ×3, first 2 shown]
	s_or_b32 exec_lo, exec_lo, s1
	s_delay_alu instid0(SALU_CYCLE_1)
	s_mov_b32 s1, exec_lo
	s_waitcnt lgkmcnt(0)
	buffer_gl0_inv
                                        ; implicit-def: $vgpr2
	v_cmpx_gt_u32_e32 30, v0
; %bb.34:
	v_add_nc_u32_e32 v2, 30, v0
	s_or_b32 s0, s0, exec_lo
                                        ; implicit-def: $vgpr6
; %bb.35:
	s_or_b32 exec_lo, exec_lo, s1
	v_mov_b32_e32 v3, v1
.LBB269_36:
	s_and_saveexec_b32 s1, s0
	s_cbranch_execz .LBB269_38
; %bb.37:
	v_lshlrev_b32_e32 v1, 2, v2
	ds_load_b32 v2, v3
	ds_load_b32 v1, v1
	s_waitcnt lgkmcnt(0)
	v_add_f32_e32 v6, v2, v1
.LBB269_38:
	s_or_b32 exec_lo, exec_lo, s1
	s_delay_alu instid0(SALU_CYCLE_1)
	s_mov_b32 s0, exec_lo
	v_cmpx_gt_u32_e32 30, v0
	s_cbranch_execz .LBB269_42
; %bb.39:
	v_cmp_eq_f32_e64 s0, s8, 0
	v_mul_f32_e32 v1, s12, v6
	s_delay_alu instid0(VALU_DEP_2)
	s_and_b32 vcc_lo, exec_lo, s0
	s_mov_b32 s0, 0
	s_cbranch_vccz .LBB269_43
; %bb.40:
	s_delay_alu instid0(VALU_DEP_1) | instskip(SKIP_1) | instid1(VALU_DEP_1)
	v_mad_u64_u32 v[2:3], null, s10, 30, v[0:1]
	v_mov_b32_e32 v3, 0
	v_lshlrev_b64 v[2:3], 2, v[2:3]
	s_delay_alu instid0(VALU_DEP_1) | instskip(NEXT) | instid1(VALU_DEP_2)
	v_add_co_u32 v2, vcc_lo, s4, v2
	v_add_co_ci_u32_e32 v3, vcc_lo, s5, v3, vcc_lo
	global_store_b32 v[2:3], v1, off
	s_and_not1_b32 vcc_lo, exec_lo, s0
	s_cbranch_vccnz .LBB269_42
.LBB269_41:
	v_mad_u64_u32 v[2:3], null, s10, 30, v[0:1]
	v_mov_b32_e32 v3, 0
	s_delay_alu instid0(VALU_DEP_1) | instskip(NEXT) | instid1(VALU_DEP_1)
	v_lshlrev_b64 v[2:3], 2, v[2:3]
	v_add_co_u32 v2, vcc_lo, s4, v2
	s_delay_alu instid0(VALU_DEP_2)
	v_add_co_ci_u32_e32 v3, vcc_lo, s5, v3, vcc_lo
	global_load_b32 v0, v[2:3], off
	s_waitcnt vmcnt(0)
	v_fmac_f32_e32 v1, s8, v0
	global_store_b32 v[2:3], v1, off
.LBB269_42:
	s_nop 0
	s_sendmsg sendmsg(MSG_DEALLOC_VGPRS)
	s_endpgm
.LBB269_43:
	s_branch .LBB269_41
	.section	.rodata,"a",@progbits
	.p2align	6, 0x0
	.amdhsa_kernel _ZN9rocsparseL20bsrxmvn_17_32_kernelILj30EfliaafEEvT2_20rocsparse_direction_NS_24const_host_device_scalarIT0_EES1_PKS1_PKT1_SA_S7_PKT3_PKT4_S5_PT5_21rocsparse_index_base_b
		.amdhsa_group_segment_fixed_size 3600
		.amdhsa_private_segment_fixed_size 0
		.amdhsa_kernarg_size 96
		.amdhsa_user_sgpr_count 15
		.amdhsa_user_sgpr_dispatch_ptr 0
		.amdhsa_user_sgpr_queue_ptr 0
		.amdhsa_user_sgpr_kernarg_segment_ptr 1
		.amdhsa_user_sgpr_dispatch_id 0
		.amdhsa_user_sgpr_private_segment_size 0
		.amdhsa_wavefront_size32 1
		.amdhsa_uses_dynamic_stack 0
		.amdhsa_enable_private_segment 0
		.amdhsa_system_sgpr_workgroup_id_x 1
		.amdhsa_system_sgpr_workgroup_id_y 0
		.amdhsa_system_sgpr_workgroup_id_z 0
		.amdhsa_system_sgpr_workgroup_info 0
		.amdhsa_system_vgpr_workitem_id 0
		.amdhsa_next_free_vgpr 12
		.amdhsa_next_free_sgpr 24
		.amdhsa_reserve_vcc 1
		.amdhsa_float_round_mode_32 0
		.amdhsa_float_round_mode_16_64 0
		.amdhsa_float_denorm_mode_32 3
		.amdhsa_float_denorm_mode_16_64 3
		.amdhsa_dx10_clamp 1
		.amdhsa_ieee_mode 1
		.amdhsa_fp16_overflow 0
		.amdhsa_workgroup_processor_mode 1
		.amdhsa_memory_ordered 1
		.amdhsa_forward_progress 0
		.amdhsa_shared_vgpr_count 0
		.amdhsa_exception_fp_ieee_invalid_op 0
		.amdhsa_exception_fp_denorm_src 0
		.amdhsa_exception_fp_ieee_div_zero 0
		.amdhsa_exception_fp_ieee_overflow 0
		.amdhsa_exception_fp_ieee_underflow 0
		.amdhsa_exception_fp_ieee_inexact 0
		.amdhsa_exception_int_div_zero 0
	.end_amdhsa_kernel
	.section	.text._ZN9rocsparseL20bsrxmvn_17_32_kernelILj30EfliaafEEvT2_20rocsparse_direction_NS_24const_host_device_scalarIT0_EES1_PKS1_PKT1_SA_S7_PKT3_PKT4_S5_PT5_21rocsparse_index_base_b,"axG",@progbits,_ZN9rocsparseL20bsrxmvn_17_32_kernelILj30EfliaafEEvT2_20rocsparse_direction_NS_24const_host_device_scalarIT0_EES1_PKS1_PKT1_SA_S7_PKT3_PKT4_S5_PT5_21rocsparse_index_base_b,comdat
.Lfunc_end269:
	.size	_ZN9rocsparseL20bsrxmvn_17_32_kernelILj30EfliaafEEvT2_20rocsparse_direction_NS_24const_host_device_scalarIT0_EES1_PKS1_PKT1_SA_S7_PKT3_PKT4_S5_PT5_21rocsparse_index_base_b, .Lfunc_end269-_ZN9rocsparseL20bsrxmvn_17_32_kernelILj30EfliaafEEvT2_20rocsparse_direction_NS_24const_host_device_scalarIT0_EES1_PKS1_PKT1_SA_S7_PKT3_PKT4_S5_PT5_21rocsparse_index_base_b
                                        ; -- End function
	.section	.AMDGPU.csdata,"",@progbits
; Kernel info:
; codeLenInByte = 1616
; NumSgprs: 26
; NumVgprs: 12
; ScratchSize: 0
; MemoryBound: 0
; FloatMode: 240
; IeeeMode: 1
; LDSByteSize: 3600 bytes/workgroup (compile time only)
; SGPRBlocks: 3
; VGPRBlocks: 1
; NumSGPRsForWavesPerEU: 26
; NumVGPRsForWavesPerEU: 12
; Occupancy: 15
; WaveLimiterHint : 1
; COMPUTE_PGM_RSRC2:SCRATCH_EN: 0
; COMPUTE_PGM_RSRC2:USER_SGPR: 15
; COMPUTE_PGM_RSRC2:TRAP_HANDLER: 0
; COMPUTE_PGM_RSRC2:TGID_X_EN: 1
; COMPUTE_PGM_RSRC2:TGID_Y_EN: 0
; COMPUTE_PGM_RSRC2:TGID_Z_EN: 0
; COMPUTE_PGM_RSRC2:TIDIG_COMP_CNT: 0
	.section	.text._ZN9rocsparseL20bsrxmvn_17_32_kernelILj31EfliaafEEvT2_20rocsparse_direction_NS_24const_host_device_scalarIT0_EES1_PKS1_PKT1_SA_S7_PKT3_PKT4_S5_PT5_21rocsparse_index_base_b,"axG",@progbits,_ZN9rocsparseL20bsrxmvn_17_32_kernelILj31EfliaafEEvT2_20rocsparse_direction_NS_24const_host_device_scalarIT0_EES1_PKS1_PKT1_SA_S7_PKT3_PKT4_S5_PT5_21rocsparse_index_base_b,comdat
	.globl	_ZN9rocsparseL20bsrxmvn_17_32_kernelILj31EfliaafEEvT2_20rocsparse_direction_NS_24const_host_device_scalarIT0_EES1_PKS1_PKT1_SA_S7_PKT3_PKT4_S5_PT5_21rocsparse_index_base_b ; -- Begin function _ZN9rocsparseL20bsrxmvn_17_32_kernelILj31EfliaafEEvT2_20rocsparse_direction_NS_24const_host_device_scalarIT0_EES1_PKS1_PKT1_SA_S7_PKT3_PKT4_S5_PT5_21rocsparse_index_base_b
	.p2align	8
	.type	_ZN9rocsparseL20bsrxmvn_17_32_kernelILj31EfliaafEEvT2_20rocsparse_direction_NS_24const_host_device_scalarIT0_EES1_PKS1_PKT1_SA_S7_PKT3_PKT4_S5_PT5_21rocsparse_index_base_b,@function
_ZN9rocsparseL20bsrxmvn_17_32_kernelILj31EfliaafEEvT2_20rocsparse_direction_NS_24const_host_device_scalarIT0_EES1_PKS1_PKT1_SA_S7_PKT3_PKT4_S5_PT5_21rocsparse_index_base_b: ; @_ZN9rocsparseL20bsrxmvn_17_32_kernelILj31EfliaafEEvT2_20rocsparse_direction_NS_24const_host_device_scalarIT0_EES1_PKS1_PKT1_SA_S7_PKT3_PKT4_S5_PT5_21rocsparse_index_base_b
; %bb.0:
	s_mov_b32 s10, s15
	s_clause 0x2
	s_load_b64 s[14:15], s[0:1], 0x58
	s_load_b64 s[12:13], s[0:1], 0x8
	s_load_b64 s[8:9], s[0:1], 0x48
	s_waitcnt lgkmcnt(0)
	s_bitcmp1_b32 s15, 0
	s_cselect_b32 s2, -1, 0
	s_delay_alu instid0(SALU_CYCLE_1)
	s_and_b32 vcc_lo, exec_lo, s2
	s_xor_b32 s2, s2, -1
	s_cbranch_vccnz .LBB270_2
; %bb.1:
	s_load_b32 s12, s[12:13], 0x0
.LBB270_2:
	s_and_not1_b32 vcc_lo, exec_lo, s2
	s_cbranch_vccnz .LBB270_4
; %bb.3:
	s_load_b32 s8, s[8:9], 0x0
.LBB270_4:
	s_waitcnt lgkmcnt(0)
	v_cmp_neq_f32_e64 s2, s12, 0
	v_cmp_neq_f32_e64 s3, s8, 1.0
	s_delay_alu instid0(VALU_DEP_1) | instskip(NEXT) | instid1(SALU_CYCLE_1)
	s_or_b32 s2, s2, s3
	s_and_not1_b32 vcc_lo, exec_lo, s2
	s_cbranch_vccnz .LBB270_42
; %bb.5:
	s_clause 0x1
	s_load_b128 s[4:7], s[0:1], 0x18
	s_load_b64 s[16:17], s[0:1], 0x28
	s_waitcnt lgkmcnt(0)
	s_cmp_eq_u64 s[4:5], 0
	s_cbranch_scc1 .LBB270_7
; %bb.6:
	s_ashr_i32 s11, s10, 31
	s_delay_alu instid0(SALU_CYCLE_1) | instskip(NEXT) | instid1(SALU_CYCLE_1)
	s_lshl_b64 s[2:3], s[10:11], 2
	s_add_u32 s2, s4, s2
	s_addc_u32 s3, s5, s3
	s_load_b32 s2, s[2:3], 0x0
	s_waitcnt lgkmcnt(0)
	s_sub_i32 s10, s2, s14
.LBB270_7:
	s_load_b32 s3, s[0:1], 0x4
	v_mul_u32_u24_e32 v1, 0x843, v0
	v_mov_b32_e32 v6, 0
	s_delay_alu instid0(VALU_DEP_2) | instskip(NEXT) | instid1(VALU_DEP_1)
	v_lshrrev_b32_e32 v1, 16, v1
	v_mul_lo_u16 v2, v1, 31
	s_delay_alu instid0(VALU_DEP_1)
	v_sub_nc_u16 v7, v0, v2
	s_waitcnt lgkmcnt(0)
	s_cmp_eq_u32 s3, 1
	s_cselect_b32 s2, -1, 0
	s_cmp_lg_u32 s3, 1
	s_cselect_b32 s3, -1, 0
	s_ashr_i32 s11, s10, 31
	s_delay_alu instid0(SALU_CYCLE_1) | instskip(NEXT) | instid1(SALU_CYCLE_1)
	s_lshl_b64 s[4:5], s[10:11], 3
	s_add_u32 s6, s6, s4
	s_addc_u32 s7, s7, s5
	s_add_u32 s9, s6, 8
	s_addc_u32 s11, s7, 0
	;; [unrolled: 2-line block ×3, first 2 shown]
	s_cmp_eq_u64 s[16:17], 0
	s_cselect_b32 s5, s11, s5
	s_cselect_b32 s4, s9, s4
	s_load_b64 s[18:19], s[6:7], 0x0
	s_load_b64 s[6:7], s[4:5], 0x0
	;; [unrolled: 1-line block ×3, first 2 shown]
	s_waitcnt lgkmcnt(0)
	v_cmp_ge_i64_e64 s9, s[18:19], s[6:7]
	s_delay_alu instid0(VALU_DEP_1)
	s_and_b32 vcc_lo, exec_lo, s9
	s_cbranch_vccnz .LBB270_12
; %bb.8:
	v_dual_mov_b32 v6, 0 :: v_dual_and_b32 v1, 0xffff, v1
	v_cmp_lt_u32_e32 vcc_lo, 0x3c0, v0
	s_clause 0x1
	s_load_b128 s[20:23], s[0:1], 0x30
	s_load_b64 s[0:1], s[0:1], 0x40
	v_subrev_nc_u32_e32 v3, 31, v1
	s_sub_u32 s6, s6, s14
	v_cndmask_b32_e64 v8, 0, 1, vcc_lo
	v_cmp_gt_u32_e32 vcc_lo, 0x3c1, v0
	v_and_b32_e32 v2, 0xffff, v7
	s_subb_u32 s7, s7, 0
	s_sub_u32 s16, s18, s14
	s_subb_u32 s17, s19, 0
	v_cndmask_b32_e32 v1, v3, v1, vcc_lo
	s_mul_i32 s9, s17, 0x3c1
	s_mul_i32 s11, s16, 0x3c1
	s_delay_alu instid0(VALU_DEP_1) | instskip(SKIP_1) | instid1(VALU_DEP_1)
	v_cndmask_b32_e64 v1, v2, v1, s2
	v_add_co_u32 v2, s2, s18, v8
	v_add_co_ci_u32_e64 v3, null, s19, 0, s2
	s_mul_hi_u32 s2, s16, 0x3c1
	s_delay_alu instid0(VALU_DEP_2) | instskip(NEXT) | instid1(VALU_DEP_2)
	v_sub_co_u32 v2, vcc_lo, v2, s14
	v_subrev_co_ci_u32_e32 v3, vcc_lo, 0, v3, vcc_lo
	s_add_i32 s2, s2, s9
	s_waitcnt lgkmcnt(0)
	s_add_u32 s9, s22, s11
	s_addc_u32 s2, s23, s2
	v_lshlrev_b64 v[4:5], 2, v[2:3]
	v_add_co_u32 v2, s9, s9, v0
	s_delay_alu instid0(VALU_DEP_1) | instskip(NEXT) | instid1(VALU_DEP_3)
	v_add_co_ci_u32_e64 v3, null, s2, 0, s9
	v_add_co_u32 v4, vcc_lo, s20, v4
	s_delay_alu instid0(VALU_DEP_4)
	v_add_co_ci_u32_e32 v5, vcc_lo, s21, v5, vcc_lo
	s_set_inst_prefetch_distance 0x1
	s_branch .LBB270_10
	.p2align	6
.LBB270_9:                              ;   in Loop: Header=BB270_10 Depth=1
	s_or_b32 exec_lo, exec_lo, s2
	s_add_u32 s16, s16, 1
	s_addc_u32 s17, s17, 0
	v_add_co_u32 v4, vcc_lo, v4, 4
	v_cmp_lt_i64_e64 s2, s[16:17], s[6:7]
	v_add_co_ci_u32_e32 v5, vcc_lo, 0, v5, vcc_lo
	s_delay_alu instid0(VALU_DEP_2)
	s_and_b32 vcc_lo, exec_lo, s2
	s_cbranch_vccz .LBB270_12
.LBB270_10:                             ; =>This Inner Loop Header: Depth=1
	v_add_co_u32 v9, s2, v8, s16
	s_delay_alu instid0(VALU_DEP_1) | instskip(SKIP_1) | instid1(VALU_DEP_1)
	v_add_co_ci_u32_e64 v10, null, 0, s17, s2
	s_mov_b32 s2, exec_lo
	v_cmpx_gt_i64_e64 s[6:7], v[9:10]
	s_cbranch_execz .LBB270_9
; %bb.11:                               ;   in Loop: Header=BB270_10 Depth=1
	global_load_b32 v9, v[4:5], off
	s_waitcnt vmcnt(0)
	v_subrev_nc_u32_e32 v11, s14, v9
	s_delay_alu instid0(VALU_DEP_1) | instskip(NEXT) | instid1(VALU_DEP_1)
	v_mad_u64_u32 v[9:10], null, v11, 31, v[1:2]
	v_ashrrev_i32_e32 v10, 31, v9
	v_add_co_u32 v9, vcc_lo, s0, v9
	s_delay_alu instid0(VALU_DEP_2)
	v_add_co_ci_u32_e32 v10, vcc_lo, s1, v10, vcc_lo
	global_load_i8 v11, v[2:3], off
	global_load_i8 v9, v[9:10], off
	v_add_co_u32 v2, vcc_lo, 0x3c1, v2
	v_add_co_ci_u32_e32 v3, vcc_lo, 0, v3, vcc_lo
	s_waitcnt vmcnt(1)
	v_cvt_f32_i32_e32 v10, v11
	s_waitcnt vmcnt(0)
	v_cvt_f32_i32_e32 v9, v9
	s_delay_alu instid0(VALU_DEP_1)
	v_fmac_f32_e32 v6, v10, v9
	s_branch .LBB270_9
.LBB270_12:
	s_set_inst_prefetch_distance 0x2
	v_lshlrev_b32_e32 v1, 2, v0
	s_and_b32 vcc_lo, exec_lo, s3
	ds_store_b32 v1, v6
	s_waitcnt lgkmcnt(0)
	s_barrier
	buffer_gl0_inv
	s_cbranch_vccz .LBB270_24
; %bb.13:
	s_mov_b32 s0, exec_lo
	v_cmpx_gt_u16_e32 15, v7
	s_cbranch_execz .LBB270_15
; %bb.14:
	ds_load_2addr_b32 v[2:3], v1 offset1:16
	s_waitcnt lgkmcnt(0)
	v_add_f32_e32 v2, v3, v2
	ds_store_b32 v1, v2
.LBB270_15:
	s_or_b32 exec_lo, exec_lo, s0
	s_delay_alu instid0(SALU_CYCLE_1)
	s_mov_b32 s0, exec_lo
	s_waitcnt lgkmcnt(0)
	s_barrier
	buffer_gl0_inv
	v_cmpx_gt_u16_e32 8, v7
	s_cbranch_execz .LBB270_17
; %bb.16:
	ds_load_2addr_b32 v[2:3], v1 offset1:8
	s_waitcnt lgkmcnt(0)
	v_add_f32_e32 v2, v3, v2
	ds_store_b32 v1, v2
.LBB270_17:
	s_or_b32 exec_lo, exec_lo, s0
	s_delay_alu instid0(SALU_CYCLE_1)
	s_mov_b32 s0, exec_lo
	s_waitcnt lgkmcnt(0)
	s_barrier
	buffer_gl0_inv
	;; [unrolled: 14-line block ×3, first 2 shown]
	v_cmpx_gt_u16_e32 2, v7
	s_cbranch_execz .LBB270_21
; %bb.20:
	ds_load_2addr_b32 v[2:3], v1 offset1:2
	s_waitcnt lgkmcnt(0)
	v_add_f32_e32 v2, v3, v2
	ds_store_b32 v1, v2
.LBB270_21:
	s_or_b32 exec_lo, exec_lo, s0
	s_mov_b32 s1, 0
	s_mov_b32 s0, 0
	s_mov_b32 s2, exec_lo
	s_waitcnt lgkmcnt(0)
	s_barrier
	buffer_gl0_inv
                                        ; implicit-def: $vgpr2
                                        ; implicit-def: $vgpr3
	v_cmpx_gt_u32_e32 31, v0
	s_xor_b32 s2, exec_lo, s2
; %bb.22:
	v_mad_u32_u24 v2, v0, 31, 1
	v_mad_u32_u24 v3, 0x78, v0, v1
	s_mov_b32 s0, exec_lo
; %bb.23:
	s_or_b32 exec_lo, exec_lo, s2
	s_delay_alu instid0(SALU_CYCLE_1)
	s_and_b32 vcc_lo, exec_lo, s1
	s_cbranch_vccnz .LBB270_25
	s_branch .LBB270_36
.LBB270_24:
	s_mov_b32 s0, 0
                                        ; implicit-def: $vgpr2
                                        ; implicit-def: $vgpr3
	s_cbranch_execz .LBB270_36
.LBB270_25:
	s_mov_b32 s1, exec_lo
	v_cmpx_gt_u32_e32 0x1d1, v0
	s_cbranch_execz .LBB270_27
; %bb.26:
	ds_load_b32 v2, v1 offset:1984
	ds_load_b32 v3, v1
	s_waitcnt lgkmcnt(0)
	v_add_f32_e32 v2, v2, v3
	ds_store_b32 v1, v2
.LBB270_27:
	s_or_b32 exec_lo, exec_lo, s1
	s_delay_alu instid0(SALU_CYCLE_1)
	s_mov_b32 s1, exec_lo
	s_waitcnt lgkmcnt(0)
	s_barrier
	buffer_gl0_inv
	v_cmpx_gt_u32_e32 0xf8, v0
	s_cbranch_execz .LBB270_29
; %bb.28:
	ds_load_2addr_b32 v[2:3], v1 offset1:248
	s_waitcnt lgkmcnt(0)
	v_add_f32_e32 v2, v3, v2
	ds_store_b32 v1, v2
.LBB270_29:
	s_or_b32 exec_lo, exec_lo, s1
	s_delay_alu instid0(SALU_CYCLE_1)
	s_mov_b32 s1, exec_lo
	s_waitcnt lgkmcnt(0)
	s_barrier
	buffer_gl0_inv
	v_cmpx_gt_u32_e32 0x7c, v0
	s_cbranch_execz .LBB270_31
; %bb.30:
	ds_load_2addr_b32 v[2:3], v1 offset1:124
	s_waitcnt lgkmcnt(0)
	v_add_f32_e32 v2, v3, v2
	ds_store_b32 v1, v2
.LBB270_31:
	;; [unrolled: 14-line block ×3, first 2 shown]
	s_or_b32 exec_lo, exec_lo, s1
	s_delay_alu instid0(SALU_CYCLE_1)
	s_mov_b32 s1, exec_lo
	s_waitcnt lgkmcnt(0)
	buffer_gl0_inv
                                        ; implicit-def: $vgpr2
	v_cmpx_gt_u32_e32 31, v0
; %bb.34:
	v_add_nc_u32_e32 v2, 31, v0
	s_or_b32 s0, s0, exec_lo
                                        ; implicit-def: $vgpr6
; %bb.35:
	s_or_b32 exec_lo, exec_lo, s1
	v_mov_b32_e32 v3, v1
.LBB270_36:
	s_and_saveexec_b32 s1, s0
	s_cbranch_execz .LBB270_38
; %bb.37:
	v_lshlrev_b32_e32 v1, 2, v2
	ds_load_b32 v2, v3
	ds_load_b32 v1, v1
	s_waitcnt lgkmcnt(0)
	v_add_f32_e32 v6, v2, v1
.LBB270_38:
	s_or_b32 exec_lo, exec_lo, s1
	s_delay_alu instid0(SALU_CYCLE_1)
	s_mov_b32 s0, exec_lo
	v_cmpx_gt_u32_e32 31, v0
	s_cbranch_execz .LBB270_42
; %bb.39:
	v_cmp_eq_f32_e64 s0, s8, 0
	v_mul_f32_e32 v1, s12, v6
	s_delay_alu instid0(VALU_DEP_2)
	s_and_b32 vcc_lo, exec_lo, s0
	s_mov_b32 s0, 0
	s_cbranch_vccz .LBB270_43
; %bb.40:
	s_delay_alu instid0(VALU_DEP_1) | instskip(SKIP_1) | instid1(VALU_DEP_1)
	v_mad_u64_u32 v[2:3], null, s10, 31, v[0:1]
	v_mov_b32_e32 v3, 0
	v_lshlrev_b64 v[2:3], 2, v[2:3]
	s_delay_alu instid0(VALU_DEP_1) | instskip(NEXT) | instid1(VALU_DEP_2)
	v_add_co_u32 v2, vcc_lo, s4, v2
	v_add_co_ci_u32_e32 v3, vcc_lo, s5, v3, vcc_lo
	global_store_b32 v[2:3], v1, off
	s_and_not1_b32 vcc_lo, exec_lo, s0
	s_cbranch_vccnz .LBB270_42
.LBB270_41:
	v_mad_u64_u32 v[2:3], null, s10, 31, v[0:1]
	v_mov_b32_e32 v3, 0
	s_delay_alu instid0(VALU_DEP_1) | instskip(NEXT) | instid1(VALU_DEP_1)
	v_lshlrev_b64 v[2:3], 2, v[2:3]
	v_add_co_u32 v2, vcc_lo, s4, v2
	s_delay_alu instid0(VALU_DEP_2)
	v_add_co_ci_u32_e32 v3, vcc_lo, s5, v3, vcc_lo
	global_load_b32 v0, v[2:3], off
	s_waitcnt vmcnt(0)
	v_fmac_f32_e32 v1, s8, v0
	global_store_b32 v[2:3], v1, off
.LBB270_42:
	s_nop 0
	s_sendmsg sendmsg(MSG_DEALLOC_VGPRS)
	s_endpgm
.LBB270_43:
	s_branch .LBB270_41
	.section	.rodata,"a",@progbits
	.p2align	6, 0x0
	.amdhsa_kernel _ZN9rocsparseL20bsrxmvn_17_32_kernelILj31EfliaafEEvT2_20rocsparse_direction_NS_24const_host_device_scalarIT0_EES1_PKS1_PKT1_SA_S7_PKT3_PKT4_S5_PT5_21rocsparse_index_base_b
		.amdhsa_group_segment_fixed_size 3844
		.amdhsa_private_segment_fixed_size 0
		.amdhsa_kernarg_size 96
		.amdhsa_user_sgpr_count 15
		.amdhsa_user_sgpr_dispatch_ptr 0
		.amdhsa_user_sgpr_queue_ptr 0
		.amdhsa_user_sgpr_kernarg_segment_ptr 1
		.amdhsa_user_sgpr_dispatch_id 0
		.amdhsa_user_sgpr_private_segment_size 0
		.amdhsa_wavefront_size32 1
		.amdhsa_uses_dynamic_stack 0
		.amdhsa_enable_private_segment 0
		.amdhsa_system_sgpr_workgroup_id_x 1
		.amdhsa_system_sgpr_workgroup_id_y 0
		.amdhsa_system_sgpr_workgroup_id_z 0
		.amdhsa_system_sgpr_workgroup_info 0
		.amdhsa_system_vgpr_workitem_id 0
		.amdhsa_next_free_vgpr 12
		.amdhsa_next_free_sgpr 24
		.amdhsa_reserve_vcc 1
		.amdhsa_float_round_mode_32 0
		.amdhsa_float_round_mode_16_64 0
		.amdhsa_float_denorm_mode_32 3
		.amdhsa_float_denorm_mode_16_64 3
		.amdhsa_dx10_clamp 1
		.amdhsa_ieee_mode 1
		.amdhsa_fp16_overflow 0
		.amdhsa_workgroup_processor_mode 1
		.amdhsa_memory_ordered 1
		.amdhsa_forward_progress 0
		.amdhsa_shared_vgpr_count 0
		.amdhsa_exception_fp_ieee_invalid_op 0
		.amdhsa_exception_fp_denorm_src 0
		.amdhsa_exception_fp_ieee_div_zero 0
		.amdhsa_exception_fp_ieee_overflow 0
		.amdhsa_exception_fp_ieee_underflow 0
		.amdhsa_exception_fp_ieee_inexact 0
		.amdhsa_exception_int_div_zero 0
	.end_amdhsa_kernel
	.section	.text._ZN9rocsparseL20bsrxmvn_17_32_kernelILj31EfliaafEEvT2_20rocsparse_direction_NS_24const_host_device_scalarIT0_EES1_PKS1_PKT1_SA_S7_PKT3_PKT4_S5_PT5_21rocsparse_index_base_b,"axG",@progbits,_ZN9rocsparseL20bsrxmvn_17_32_kernelILj31EfliaafEEvT2_20rocsparse_direction_NS_24const_host_device_scalarIT0_EES1_PKS1_PKT1_SA_S7_PKT3_PKT4_S5_PT5_21rocsparse_index_base_b,comdat
.Lfunc_end270:
	.size	_ZN9rocsparseL20bsrxmvn_17_32_kernelILj31EfliaafEEvT2_20rocsparse_direction_NS_24const_host_device_scalarIT0_EES1_PKS1_PKT1_SA_S7_PKT3_PKT4_S5_PT5_21rocsparse_index_base_b, .Lfunc_end270-_ZN9rocsparseL20bsrxmvn_17_32_kernelILj31EfliaafEEvT2_20rocsparse_direction_NS_24const_host_device_scalarIT0_EES1_PKS1_PKT1_SA_S7_PKT3_PKT4_S5_PT5_21rocsparse_index_base_b
                                        ; -- End function
	.section	.AMDGPU.csdata,"",@progbits
; Kernel info:
; codeLenInByte = 1612
; NumSgprs: 26
; NumVgprs: 12
; ScratchSize: 0
; MemoryBound: 0
; FloatMode: 240
; IeeeMode: 1
; LDSByteSize: 3844 bytes/workgroup (compile time only)
; SGPRBlocks: 3
; VGPRBlocks: 1
; NumSGPRsForWavesPerEU: 26
; NumVGPRsForWavesPerEU: 12
; Occupancy: 16
; WaveLimiterHint : 1
; COMPUTE_PGM_RSRC2:SCRATCH_EN: 0
; COMPUTE_PGM_RSRC2:USER_SGPR: 15
; COMPUTE_PGM_RSRC2:TRAP_HANDLER: 0
; COMPUTE_PGM_RSRC2:TGID_X_EN: 1
; COMPUTE_PGM_RSRC2:TGID_Y_EN: 0
; COMPUTE_PGM_RSRC2:TGID_Z_EN: 0
; COMPUTE_PGM_RSRC2:TIDIG_COMP_CNT: 0
	.section	.text._ZN9rocsparseL20bsrxmvn_17_32_kernelILj32EfliaafEEvT2_20rocsparse_direction_NS_24const_host_device_scalarIT0_EES1_PKS1_PKT1_SA_S7_PKT3_PKT4_S5_PT5_21rocsparse_index_base_b,"axG",@progbits,_ZN9rocsparseL20bsrxmvn_17_32_kernelILj32EfliaafEEvT2_20rocsparse_direction_NS_24const_host_device_scalarIT0_EES1_PKS1_PKT1_SA_S7_PKT3_PKT4_S5_PT5_21rocsparse_index_base_b,comdat
	.globl	_ZN9rocsparseL20bsrxmvn_17_32_kernelILj32EfliaafEEvT2_20rocsparse_direction_NS_24const_host_device_scalarIT0_EES1_PKS1_PKT1_SA_S7_PKT3_PKT4_S5_PT5_21rocsparse_index_base_b ; -- Begin function _ZN9rocsparseL20bsrxmvn_17_32_kernelILj32EfliaafEEvT2_20rocsparse_direction_NS_24const_host_device_scalarIT0_EES1_PKS1_PKT1_SA_S7_PKT3_PKT4_S5_PT5_21rocsparse_index_base_b
	.p2align	8
	.type	_ZN9rocsparseL20bsrxmvn_17_32_kernelILj32EfliaafEEvT2_20rocsparse_direction_NS_24const_host_device_scalarIT0_EES1_PKS1_PKT1_SA_S7_PKT3_PKT4_S5_PT5_21rocsparse_index_base_b,@function
_ZN9rocsparseL20bsrxmvn_17_32_kernelILj32EfliaafEEvT2_20rocsparse_direction_NS_24const_host_device_scalarIT0_EES1_PKS1_PKT1_SA_S7_PKT3_PKT4_S5_PT5_21rocsparse_index_base_b: ; @_ZN9rocsparseL20bsrxmvn_17_32_kernelILj32EfliaafEEvT2_20rocsparse_direction_NS_24const_host_device_scalarIT0_EES1_PKS1_PKT1_SA_S7_PKT3_PKT4_S5_PT5_21rocsparse_index_base_b
; %bb.0:
	s_mov_b32 s10, s15
	s_clause 0x2
	s_load_b64 s[14:15], s[0:1], 0x58
	s_load_b64 s[12:13], s[0:1], 0x8
	;; [unrolled: 1-line block ×3, first 2 shown]
	s_waitcnt lgkmcnt(0)
	s_bitcmp1_b32 s15, 0
	s_cselect_b32 s2, -1, 0
	s_delay_alu instid0(SALU_CYCLE_1)
	s_and_b32 vcc_lo, exec_lo, s2
	s_xor_b32 s2, s2, -1
	s_cbranch_vccnz .LBB271_2
; %bb.1:
	s_load_b32 s12, s[12:13], 0x0
.LBB271_2:
	s_and_not1_b32 vcc_lo, exec_lo, s2
	s_cbranch_vccnz .LBB271_4
; %bb.3:
	s_load_b32 s8, s[8:9], 0x0
.LBB271_4:
	s_waitcnt lgkmcnt(0)
	v_cmp_neq_f32_e64 s2, s12, 0
	v_cmp_neq_f32_e64 s3, s8, 1.0
	s_delay_alu instid0(VALU_DEP_1) | instskip(NEXT) | instid1(SALU_CYCLE_1)
	s_or_b32 s2, s2, s3
	s_and_not1_b32 vcc_lo, exec_lo, s2
	s_cbranch_vccnz .LBB271_40
; %bb.5:
	s_clause 0x1
	s_load_b128 s[4:7], s[0:1], 0x18
	s_load_b64 s[16:17], s[0:1], 0x28
	s_waitcnt lgkmcnt(0)
	s_cmp_eq_u64 s[4:5], 0
	s_cbranch_scc1 .LBB271_7
; %bb.6:
	s_ashr_i32 s11, s10, 31
	s_delay_alu instid0(SALU_CYCLE_1) | instskip(NEXT) | instid1(SALU_CYCLE_1)
	s_lshl_b64 s[2:3], s[10:11], 2
	s_add_u32 s2, s4, s2
	s_addc_u32 s3, s5, s3
	s_load_b32 s2, s[2:3], 0x0
	s_waitcnt lgkmcnt(0)
	s_sub_i32 s10, s2, s14
.LBB271_7:
	s_load_b32 s3, s[0:1], 0x4
	v_dual_mov_b32 v3, 0 :: v_dual_and_b32 v4, 31, v0
	s_waitcnt lgkmcnt(0)
	s_cmp_eq_u32 s3, 1
	s_cselect_b32 s2, -1, 0
	s_cmp_lg_u32 s3, 1
	s_cselect_b32 s9, -1, 0
	s_ashr_i32 s11, s10, 31
	s_delay_alu instid0(SALU_CYCLE_1) | instskip(NEXT) | instid1(SALU_CYCLE_1)
	s_lshl_b64 s[4:5], s[10:11], 3
	s_add_u32 s6, s6, s4
	s_addc_u32 s7, s7, s5
	s_add_u32 s3, s6, 8
	s_addc_u32 s11, s7, 0
	;; [unrolled: 2-line block ×3, first 2 shown]
	s_cmp_eq_u64 s[16:17], 0
	s_cselect_b32 s5, s11, s5
	s_cselect_b32 s4, s3, s4
	s_load_b64 s[18:19], s[6:7], 0x0
	s_load_b64 s[6:7], s[4:5], 0x0
	;; [unrolled: 1-line block ×3, first 2 shown]
	s_waitcnt lgkmcnt(0)
	v_cmp_ge_i64_e64 s3, s[18:19], s[6:7]
	s_delay_alu instid0(VALU_DEP_1)
	s_and_b32 vcc_lo, exec_lo, s3
	s_cbranch_vccnz .LBB271_10
; %bb.8:
	s_clause 0x1
	s_load_b128 s[20:23], s[0:1], 0x30
	s_load_b64 s[0:1], s[0:1], 0x40
	s_sub_u32 s6, s6, s14
	s_subb_u32 s7, s7, 0
	s_sub_u32 s16, s18, s14
	s_subb_u32 s17, s19, 0
	v_lshrrev_b32_e32 v1, 5, v0
	s_lshl_b64 s[24:25], s[16:17], 10
	s_mov_b32 s15, 0
	v_or_b32_e32 v2, s24, v0
	v_mov_b32_e32 v3, s25
	s_lshl_b64 s[18:19], s[18:19], 2
	s_lshl_b64 s[26:27], s[14:15], 2
	v_cndmask_b32_e64 v5, v4, v1, s2
	s_sub_u32 s2, s18, s26
	s_subb_u32 s3, s19, s27
	s_waitcnt lgkmcnt(0)
	v_add_co_u32 v1, vcc_lo, s22, v2
	v_add_co_ci_u32_e32 v2, vcc_lo, s23, v3, vcc_lo
	v_mov_b32_e32 v3, 0
	s_add_u32 s2, s20, s2
	s_addc_u32 s3, s21, s3
	.p2align	6
.LBB271_9:                              ; =>This Inner Loop Header: Depth=1
	s_load_b32 s11, s[2:3], 0x0
	s_waitcnt lgkmcnt(0)
	s_sub_i32 s11, s11, s14
	s_add_u32 s16, s16, 1
	v_lshl_or_b32 v6, s11, 5, v5
	s_addc_u32 s17, s17, 0
	s_add_u32 s2, s2, 4
	v_cmp_lt_i64_e64 s11, s[16:17], s[6:7]
	s_addc_u32 s3, s3, 0
	v_ashrrev_i32_e32 v7, 31, v6
	v_add_co_u32 v6, vcc_lo, s0, v6
	s_delay_alu instid0(VALU_DEP_2)
	v_add_co_ci_u32_e32 v7, vcc_lo, s1, v7, vcc_lo
	global_load_i8 v8, v[1:2], off
	global_load_i8 v6, v[6:7], off
	v_add_co_u32 v1, vcc_lo, 0x400, v1
	v_add_co_ci_u32_e32 v2, vcc_lo, 0, v2, vcc_lo
	s_and_b32 vcc_lo, exec_lo, s11
	s_waitcnt vmcnt(1)
	v_cvt_f32_i32_e32 v7, v8
	s_waitcnt vmcnt(0)
	v_cvt_f32_i32_e32 v6, v6
	s_delay_alu instid0(VALU_DEP_1)
	v_fmac_f32_e32 v3, v7, v6
	s_cbranch_vccnz .LBB271_9
.LBB271_10:
	v_lshlrev_b32_e32 v1, 2, v0
	s_and_b32 vcc_lo, exec_lo, s9
	ds_store_b32 v1, v3
	s_waitcnt lgkmcnt(0)
	s_barrier
	buffer_gl0_inv
	s_cbranch_vccz .LBB271_22
; %bb.11:
	s_mov_b32 s0, exec_lo
	v_cmpx_gt_u32_e32 16, v4
	s_cbranch_execz .LBB271_13
; %bb.12:
	ds_load_2addr_b32 v[5:6], v1 offset1:16
	s_waitcnt lgkmcnt(0)
	v_add_f32_e32 v2, v6, v5
	ds_store_b32 v1, v2
.LBB271_13:
	s_or_b32 exec_lo, exec_lo, s0
	s_delay_alu instid0(SALU_CYCLE_1)
	s_mov_b32 s0, exec_lo
	s_waitcnt lgkmcnt(0)
	s_barrier
	buffer_gl0_inv
	v_cmpx_gt_u32_e32 8, v4
	s_cbranch_execz .LBB271_15
; %bb.14:
	ds_load_2addr_b32 v[5:6], v1 offset1:8
	s_waitcnt lgkmcnt(0)
	v_add_f32_e32 v2, v6, v5
	ds_store_b32 v1, v2
.LBB271_15:
	s_or_b32 exec_lo, exec_lo, s0
	s_delay_alu instid0(SALU_CYCLE_1)
	s_mov_b32 s0, exec_lo
	s_waitcnt lgkmcnt(0)
	s_barrier
	buffer_gl0_inv
	;; [unrolled: 14-line block ×3, first 2 shown]
	v_cmpx_gt_u32_e32 2, v4
	s_cbranch_execz .LBB271_19
; %bb.18:
	ds_load_2addr_b32 v[4:5], v1 offset1:2
	s_waitcnt lgkmcnt(0)
	v_add_f32_e32 v2, v5, v4
	ds_store_b32 v1, v2
.LBB271_19:
	s_or_b32 exec_lo, exec_lo, s0
	s_mov_b32 s1, 0
	s_mov_b32 s0, 0
	s_mov_b32 s2, exec_lo
	s_waitcnt lgkmcnt(0)
	s_barrier
	buffer_gl0_inv
                                        ; implicit-def: $vgpr2
                                        ; implicit-def: $vgpr4
	v_cmpx_gt_u32_e32 32, v0
	s_xor_b32 s2, exec_lo, s2
; %bb.20:
	v_lshl_or_b32 v2, v0, 5, 1
	v_mad_u32_u24 v4, 0x7c, v0, v1
	s_mov_b32 s0, exec_lo
; %bb.21:
	s_or_b32 exec_lo, exec_lo, s2
	s_delay_alu instid0(SALU_CYCLE_1)
	s_and_b32 vcc_lo, exec_lo, s1
	s_cbranch_vccnz .LBB271_23
	s_branch .LBB271_34
.LBB271_22:
	s_mov_b32 s0, 0
                                        ; implicit-def: $vgpr2
                                        ; implicit-def: $vgpr4
	s_cbranch_execz .LBB271_34
.LBB271_23:
	s_mov_b32 s1, exec_lo
	v_cmpx_gt_u32_e32 0x200, v0
	s_cbranch_execz .LBB271_25
; %bb.24:
	ds_load_2addr_stride64_b32 v[4:5], v1 offset1:8
	s_waitcnt lgkmcnt(0)
	v_add_f32_e32 v2, v5, v4
	ds_store_b32 v1, v2
.LBB271_25:
	s_or_b32 exec_lo, exec_lo, s1
	s_delay_alu instid0(SALU_CYCLE_1)
	s_mov_b32 s1, exec_lo
	s_waitcnt lgkmcnt(0)
	s_barrier
	buffer_gl0_inv
	v_cmpx_gt_u32_e32 0x100, v0
	s_cbranch_execz .LBB271_27
; %bb.26:
	ds_load_2addr_stride64_b32 v[4:5], v1 offset1:4
	s_waitcnt lgkmcnt(0)
	v_add_f32_e32 v2, v5, v4
	ds_store_b32 v1, v2
.LBB271_27:
	s_or_b32 exec_lo, exec_lo, s1
	s_delay_alu instid0(SALU_CYCLE_1)
	s_mov_b32 s1, exec_lo
	s_waitcnt lgkmcnt(0)
	s_barrier
	buffer_gl0_inv
	;; [unrolled: 14-line block ×3, first 2 shown]
	v_cmpx_gt_u32_e32 64, v0
	s_cbranch_execz .LBB271_31
; %bb.30:
	ds_load_2addr_stride64_b32 v[4:5], v1 offset1:1
	s_waitcnt lgkmcnt(0)
	v_add_f32_e32 v2, v5, v4
	ds_store_b32 v1, v2
.LBB271_31:
	s_or_b32 exec_lo, exec_lo, s1
	s_delay_alu instid0(SALU_CYCLE_1)
	s_mov_b32 s1, exec_lo
	s_waitcnt lgkmcnt(0)
	buffer_gl0_inv
                                        ; implicit-def: $vgpr2
	v_cmpx_gt_u32_e32 32, v0
; %bb.32:
	v_or_b32_e32 v2, 32, v0
	s_or_b32 s0, s0, exec_lo
                                        ; implicit-def: $vgpr3
; %bb.33:
	s_or_b32 exec_lo, exec_lo, s1
	v_mov_b32_e32 v4, v1
.LBB271_34:
	s_and_saveexec_b32 s1, s0
	s_cbranch_execz .LBB271_36
; %bb.35:
	v_lshlrev_b32_e32 v1, 2, v2
	ds_load_b32 v2, v4
	ds_load_b32 v1, v1
	s_waitcnt lgkmcnt(0)
	v_add_f32_e32 v3, v2, v1
.LBB271_36:
	s_or_b32 exec_lo, exec_lo, s1
	s_delay_alu instid0(SALU_CYCLE_1)
	s_mov_b32 s0, exec_lo
	v_cmpx_gt_u32_e32 32, v0
	s_cbranch_execz .LBB271_40
; %bb.37:
	v_cmp_eq_f32_e64 s0, s8, 0
	v_mul_f32_e32 v2, s12, v3
	v_lshl_or_b32 v0, s10, 5, v0
	s_delay_alu instid0(VALU_DEP_3)
	s_and_b32 vcc_lo, exec_lo, s0
	s_mov_b32 s0, 0
	s_cbranch_vccz .LBB271_41
; %bb.38:
	v_mov_b32_e32 v1, 0
	s_delay_alu instid0(VALU_DEP_1) | instskip(NEXT) | instid1(VALU_DEP_1)
	v_lshlrev_b64 v[3:4], 2, v[0:1]
	v_add_co_u32 v3, vcc_lo, s4, v3
	s_delay_alu instid0(VALU_DEP_2)
	v_add_co_ci_u32_e32 v4, vcc_lo, s5, v4, vcc_lo
	global_store_b32 v[3:4], v2, off
	s_and_not1_b32 vcc_lo, exec_lo, s0
	s_cbranch_vccnz .LBB271_40
.LBB271_39:
	v_mov_b32_e32 v1, 0
	s_delay_alu instid0(VALU_DEP_1) | instskip(NEXT) | instid1(VALU_DEP_1)
	v_lshlrev_b64 v[0:1], 2, v[0:1]
	v_add_co_u32 v0, vcc_lo, s4, v0
	s_delay_alu instid0(VALU_DEP_2)
	v_add_co_ci_u32_e32 v1, vcc_lo, s5, v1, vcc_lo
	global_load_b32 v3, v[0:1], off
	s_waitcnt vmcnt(0)
	v_fmac_f32_e32 v2, s8, v3
	global_store_b32 v[0:1], v2, off
.LBB271_40:
	s_nop 0
	s_sendmsg sendmsg(MSG_DEALLOC_VGPRS)
	s_endpgm
.LBB271_41:
	s_branch .LBB271_39
	.section	.rodata,"a",@progbits
	.p2align	6, 0x0
	.amdhsa_kernel _ZN9rocsparseL20bsrxmvn_17_32_kernelILj32EfliaafEEvT2_20rocsparse_direction_NS_24const_host_device_scalarIT0_EES1_PKS1_PKT1_SA_S7_PKT3_PKT4_S5_PT5_21rocsparse_index_base_b
		.amdhsa_group_segment_fixed_size 4096
		.amdhsa_private_segment_fixed_size 0
		.amdhsa_kernarg_size 96
		.amdhsa_user_sgpr_count 15
		.amdhsa_user_sgpr_dispatch_ptr 0
		.amdhsa_user_sgpr_queue_ptr 0
		.amdhsa_user_sgpr_kernarg_segment_ptr 1
		.amdhsa_user_sgpr_dispatch_id 0
		.amdhsa_user_sgpr_private_segment_size 0
		.amdhsa_wavefront_size32 1
		.amdhsa_uses_dynamic_stack 0
		.amdhsa_enable_private_segment 0
		.amdhsa_system_sgpr_workgroup_id_x 1
		.amdhsa_system_sgpr_workgroup_id_y 0
		.amdhsa_system_sgpr_workgroup_id_z 0
		.amdhsa_system_sgpr_workgroup_info 0
		.amdhsa_system_vgpr_workitem_id 0
		.amdhsa_next_free_vgpr 9
		.amdhsa_next_free_sgpr 28
		.amdhsa_reserve_vcc 1
		.amdhsa_float_round_mode_32 0
		.amdhsa_float_round_mode_16_64 0
		.amdhsa_float_denorm_mode_32 3
		.amdhsa_float_denorm_mode_16_64 3
		.amdhsa_dx10_clamp 1
		.amdhsa_ieee_mode 1
		.amdhsa_fp16_overflow 0
		.amdhsa_workgroup_processor_mode 1
		.amdhsa_memory_ordered 1
		.amdhsa_forward_progress 0
		.amdhsa_shared_vgpr_count 0
		.amdhsa_exception_fp_ieee_invalid_op 0
		.amdhsa_exception_fp_denorm_src 0
		.amdhsa_exception_fp_ieee_div_zero 0
		.amdhsa_exception_fp_ieee_overflow 0
		.amdhsa_exception_fp_ieee_underflow 0
		.amdhsa_exception_fp_ieee_inexact 0
		.amdhsa_exception_int_div_zero 0
	.end_amdhsa_kernel
	.section	.text._ZN9rocsparseL20bsrxmvn_17_32_kernelILj32EfliaafEEvT2_20rocsparse_direction_NS_24const_host_device_scalarIT0_EES1_PKS1_PKT1_SA_S7_PKT3_PKT4_S5_PT5_21rocsparse_index_base_b,"axG",@progbits,_ZN9rocsparseL20bsrxmvn_17_32_kernelILj32EfliaafEEvT2_20rocsparse_direction_NS_24const_host_device_scalarIT0_EES1_PKS1_PKT1_SA_S7_PKT3_PKT4_S5_PT5_21rocsparse_index_base_b,comdat
.Lfunc_end271:
	.size	_ZN9rocsparseL20bsrxmvn_17_32_kernelILj32EfliaafEEvT2_20rocsparse_direction_NS_24const_host_device_scalarIT0_EES1_PKS1_PKT1_SA_S7_PKT3_PKT4_S5_PT5_21rocsparse_index_base_b, .Lfunc_end271-_ZN9rocsparseL20bsrxmvn_17_32_kernelILj32EfliaafEEvT2_20rocsparse_direction_NS_24const_host_device_scalarIT0_EES1_PKS1_PKT1_SA_S7_PKT3_PKT4_S5_PT5_21rocsparse_index_base_b
                                        ; -- End function
	.section	.AMDGPU.csdata,"",@progbits
; Kernel info:
; codeLenInByte = 1388
; NumSgprs: 30
; NumVgprs: 9
; ScratchSize: 0
; MemoryBound: 0
; FloatMode: 240
; IeeeMode: 1
; LDSByteSize: 4096 bytes/workgroup (compile time only)
; SGPRBlocks: 3
; VGPRBlocks: 1
; NumSGPRsForWavesPerEU: 30
; NumVGPRsForWavesPerEU: 9
; Occupancy: 16
; WaveLimiterHint : 1
; COMPUTE_PGM_RSRC2:SCRATCH_EN: 0
; COMPUTE_PGM_RSRC2:USER_SGPR: 15
; COMPUTE_PGM_RSRC2:TRAP_HANDLER: 0
; COMPUTE_PGM_RSRC2:TGID_X_EN: 1
; COMPUTE_PGM_RSRC2:TGID_Y_EN: 0
; COMPUTE_PGM_RSRC2:TGID_Z_EN: 0
; COMPUTE_PGM_RSRC2:TIDIG_COMP_CNT: 0
	.section	.text._ZN9rocsparseL20bsrxmvn_17_32_kernelILj17EfllaafEEvT2_20rocsparse_direction_NS_24const_host_device_scalarIT0_EES1_PKS1_PKT1_SA_S7_PKT3_PKT4_S5_PT5_21rocsparse_index_base_b,"axG",@progbits,_ZN9rocsparseL20bsrxmvn_17_32_kernelILj17EfllaafEEvT2_20rocsparse_direction_NS_24const_host_device_scalarIT0_EES1_PKS1_PKT1_SA_S7_PKT3_PKT4_S5_PT5_21rocsparse_index_base_b,comdat
	.globl	_ZN9rocsparseL20bsrxmvn_17_32_kernelILj17EfllaafEEvT2_20rocsparse_direction_NS_24const_host_device_scalarIT0_EES1_PKS1_PKT1_SA_S7_PKT3_PKT4_S5_PT5_21rocsparse_index_base_b ; -- Begin function _ZN9rocsparseL20bsrxmvn_17_32_kernelILj17EfllaafEEvT2_20rocsparse_direction_NS_24const_host_device_scalarIT0_EES1_PKS1_PKT1_SA_S7_PKT3_PKT4_S5_PT5_21rocsparse_index_base_b
	.p2align	8
	.type	_ZN9rocsparseL20bsrxmvn_17_32_kernelILj17EfllaafEEvT2_20rocsparse_direction_NS_24const_host_device_scalarIT0_EES1_PKS1_PKT1_SA_S7_PKT3_PKT4_S5_PT5_21rocsparse_index_base_b,@function
_ZN9rocsparseL20bsrxmvn_17_32_kernelILj17EfllaafEEvT2_20rocsparse_direction_NS_24const_host_device_scalarIT0_EES1_PKS1_PKT1_SA_S7_PKT3_PKT4_S5_PT5_21rocsparse_index_base_b: ; @_ZN9rocsparseL20bsrxmvn_17_32_kernelILj17EfllaafEEvT2_20rocsparse_direction_NS_24const_host_device_scalarIT0_EES1_PKS1_PKT1_SA_S7_PKT3_PKT4_S5_PT5_21rocsparse_index_base_b
; %bb.0:
	s_clause 0x2
	s_load_b64 s[16:17], s[0:1], 0x60
	s_load_b64 s[12:13], s[0:1], 0x10
	;; [unrolled: 1-line block ×3, first 2 shown]
	s_mov_b32 s10, s15
	s_waitcnt lgkmcnt(0)
	s_bitcmp1_b32 s17, 0
	s_cselect_b32 s2, -1, 0
	s_delay_alu instid0(SALU_CYCLE_1)
	s_and_b32 vcc_lo, exec_lo, s2
	s_xor_b32 s2, s2, -1
	s_cbranch_vccnz .LBB272_2
; %bb.1:
	s_load_b32 s12, s[12:13], 0x0
.LBB272_2:
	s_and_not1_b32 vcc_lo, exec_lo, s2
	s_cbranch_vccnz .LBB272_4
; %bb.3:
	s_load_b32 s8, s[8:9], 0x0
.LBB272_4:
	s_waitcnt lgkmcnt(0)
	v_cmp_neq_f32_e64 s2, s12, 0
	v_cmp_neq_f32_e64 s3, s8, 1.0
	s_mov_b32 s11, 0
	s_delay_alu instid0(VALU_DEP_1) | instskip(NEXT) | instid1(SALU_CYCLE_1)
	s_or_b32 s2, s2, s3
	s_and_not1_b32 vcc_lo, exec_lo, s2
	s_cbranch_vccnz .LBB272_42
; %bb.5:
	s_clause 0x1
	s_load_b128 s[4:7], s[0:1], 0x20
	s_load_b64 s[14:15], s[0:1], 0x30
	s_waitcnt lgkmcnt(0)
	s_cmp_eq_u64 s[4:5], 0
	s_cbranch_scc1 .LBB272_7
; %bb.6:
	s_lshl_b64 s[2:3], s[10:11], 3
	s_delay_alu instid0(SALU_CYCLE_1)
	s_add_u32 s2, s4, s2
	s_addc_u32 s3, s5, s3
	s_load_b64 s[2:3], s[2:3], 0x0
	s_waitcnt lgkmcnt(0)
	s_sub_u32 s10, s2, s16
	s_subb_u32 s11, s3, 0
.LBB272_7:
	s_load_b32 s3, s[0:1], 0x8
	v_mul_u32_u24_e32 v1, 0xf10, v0
	v_mov_b32_e32 v7, 0
	s_delay_alu instid0(VALU_DEP_2) | instskip(NEXT) | instid1(VALU_DEP_1)
	v_lshrrev_b32_e32 v1, 16, v1
	v_mul_lo_u16 v2, v1, 17
	s_delay_alu instid0(VALU_DEP_1)
	v_sub_nc_u16 v8, v0, v2
	s_waitcnt lgkmcnt(0)
	s_cmp_eq_u32 s3, 1
	s_cselect_b32 s2, -1, 0
	s_cmp_lg_u32 s3, 1
	s_cselect_b32 s3, -1, 0
	s_lshl_b64 s[4:5], s[10:11], 3
	s_delay_alu instid0(SALU_CYCLE_1)
	s_add_u32 s6, s6, s4
	s_addc_u32 s7, s7, s5
	s_add_u32 s9, s6, 8
	s_addc_u32 s13, s7, 0
	;; [unrolled: 2-line block ×3, first 2 shown]
	s_cmp_eq_u64 s[14:15], 0
	s_load_b64 s[14:15], s[0:1], 0x58
	s_cselect_b32 s5, s13, s5
	s_cselect_b32 s4, s9, s4
	s_load_b64 s[20:21], s[6:7], 0x0
	s_load_b64 s[18:19], s[4:5], 0x0
	s_waitcnt lgkmcnt(0)
	v_cmp_ge_i64_e64 s4, s[20:21], s[18:19]
	s_delay_alu instid0(VALU_DEP_1)
	s_and_b32 vcc_lo, exec_lo, s4
	s_cbranch_vccnz .LBB272_12
; %bb.8:
	v_mul_lo_u16 v2, v1, 31
	v_and_b32_e32 v3, 0xffff, v0
	s_clause 0x1
	s_load_b128 s[4:7], s[0:1], 0x38
	s_load_b64 s[22:23], s[0:1], 0x48
	s_sub_u32 s0, s18, s16
	s_subb_u32 s1, s19, 0
	v_lshrrev_b16 v2, 9, v2
	v_mul_u32_u24_e32 v3, 0xe3, v3
	s_sub_u32 s18, s20, s16
	v_dual_mov_b32 v7, 0 :: v_dual_and_b32 v4, 0xffff, v8
	s_delay_alu instid0(VALU_DEP_3) | instskip(NEXT) | instid1(VALU_DEP_3)
	v_mul_lo_u16 v2, v2, 17
	v_lshrrev_b32_e32 v9, 16, v3
	s_subb_u32 s19, s21, 0
	s_mul_hi_u32 s9, s18, 0x121
	s_mul_i32 s17, s19, 0x121
	v_sub_nc_u16 v1, v1, v2
	v_add_co_u32 v2, s20, s20, v9
	s_delay_alu instid0(VALU_DEP_1) | instskip(NEXT) | instid1(VALU_DEP_3)
	v_add_co_ci_u32_e64 v5, null, s21, 0, s20
	v_and_b32_e32 v1, 0xff, v1
	s_delay_alu instid0(VALU_DEP_3) | instskip(SKIP_2) | instid1(VALU_DEP_2)
	v_sub_co_u32 v3, vcc_lo, v2, s16
	s_mul_i32 s13, s18, 0x121
	s_add_i32 s9, s9, s17
	v_cndmask_b32_e64 v1, v4, v1, s2
	v_subrev_co_ci_u32_e32 v4, vcc_lo, 0, v5, vcc_lo
	s_waitcnt lgkmcnt(0)
	s_delay_alu instid0(VALU_DEP_2) | instskip(NEXT) | instid1(VALU_DEP_2)
	v_add_co_u32 v1, s2, s22, v1
	v_lshlrev_b64 v[5:6], 3, v[3:4]
	v_add_co_ci_u32_e64 v2, null, s23, 0, s2
	s_add_u32 s2, s6, s13
	s_addc_u32 s6, s7, s9
	v_add_co_u32 v3, s2, s2, v0
	s_delay_alu instid0(VALU_DEP_3)
	v_add_co_u32 v5, vcc_lo, s4, v5
	v_add_co_ci_u32_e64 v4, null, s6, 0, s2
	v_add_co_ci_u32_e32 v6, vcc_lo, s5, v6, vcc_lo
	s_set_inst_prefetch_distance 0x1
	s_branch .LBB272_10
	.p2align	6
.LBB272_9:                              ;   in Loop: Header=BB272_10 Depth=1
	s_or_b32 exec_lo, exec_lo, s2
	s_add_u32 s18, s18, 1
	s_addc_u32 s19, s19, 0
	v_add_co_u32 v5, vcc_lo, v5, 8
	v_cmp_lt_i64_e64 s2, s[18:19], s[0:1]
	v_add_co_ci_u32_e32 v6, vcc_lo, 0, v6, vcc_lo
	s_delay_alu instid0(VALU_DEP_2)
	s_and_b32 vcc_lo, exec_lo, s2
	s_cbranch_vccz .LBB272_12
.LBB272_10:                             ; =>This Inner Loop Header: Depth=1
	v_add_co_u32 v10, s2, v9, s18
	s_delay_alu instid0(VALU_DEP_1) | instskip(SKIP_1) | instid1(VALU_DEP_1)
	v_add_co_ci_u32_e64 v11, null, 0, s19, s2
	s_mov_b32 s2, exec_lo
	v_cmpx_gt_i64_e64 s[0:1], v[10:11]
	s_cbranch_execz .LBB272_9
; %bb.11:                               ;   in Loop: Header=BB272_10 Depth=1
	global_load_b64 v[10:11], v[5:6], off
	s_waitcnt vmcnt(0)
	v_sub_co_u32 v12, vcc_lo, v10, s16
	v_subrev_co_ci_u32_e32 v14, vcc_lo, 0, v11, vcc_lo
	s_delay_alu instid0(VALU_DEP_2) | instskip(NEXT) | instid1(VALU_DEP_1)
	v_mad_u64_u32 v[10:11], null, v12, 17, v[1:2]
	v_mad_u64_u32 v[12:13], null, v14, 17, v[11:12]
	s_delay_alu instid0(VALU_DEP_1)
	v_mov_b32_e32 v11, v12
	global_load_i8 v12, v[3:4], off
	global_load_i8 v10, v[10:11], off
	v_add_co_u32 v3, vcc_lo, 0x121, v3
	v_add_co_ci_u32_e32 v4, vcc_lo, 0, v4, vcc_lo
	s_waitcnt vmcnt(1)
	v_cvt_f32_i32_e32 v11, v12
	s_waitcnt vmcnt(0)
	v_cvt_f32_i32_e32 v10, v10
	s_delay_alu instid0(VALU_DEP_1)
	v_fmac_f32_e32 v7, v11, v10
	s_branch .LBB272_9
.LBB272_12:
	s_set_inst_prefetch_distance 0x2
	v_lshlrev_b32_e32 v1, 2, v0
	s_and_b32 vcc_lo, exec_lo, s3
	ds_store_b32 v1, v7
	s_waitcnt lgkmcnt(0)
	s_barrier
	buffer_gl0_inv
	s_cbranch_vccz .LBB272_24
; %bb.13:
	s_mov_b32 s0, exec_lo
	v_cmpx_eq_u16_e32 0, v8
	s_cbranch_execz .LBB272_15
; %bb.14:
	ds_load_2addr_b32 v[2:3], v1 offset1:16
	s_waitcnt lgkmcnt(0)
	v_add_f32_e32 v2, v3, v2
	ds_store_b32 v1, v2
.LBB272_15:
	s_or_b32 exec_lo, exec_lo, s0
	s_delay_alu instid0(SALU_CYCLE_1)
	s_mov_b32 s0, exec_lo
	s_waitcnt lgkmcnt(0)
	s_barrier
	buffer_gl0_inv
	v_cmpx_gt_u16_e32 8, v8
	s_cbranch_execz .LBB272_17
; %bb.16:
	ds_load_2addr_b32 v[2:3], v1 offset1:8
	s_waitcnt lgkmcnt(0)
	v_add_f32_e32 v2, v3, v2
	ds_store_b32 v1, v2
.LBB272_17:
	s_or_b32 exec_lo, exec_lo, s0
	s_delay_alu instid0(SALU_CYCLE_1)
	s_mov_b32 s0, exec_lo
	s_waitcnt lgkmcnt(0)
	s_barrier
	buffer_gl0_inv
	v_cmpx_gt_u16_e32 4, v8
	;; [unrolled: 14-line block ×3, first 2 shown]
	s_cbranch_execz .LBB272_21
; %bb.20:
	ds_load_2addr_b32 v[2:3], v1 offset1:2
	s_waitcnt lgkmcnt(0)
	v_add_f32_e32 v2, v3, v2
	ds_store_b32 v1, v2
.LBB272_21:
	s_or_b32 exec_lo, exec_lo, s0
	s_mov_b32 s0, 0
	s_mov_b32 s1, 0
	s_mov_b32 s2, exec_lo
	s_waitcnt lgkmcnt(0)
	s_barrier
	buffer_gl0_inv
                                        ; implicit-def: $vgpr2
                                        ; implicit-def: $vgpr3
	v_cmpx_gt_u32_e32 17, v0
	s_xor_b32 s2, exec_lo, s2
; %bb.22:
	v_mad_u32_u24 v2, v0, 17, 1
	v_lshl_add_u32 v3, v0, 6, v1
	s_mov_b32 s1, exec_lo
; %bb.23:
	s_or_b32 exec_lo, exec_lo, s2
	s_delay_alu instid0(SALU_CYCLE_1)
	s_and_b32 vcc_lo, exec_lo, s0
	v_cmp_gt_u32_e64 s0, 17, v0
	s_cbranch_vccnz .LBB272_25
	s_branch .LBB272_36
.LBB272_24:
	s_mov_b32 s1, 0
                                        ; implicit-def: $vgpr2
                                        ; implicit-def: $vgpr3
	v_cmp_gt_u32_e64 s0, 17, v0
	s_cbranch_execz .LBB272_36
.LBB272_25:
	s_delay_alu instid0(VALU_DEP_1)
	s_and_saveexec_b32 s2, s0
	s_cbranch_execz .LBB272_27
; %bb.26:
	ds_load_b32 v2, v1 offset:1088
	ds_load_b32 v3, v1
	s_waitcnt lgkmcnt(0)
	v_add_f32_e32 v2, v2, v3
	ds_store_b32 v1, v2
.LBB272_27:
	s_or_b32 exec_lo, exec_lo, s2
	s_delay_alu instid0(SALU_CYCLE_1)
	s_mov_b32 s2, exec_lo
	s_waitcnt lgkmcnt(0)
	s_barrier
	buffer_gl0_inv
	v_cmpx_gt_u32_e32 0x88, v0
	s_cbranch_execz .LBB272_29
; %bb.28:
	ds_load_2addr_b32 v[2:3], v1 offset1:136
	s_waitcnt lgkmcnt(0)
	v_add_f32_e32 v2, v3, v2
	ds_store_b32 v1, v2
.LBB272_29:
	s_or_b32 exec_lo, exec_lo, s2
	s_delay_alu instid0(SALU_CYCLE_1)
	s_mov_b32 s2, exec_lo
	s_waitcnt lgkmcnt(0)
	s_barrier
	buffer_gl0_inv
	v_cmpx_gt_u32_e32 0x44, v0
	s_cbranch_execz .LBB272_31
; %bb.30:
	ds_load_2addr_b32 v[2:3], v1 offset1:68
	s_waitcnt lgkmcnt(0)
	v_add_f32_e32 v2, v3, v2
	ds_store_b32 v1, v2
.LBB272_31:
	s_or_b32 exec_lo, exec_lo, s2
	s_delay_alu instid0(SALU_CYCLE_1)
	s_mov_b32 s2, exec_lo
	s_waitcnt lgkmcnt(0)
	s_barrier
	buffer_gl0_inv
	v_cmpx_gt_u32_e32 34, v0
	s_cbranch_execz .LBB272_33
; %bb.32:
	ds_load_2addr_b32 v[2:3], v1 offset1:34
	s_waitcnt lgkmcnt(0)
	v_add_f32_e32 v2, v3, v2
	ds_store_b32 v1, v2
.LBB272_33:
	s_or_b32 exec_lo, exec_lo, s2
	s_waitcnt lgkmcnt(0)
	buffer_gl0_inv
                                        ; implicit-def: $vgpr2
	s_and_saveexec_b32 s2, s0
; %bb.34:
	v_add_nc_u32_e32 v2, 17, v0
	s_or_b32 s1, s1, exec_lo
                                        ; implicit-def: $vgpr7
; %bb.35:
	s_or_b32 exec_lo, exec_lo, s2
	v_mov_b32_e32 v3, v1
.LBB272_36:
	s_and_saveexec_b32 s0, s1
	s_cbranch_execz .LBB272_38
; %bb.37:
	v_lshlrev_b32_e32 v1, 2, v2
	ds_load_b32 v2, v3
	ds_load_b32 v1, v1
	s_waitcnt lgkmcnt(0)
	v_add_f32_e32 v7, v2, v1
.LBB272_38:
	s_or_b32 exec_lo, exec_lo, s0
	s_delay_alu instid0(SALU_CYCLE_1)
	s_mov_b32 s0, exec_lo
	v_cmpx_gt_u32_e32 17, v0
	s_cbranch_execz .LBB272_42
; %bb.39:
	v_cmp_eq_f32_e64 s1, s8, 0
	v_mul_f32_e32 v1, s12, v7
	s_mov_b32 s3, 0
	s_mul_i32 s0, s11, 0x44
	s_mul_i32 s2, s10, 0x44
	s_and_b32 vcc_lo, exec_lo, s1
	s_mul_hi_u32 s1, s10, 0x44
	s_cbranch_vccz .LBB272_43
; %bb.40:
	v_lshlrev_b32_e32 v2, 2, v0
	s_add_i32 s5, s1, s0
	s_add_u32 s4, s14, s2
	s_addc_u32 s5, s15, s5
	global_store_b32 v2, v1, s[4:5]
	s_and_not1_b32 vcc_lo, exec_lo, s3
	s_cbranch_vccnz .LBB272_42
.LBB272_41:
	v_lshlrev_b32_e32 v0, 2, v0
	s_add_i32 s1, s1, s0
	s_add_u32 s0, s14, s2
	s_addc_u32 s1, s15, s1
	global_load_b32 v2, v0, s[0:1]
	s_waitcnt vmcnt(0)
	v_fmac_f32_e32 v1, s8, v2
	global_store_b32 v0, v1, s[0:1]
.LBB272_42:
	s_nop 0
	s_sendmsg sendmsg(MSG_DEALLOC_VGPRS)
	s_endpgm
.LBB272_43:
	s_branch .LBB272_41
	.section	.rodata,"a",@progbits
	.p2align	6, 0x0
	.amdhsa_kernel _ZN9rocsparseL20bsrxmvn_17_32_kernelILj17EfllaafEEvT2_20rocsparse_direction_NS_24const_host_device_scalarIT0_EES1_PKS1_PKT1_SA_S7_PKT3_PKT4_S5_PT5_21rocsparse_index_base_b
		.amdhsa_group_segment_fixed_size 1156
		.amdhsa_private_segment_fixed_size 0
		.amdhsa_kernarg_size 104
		.amdhsa_user_sgpr_count 15
		.amdhsa_user_sgpr_dispatch_ptr 0
		.amdhsa_user_sgpr_queue_ptr 0
		.amdhsa_user_sgpr_kernarg_segment_ptr 1
		.amdhsa_user_sgpr_dispatch_id 0
		.amdhsa_user_sgpr_private_segment_size 0
		.amdhsa_wavefront_size32 1
		.amdhsa_uses_dynamic_stack 0
		.amdhsa_enable_private_segment 0
		.amdhsa_system_sgpr_workgroup_id_x 1
		.amdhsa_system_sgpr_workgroup_id_y 0
		.amdhsa_system_sgpr_workgroup_id_z 0
		.amdhsa_system_sgpr_workgroup_info 0
		.amdhsa_system_vgpr_workitem_id 0
		.amdhsa_next_free_vgpr 15
		.amdhsa_next_free_sgpr 24
		.amdhsa_reserve_vcc 1
		.amdhsa_float_round_mode_32 0
		.amdhsa_float_round_mode_16_64 0
		.amdhsa_float_denorm_mode_32 3
		.amdhsa_float_denorm_mode_16_64 3
		.amdhsa_dx10_clamp 1
		.amdhsa_ieee_mode 1
		.amdhsa_fp16_overflow 0
		.amdhsa_workgroup_processor_mode 1
		.amdhsa_memory_ordered 1
		.amdhsa_forward_progress 0
		.amdhsa_shared_vgpr_count 0
		.amdhsa_exception_fp_ieee_invalid_op 0
		.amdhsa_exception_fp_denorm_src 0
		.amdhsa_exception_fp_ieee_div_zero 0
		.amdhsa_exception_fp_ieee_overflow 0
		.amdhsa_exception_fp_ieee_underflow 0
		.amdhsa_exception_fp_ieee_inexact 0
		.amdhsa_exception_int_div_zero 0
	.end_amdhsa_kernel
	.section	.text._ZN9rocsparseL20bsrxmvn_17_32_kernelILj17EfllaafEEvT2_20rocsparse_direction_NS_24const_host_device_scalarIT0_EES1_PKS1_PKT1_SA_S7_PKT3_PKT4_S5_PT5_21rocsparse_index_base_b,"axG",@progbits,_ZN9rocsparseL20bsrxmvn_17_32_kernelILj17EfllaafEEvT2_20rocsparse_direction_NS_24const_host_device_scalarIT0_EES1_PKS1_PKT1_SA_S7_PKT3_PKT4_S5_PT5_21rocsparse_index_base_b,comdat
.Lfunc_end272:
	.size	_ZN9rocsparseL20bsrxmvn_17_32_kernelILj17EfllaafEEvT2_20rocsparse_direction_NS_24const_host_device_scalarIT0_EES1_PKS1_PKT1_SA_S7_PKT3_PKT4_S5_PT5_21rocsparse_index_base_b, .Lfunc_end272-_ZN9rocsparseL20bsrxmvn_17_32_kernelILj17EfllaafEEvT2_20rocsparse_direction_NS_24const_host_device_scalarIT0_EES1_PKS1_PKT1_SA_S7_PKT3_PKT4_S5_PT5_21rocsparse_index_base_b
                                        ; -- End function
	.section	.AMDGPU.csdata,"",@progbits
; Kernel info:
; codeLenInByte = 1628
; NumSgprs: 26
; NumVgprs: 15
; ScratchSize: 0
; MemoryBound: 0
; FloatMode: 240
; IeeeMode: 1
; LDSByteSize: 1156 bytes/workgroup (compile time only)
; SGPRBlocks: 3
; VGPRBlocks: 1
; NumSGPRsForWavesPerEU: 26
; NumVGPRsForWavesPerEU: 15
; Occupancy: 15
; WaveLimiterHint : 1
; COMPUTE_PGM_RSRC2:SCRATCH_EN: 0
; COMPUTE_PGM_RSRC2:USER_SGPR: 15
; COMPUTE_PGM_RSRC2:TRAP_HANDLER: 0
; COMPUTE_PGM_RSRC2:TGID_X_EN: 1
; COMPUTE_PGM_RSRC2:TGID_Y_EN: 0
; COMPUTE_PGM_RSRC2:TGID_Z_EN: 0
; COMPUTE_PGM_RSRC2:TIDIG_COMP_CNT: 0
	.section	.text._ZN9rocsparseL20bsrxmvn_17_32_kernelILj18EfllaafEEvT2_20rocsparse_direction_NS_24const_host_device_scalarIT0_EES1_PKS1_PKT1_SA_S7_PKT3_PKT4_S5_PT5_21rocsparse_index_base_b,"axG",@progbits,_ZN9rocsparseL20bsrxmvn_17_32_kernelILj18EfllaafEEvT2_20rocsparse_direction_NS_24const_host_device_scalarIT0_EES1_PKS1_PKT1_SA_S7_PKT3_PKT4_S5_PT5_21rocsparse_index_base_b,comdat
	.globl	_ZN9rocsparseL20bsrxmvn_17_32_kernelILj18EfllaafEEvT2_20rocsparse_direction_NS_24const_host_device_scalarIT0_EES1_PKS1_PKT1_SA_S7_PKT3_PKT4_S5_PT5_21rocsparse_index_base_b ; -- Begin function _ZN9rocsparseL20bsrxmvn_17_32_kernelILj18EfllaafEEvT2_20rocsparse_direction_NS_24const_host_device_scalarIT0_EES1_PKS1_PKT1_SA_S7_PKT3_PKT4_S5_PT5_21rocsparse_index_base_b
	.p2align	8
	.type	_ZN9rocsparseL20bsrxmvn_17_32_kernelILj18EfllaafEEvT2_20rocsparse_direction_NS_24const_host_device_scalarIT0_EES1_PKS1_PKT1_SA_S7_PKT3_PKT4_S5_PT5_21rocsparse_index_base_b,@function
_ZN9rocsparseL20bsrxmvn_17_32_kernelILj18EfllaafEEvT2_20rocsparse_direction_NS_24const_host_device_scalarIT0_EES1_PKS1_PKT1_SA_S7_PKT3_PKT4_S5_PT5_21rocsparse_index_base_b: ; @_ZN9rocsparseL20bsrxmvn_17_32_kernelILj18EfllaafEEvT2_20rocsparse_direction_NS_24const_host_device_scalarIT0_EES1_PKS1_PKT1_SA_S7_PKT3_PKT4_S5_PT5_21rocsparse_index_base_b
; %bb.0:
	s_clause 0x2
	s_load_b64 s[16:17], s[0:1], 0x60
	s_load_b64 s[12:13], s[0:1], 0x10
	;; [unrolled: 1-line block ×3, first 2 shown]
	s_mov_b32 s10, s15
	s_waitcnt lgkmcnt(0)
	s_bitcmp1_b32 s17, 0
	s_cselect_b32 s2, -1, 0
	s_delay_alu instid0(SALU_CYCLE_1)
	s_and_b32 vcc_lo, exec_lo, s2
	s_xor_b32 s2, s2, -1
	s_cbranch_vccnz .LBB273_2
; %bb.1:
	s_load_b32 s12, s[12:13], 0x0
.LBB273_2:
	s_and_not1_b32 vcc_lo, exec_lo, s2
	s_cbranch_vccnz .LBB273_4
; %bb.3:
	s_load_b32 s8, s[8:9], 0x0
.LBB273_4:
	s_waitcnt lgkmcnt(0)
	v_cmp_neq_f32_e64 s2, s12, 0
	v_cmp_neq_f32_e64 s3, s8, 1.0
	s_mov_b32 s11, 0
	s_delay_alu instid0(VALU_DEP_1) | instskip(NEXT) | instid1(SALU_CYCLE_1)
	s_or_b32 s2, s2, s3
	s_and_not1_b32 vcc_lo, exec_lo, s2
	s_cbranch_vccnz .LBB273_42
; %bb.5:
	s_clause 0x1
	s_load_b128 s[4:7], s[0:1], 0x20
	s_load_b64 s[14:15], s[0:1], 0x30
	s_waitcnt lgkmcnt(0)
	s_cmp_eq_u64 s[4:5], 0
	s_cbranch_scc1 .LBB273_7
; %bb.6:
	s_lshl_b64 s[2:3], s[10:11], 3
	s_delay_alu instid0(SALU_CYCLE_1)
	s_add_u32 s2, s4, s2
	s_addc_u32 s3, s5, s3
	s_load_b64 s[2:3], s[2:3], 0x0
	s_waitcnt lgkmcnt(0)
	s_sub_u32 s10, s2, s16
	s_subb_u32 s11, s3, 0
.LBB273_7:
	s_load_b32 s3, s[0:1], 0x8
	v_mul_u32_u24_e32 v1, 0xe39, v0
	v_mov_b32_e32 v7, 0
	s_delay_alu instid0(VALU_DEP_2) | instskip(NEXT) | instid1(VALU_DEP_1)
	v_lshrrev_b32_e32 v1, 16, v1
	v_mul_lo_u16 v2, v1, 18
	s_delay_alu instid0(VALU_DEP_1)
	v_sub_nc_u16 v8, v0, v2
	s_waitcnt lgkmcnt(0)
	s_cmp_eq_u32 s3, 1
	s_cselect_b32 s2, -1, 0
	s_cmp_lg_u32 s3, 1
	s_cselect_b32 s3, -1, 0
	s_lshl_b64 s[4:5], s[10:11], 3
	s_delay_alu instid0(SALU_CYCLE_1)
	s_add_u32 s6, s6, s4
	s_addc_u32 s7, s7, s5
	s_add_u32 s9, s6, 8
	s_addc_u32 s13, s7, 0
	s_add_u32 s4, s14, s4
	s_addc_u32 s5, s15, s5
	s_cmp_eq_u64 s[14:15], 0
	s_load_b64 s[14:15], s[0:1], 0x58
	s_cselect_b32 s5, s13, s5
	s_cselect_b32 s4, s9, s4
	s_load_b64 s[20:21], s[6:7], 0x0
	s_load_b64 s[18:19], s[4:5], 0x0
	s_waitcnt lgkmcnt(0)
	v_cmp_ge_i64_e64 s4, s[20:21], s[18:19]
	s_delay_alu instid0(VALU_DEP_1)
	s_and_b32 vcc_lo, exec_lo, s4
	s_cbranch_vccnz .LBB273_12
; %bb.8:
	v_mul_lo_u16 v2, v1, 15
	v_and_b32_e32 v3, 0xffff, v0
	s_clause 0x1
	s_load_b128 s[4:7], s[0:1], 0x38
	s_load_b64 s[22:23], s[0:1], 0x48
	s_sub_u32 s0, s18, s16
	s_subb_u32 s1, s19, 0
	v_lshrrev_b16 v2, 8, v2
	v_mul_u32_u24_e32 v3, 0x195, v3
	s_sub_u32 s18, s20, s16
	v_dual_mov_b32 v7, 0 :: v_dual_and_b32 v4, 0xffff, v8
	s_delay_alu instid0(VALU_DEP_3) | instskip(NEXT) | instid1(VALU_DEP_3)
	v_mul_lo_u16 v2, v2, 18
	v_lshrrev_b32_e32 v9, 17, v3
	s_subb_u32 s19, s21, 0
	s_mul_hi_u32 s9, s18, 0x144
	s_mul_i32 s17, s19, 0x144
	v_sub_nc_u16 v1, v1, v2
	v_add_co_u32 v2, s20, s20, v9
	s_delay_alu instid0(VALU_DEP_1) | instskip(NEXT) | instid1(VALU_DEP_3)
	v_add_co_ci_u32_e64 v5, null, s21, 0, s20
	v_and_b32_e32 v1, 0xff, v1
	s_delay_alu instid0(VALU_DEP_3) | instskip(SKIP_2) | instid1(VALU_DEP_2)
	v_sub_co_u32 v3, vcc_lo, v2, s16
	s_mul_i32 s13, s18, 0x144
	s_add_i32 s9, s9, s17
	v_cndmask_b32_e64 v1, v4, v1, s2
	v_subrev_co_ci_u32_e32 v4, vcc_lo, 0, v5, vcc_lo
	s_waitcnt lgkmcnt(0)
	s_delay_alu instid0(VALU_DEP_2) | instskip(NEXT) | instid1(VALU_DEP_2)
	v_add_co_u32 v1, s2, s22, v1
	v_lshlrev_b64 v[5:6], 3, v[3:4]
	v_add_co_ci_u32_e64 v2, null, s23, 0, s2
	s_add_u32 s2, s6, s13
	s_addc_u32 s6, s7, s9
	v_add_co_u32 v3, s2, s2, v0
	s_delay_alu instid0(VALU_DEP_3)
	v_add_co_u32 v5, vcc_lo, s4, v5
	v_add_co_ci_u32_e64 v4, null, s6, 0, s2
	v_add_co_ci_u32_e32 v6, vcc_lo, s5, v6, vcc_lo
	s_set_inst_prefetch_distance 0x1
	s_branch .LBB273_10
	.p2align	6
.LBB273_9:                              ;   in Loop: Header=BB273_10 Depth=1
	s_or_b32 exec_lo, exec_lo, s2
	s_add_u32 s18, s18, 1
	s_addc_u32 s19, s19, 0
	v_add_co_u32 v5, vcc_lo, v5, 8
	v_cmp_lt_i64_e64 s2, s[18:19], s[0:1]
	v_add_co_ci_u32_e32 v6, vcc_lo, 0, v6, vcc_lo
	s_delay_alu instid0(VALU_DEP_2)
	s_and_b32 vcc_lo, exec_lo, s2
	s_cbranch_vccz .LBB273_12
.LBB273_10:                             ; =>This Inner Loop Header: Depth=1
	v_add_co_u32 v10, s2, v9, s18
	s_delay_alu instid0(VALU_DEP_1) | instskip(SKIP_1) | instid1(VALU_DEP_1)
	v_add_co_ci_u32_e64 v11, null, 0, s19, s2
	s_mov_b32 s2, exec_lo
	v_cmpx_gt_i64_e64 s[0:1], v[10:11]
	s_cbranch_execz .LBB273_9
; %bb.11:                               ;   in Loop: Header=BB273_10 Depth=1
	global_load_b64 v[10:11], v[5:6], off
	s_waitcnt vmcnt(0)
	v_sub_co_u32 v12, vcc_lo, v10, s16
	v_subrev_co_ci_u32_e32 v14, vcc_lo, 0, v11, vcc_lo
	s_delay_alu instid0(VALU_DEP_2) | instskip(NEXT) | instid1(VALU_DEP_1)
	v_mad_u64_u32 v[10:11], null, v12, 18, v[1:2]
	v_mad_u64_u32 v[12:13], null, v14, 18, v[11:12]
	s_delay_alu instid0(VALU_DEP_1)
	v_mov_b32_e32 v11, v12
	global_load_i8 v12, v[3:4], off
	global_load_i8 v10, v[10:11], off
	v_add_co_u32 v3, vcc_lo, 0x144, v3
	v_add_co_ci_u32_e32 v4, vcc_lo, 0, v4, vcc_lo
	s_waitcnt vmcnt(1)
	v_cvt_f32_i32_e32 v11, v12
	s_waitcnt vmcnt(0)
	v_cvt_f32_i32_e32 v10, v10
	s_delay_alu instid0(VALU_DEP_1)
	v_fmac_f32_e32 v7, v11, v10
	s_branch .LBB273_9
.LBB273_12:
	s_set_inst_prefetch_distance 0x2
	v_lshlrev_b32_e32 v1, 2, v0
	s_and_b32 vcc_lo, exec_lo, s3
	ds_store_b32 v1, v7
	s_waitcnt lgkmcnt(0)
	s_barrier
	buffer_gl0_inv
	s_cbranch_vccz .LBB273_24
; %bb.13:
	v_cmp_gt_u16_e32 vcc_lo, 2, v8
	s_and_saveexec_b32 s0, vcc_lo
	s_cbranch_execz .LBB273_15
; %bb.14:
	ds_load_2addr_b32 v[2:3], v1 offset1:16
	s_waitcnt lgkmcnt(0)
	v_add_f32_e32 v2, v3, v2
	ds_store_b32 v1, v2
.LBB273_15:
	s_or_b32 exec_lo, exec_lo, s0
	s_delay_alu instid0(SALU_CYCLE_1)
	s_mov_b32 s1, exec_lo
	s_waitcnt lgkmcnt(0)
	s_barrier
	buffer_gl0_inv
	v_cmpx_gt_u16_e32 8, v8
	s_cbranch_execz .LBB273_17
; %bb.16:
	ds_load_2addr_b32 v[2:3], v1 offset1:8
	s_waitcnt lgkmcnt(0)
	v_add_f32_e32 v2, v3, v2
	ds_store_b32 v1, v2
.LBB273_17:
	s_or_b32 exec_lo, exec_lo, s1
	s_delay_alu instid0(SALU_CYCLE_1)
	s_mov_b32 s1, exec_lo
	s_waitcnt lgkmcnt(0)
	s_barrier
	buffer_gl0_inv
	v_cmpx_gt_u16_e32 4, v8
	s_cbranch_execz .LBB273_19
; %bb.18:
	ds_load_2addr_b32 v[2:3], v1 offset1:4
	s_waitcnt lgkmcnt(0)
	v_add_f32_e32 v2, v3, v2
	ds_store_b32 v1, v2
.LBB273_19:
	s_or_b32 exec_lo, exec_lo, s1
	s_waitcnt lgkmcnt(0)
	s_barrier
	buffer_gl0_inv
	s_and_saveexec_b32 s0, vcc_lo
	s_cbranch_execz .LBB273_21
; %bb.20:
	ds_load_2addr_b32 v[2:3], v1 offset1:2
	s_waitcnt lgkmcnt(0)
	v_add_f32_e32 v2, v3, v2
	ds_store_b32 v1, v2
.LBB273_21:
	s_or_b32 exec_lo, exec_lo, s0
	s_mov_b32 s0, 0
	s_mov_b32 s1, 0
	s_mov_b32 s2, exec_lo
	s_waitcnt lgkmcnt(0)
	s_barrier
	buffer_gl0_inv
                                        ; implicit-def: $vgpr2
                                        ; implicit-def: $vgpr3
	v_cmpx_gt_u32_e32 18, v0
	s_xor_b32 s2, exec_lo, s2
; %bb.22:
	v_mul_u32_u24_e32 v2, 18, v0
	v_mad_u32_u24 v3, 0x44, v0, v1
	s_mov_b32 s1, exec_lo
	s_delay_alu instid0(VALU_DEP_2)
	v_or_b32_e32 v2, 1, v2
; %bb.23:
	s_or_b32 exec_lo, exec_lo, s2
	s_delay_alu instid0(SALU_CYCLE_1)
	s_and_b32 vcc_lo, exec_lo, s0
	s_cbranch_vccnz .LBB273_25
	s_branch .LBB273_36
.LBB273_24:
	s_mov_b32 s1, 0
                                        ; implicit-def: $vgpr2
                                        ; implicit-def: $vgpr3
	s_cbranch_execz .LBB273_36
.LBB273_25:
	v_cmp_gt_u32_e32 vcc_lo, 36, v0
	s_and_saveexec_b32 s0, vcc_lo
	s_cbranch_execz .LBB273_27
; %bb.26:
	ds_load_b32 v2, v1 offset:1152
	ds_load_b32 v3, v1
	s_waitcnt lgkmcnt(0)
	v_add_f32_e32 v2, v2, v3
	ds_store_b32 v1, v2
.LBB273_27:
	s_or_b32 exec_lo, exec_lo, s0
	s_delay_alu instid0(SALU_CYCLE_1)
	s_mov_b32 s2, exec_lo
	s_waitcnt lgkmcnt(0)
	s_barrier
	buffer_gl0_inv
	v_cmpx_gt_u32_e32 0x90, v0
	s_cbranch_execz .LBB273_29
; %bb.28:
	ds_load_2addr_b32 v[2:3], v1 offset1:144
	s_waitcnt lgkmcnt(0)
	v_add_f32_e32 v2, v3, v2
	ds_store_b32 v1, v2
.LBB273_29:
	s_or_b32 exec_lo, exec_lo, s2
	s_delay_alu instid0(SALU_CYCLE_1)
	s_mov_b32 s2, exec_lo
	s_waitcnt lgkmcnt(0)
	s_barrier
	buffer_gl0_inv
	v_cmpx_gt_u32_e32 0x48, v0
	s_cbranch_execz .LBB273_31
; %bb.30:
	ds_load_2addr_b32 v[2:3], v1 offset1:72
	s_waitcnt lgkmcnt(0)
	v_add_f32_e32 v2, v3, v2
	ds_store_b32 v1, v2
.LBB273_31:
	s_or_b32 exec_lo, exec_lo, s2
	s_waitcnt lgkmcnt(0)
	s_barrier
	buffer_gl0_inv
	s_and_saveexec_b32 s0, vcc_lo
	s_cbranch_execz .LBB273_33
; %bb.32:
	ds_load_2addr_b32 v[2:3], v1 offset1:36
	s_waitcnt lgkmcnt(0)
	v_add_f32_e32 v2, v3, v2
	ds_store_b32 v1, v2
.LBB273_33:
	s_or_b32 exec_lo, exec_lo, s0
	s_delay_alu instid0(SALU_CYCLE_1)
	s_mov_b32 s0, exec_lo
	s_waitcnt lgkmcnt(0)
	buffer_gl0_inv
                                        ; implicit-def: $vgpr2
	v_cmpx_gt_u32_e32 18, v0
; %bb.34:
	v_add_nc_u32_e32 v2, 18, v0
	s_or_b32 s1, s1, exec_lo
                                        ; implicit-def: $vgpr7
; %bb.35:
	s_or_b32 exec_lo, exec_lo, s0
	v_mov_b32_e32 v3, v1
.LBB273_36:
	s_and_saveexec_b32 s0, s1
	s_cbranch_execz .LBB273_38
; %bb.37:
	v_lshlrev_b32_e32 v1, 2, v2
	ds_load_b32 v2, v3
	ds_load_b32 v1, v1
	s_waitcnt lgkmcnt(0)
	v_add_f32_e32 v7, v2, v1
.LBB273_38:
	s_or_b32 exec_lo, exec_lo, s0
	s_delay_alu instid0(SALU_CYCLE_1)
	s_mov_b32 s0, exec_lo
	v_cmpx_gt_u32_e32 18, v0
	s_cbranch_execz .LBB273_42
; %bb.39:
	v_cmp_eq_f32_e64 s1, s8, 0
	v_mul_f32_e32 v1, s12, v7
	s_mov_b32 s3, 0
	s_mul_i32 s0, s11, 0x48
	s_mul_i32 s2, s10, 0x48
	s_and_b32 vcc_lo, exec_lo, s1
	s_mul_hi_u32 s1, s10, 0x48
	s_cbranch_vccz .LBB273_43
; %bb.40:
	v_lshlrev_b32_e32 v2, 2, v0
	s_add_i32 s5, s1, s0
	s_add_u32 s4, s14, s2
	s_addc_u32 s5, s15, s5
	global_store_b32 v2, v1, s[4:5]
	s_and_not1_b32 vcc_lo, exec_lo, s3
	s_cbranch_vccnz .LBB273_42
.LBB273_41:
	v_lshlrev_b32_e32 v0, 2, v0
	s_add_i32 s1, s1, s0
	s_add_u32 s0, s14, s2
	s_addc_u32 s1, s15, s1
	global_load_b32 v2, v0, s[0:1]
	s_waitcnt vmcnt(0)
	v_fmac_f32_e32 v1, s8, v2
	global_store_b32 v0, v1, s[0:1]
.LBB273_42:
	s_nop 0
	s_sendmsg sendmsg(MSG_DEALLOC_VGPRS)
	s_endpgm
.LBB273_43:
	s_branch .LBB273_41
	.section	.rodata,"a",@progbits
	.p2align	6, 0x0
	.amdhsa_kernel _ZN9rocsparseL20bsrxmvn_17_32_kernelILj18EfllaafEEvT2_20rocsparse_direction_NS_24const_host_device_scalarIT0_EES1_PKS1_PKT1_SA_S7_PKT3_PKT4_S5_PT5_21rocsparse_index_base_b
		.amdhsa_group_segment_fixed_size 1296
		.amdhsa_private_segment_fixed_size 0
		.amdhsa_kernarg_size 104
		.amdhsa_user_sgpr_count 15
		.amdhsa_user_sgpr_dispatch_ptr 0
		.amdhsa_user_sgpr_queue_ptr 0
		.amdhsa_user_sgpr_kernarg_segment_ptr 1
		.amdhsa_user_sgpr_dispatch_id 0
		.amdhsa_user_sgpr_private_segment_size 0
		.amdhsa_wavefront_size32 1
		.amdhsa_uses_dynamic_stack 0
		.amdhsa_enable_private_segment 0
		.amdhsa_system_sgpr_workgroup_id_x 1
		.amdhsa_system_sgpr_workgroup_id_y 0
		.amdhsa_system_sgpr_workgroup_id_z 0
		.amdhsa_system_sgpr_workgroup_info 0
		.amdhsa_system_vgpr_workitem_id 0
		.amdhsa_next_free_vgpr 15
		.amdhsa_next_free_sgpr 24
		.amdhsa_reserve_vcc 1
		.amdhsa_float_round_mode_32 0
		.amdhsa_float_round_mode_16_64 0
		.amdhsa_float_denorm_mode_32 3
		.amdhsa_float_denorm_mode_16_64 3
		.amdhsa_dx10_clamp 1
		.amdhsa_ieee_mode 1
		.amdhsa_fp16_overflow 0
		.amdhsa_workgroup_processor_mode 1
		.amdhsa_memory_ordered 1
		.amdhsa_forward_progress 0
		.amdhsa_shared_vgpr_count 0
		.amdhsa_exception_fp_ieee_invalid_op 0
		.amdhsa_exception_fp_denorm_src 0
		.amdhsa_exception_fp_ieee_div_zero 0
		.amdhsa_exception_fp_ieee_overflow 0
		.amdhsa_exception_fp_ieee_underflow 0
		.amdhsa_exception_fp_ieee_inexact 0
		.amdhsa_exception_int_div_zero 0
	.end_amdhsa_kernel
	.section	.text._ZN9rocsparseL20bsrxmvn_17_32_kernelILj18EfllaafEEvT2_20rocsparse_direction_NS_24const_host_device_scalarIT0_EES1_PKS1_PKT1_SA_S7_PKT3_PKT4_S5_PT5_21rocsparse_index_base_b,"axG",@progbits,_ZN9rocsparseL20bsrxmvn_17_32_kernelILj18EfllaafEEvT2_20rocsparse_direction_NS_24const_host_device_scalarIT0_EES1_PKS1_PKT1_SA_S7_PKT3_PKT4_S5_PT5_21rocsparse_index_base_b,comdat
.Lfunc_end273:
	.size	_ZN9rocsparseL20bsrxmvn_17_32_kernelILj18EfllaafEEvT2_20rocsparse_direction_NS_24const_host_device_scalarIT0_EES1_PKS1_PKT1_SA_S7_PKT3_PKT4_S5_PT5_21rocsparse_index_base_b, .Lfunc_end273-_ZN9rocsparseL20bsrxmvn_17_32_kernelILj18EfllaafEEvT2_20rocsparse_direction_NS_24const_host_device_scalarIT0_EES1_PKS1_PKT1_SA_S7_PKT3_PKT4_S5_PT5_21rocsparse_index_base_b
                                        ; -- End function
	.section	.AMDGPU.csdata,"",@progbits
; Kernel info:
; codeLenInByte = 1612
; NumSgprs: 26
; NumVgprs: 15
; ScratchSize: 0
; MemoryBound: 0
; FloatMode: 240
; IeeeMode: 1
; LDSByteSize: 1296 bytes/workgroup (compile time only)
; SGPRBlocks: 3
; VGPRBlocks: 1
; NumSGPRsForWavesPerEU: 26
; NumVGPRsForWavesPerEU: 15
; Occupancy: 14
; WaveLimiterHint : 1
; COMPUTE_PGM_RSRC2:SCRATCH_EN: 0
; COMPUTE_PGM_RSRC2:USER_SGPR: 15
; COMPUTE_PGM_RSRC2:TRAP_HANDLER: 0
; COMPUTE_PGM_RSRC2:TGID_X_EN: 1
; COMPUTE_PGM_RSRC2:TGID_Y_EN: 0
; COMPUTE_PGM_RSRC2:TGID_Z_EN: 0
; COMPUTE_PGM_RSRC2:TIDIG_COMP_CNT: 0
	.section	.text._ZN9rocsparseL20bsrxmvn_17_32_kernelILj19EfllaafEEvT2_20rocsparse_direction_NS_24const_host_device_scalarIT0_EES1_PKS1_PKT1_SA_S7_PKT3_PKT4_S5_PT5_21rocsparse_index_base_b,"axG",@progbits,_ZN9rocsparseL20bsrxmvn_17_32_kernelILj19EfllaafEEvT2_20rocsparse_direction_NS_24const_host_device_scalarIT0_EES1_PKS1_PKT1_SA_S7_PKT3_PKT4_S5_PT5_21rocsparse_index_base_b,comdat
	.globl	_ZN9rocsparseL20bsrxmvn_17_32_kernelILj19EfllaafEEvT2_20rocsparse_direction_NS_24const_host_device_scalarIT0_EES1_PKS1_PKT1_SA_S7_PKT3_PKT4_S5_PT5_21rocsparse_index_base_b ; -- Begin function _ZN9rocsparseL20bsrxmvn_17_32_kernelILj19EfllaafEEvT2_20rocsparse_direction_NS_24const_host_device_scalarIT0_EES1_PKS1_PKT1_SA_S7_PKT3_PKT4_S5_PT5_21rocsparse_index_base_b
	.p2align	8
	.type	_ZN9rocsparseL20bsrxmvn_17_32_kernelILj19EfllaafEEvT2_20rocsparse_direction_NS_24const_host_device_scalarIT0_EES1_PKS1_PKT1_SA_S7_PKT3_PKT4_S5_PT5_21rocsparse_index_base_b,@function
_ZN9rocsparseL20bsrxmvn_17_32_kernelILj19EfllaafEEvT2_20rocsparse_direction_NS_24const_host_device_scalarIT0_EES1_PKS1_PKT1_SA_S7_PKT3_PKT4_S5_PT5_21rocsparse_index_base_b: ; @_ZN9rocsparseL20bsrxmvn_17_32_kernelILj19EfllaafEEvT2_20rocsparse_direction_NS_24const_host_device_scalarIT0_EES1_PKS1_PKT1_SA_S7_PKT3_PKT4_S5_PT5_21rocsparse_index_base_b
; %bb.0:
	s_clause 0x2
	s_load_b64 s[16:17], s[0:1], 0x60
	s_load_b64 s[12:13], s[0:1], 0x10
	;; [unrolled: 1-line block ×3, first 2 shown]
	s_mov_b32 s10, s15
	s_waitcnt lgkmcnt(0)
	s_bitcmp1_b32 s17, 0
	s_cselect_b32 s2, -1, 0
	s_delay_alu instid0(SALU_CYCLE_1)
	s_and_b32 vcc_lo, exec_lo, s2
	s_xor_b32 s2, s2, -1
	s_cbranch_vccnz .LBB274_2
; %bb.1:
	s_load_b32 s12, s[12:13], 0x0
.LBB274_2:
	s_and_not1_b32 vcc_lo, exec_lo, s2
	s_cbranch_vccnz .LBB274_4
; %bb.3:
	s_load_b32 s8, s[8:9], 0x0
.LBB274_4:
	s_waitcnt lgkmcnt(0)
	v_cmp_neq_f32_e64 s2, s12, 0
	v_cmp_neq_f32_e64 s3, s8, 1.0
	s_mov_b32 s11, 0
	s_delay_alu instid0(VALU_DEP_1) | instskip(NEXT) | instid1(SALU_CYCLE_1)
	s_or_b32 s2, s2, s3
	s_and_not1_b32 vcc_lo, exec_lo, s2
	s_cbranch_vccnz .LBB274_42
; %bb.5:
	s_clause 0x1
	s_load_b128 s[4:7], s[0:1], 0x20
	s_load_b64 s[14:15], s[0:1], 0x30
	s_waitcnt lgkmcnt(0)
	s_cmp_eq_u64 s[4:5], 0
	s_cbranch_scc1 .LBB274_7
; %bb.6:
	s_lshl_b64 s[2:3], s[10:11], 3
	s_delay_alu instid0(SALU_CYCLE_1)
	s_add_u32 s2, s4, s2
	s_addc_u32 s3, s5, s3
	s_load_b64 s[2:3], s[2:3], 0x0
	s_waitcnt lgkmcnt(0)
	s_sub_u32 s10, s2, s16
	s_subb_u32 s11, s3, 0
.LBB274_7:
	s_load_b32 s3, s[0:1], 0x8
	v_mul_u32_u24_e32 v1, 0xd7a, v0
	v_mov_b32_e32 v7, 0
	s_delay_alu instid0(VALU_DEP_2) | instskip(NEXT) | instid1(VALU_DEP_1)
	v_lshrrev_b32_e32 v1, 16, v1
	v_mul_lo_u16 v2, v1, 19
	s_delay_alu instid0(VALU_DEP_1)
	v_sub_nc_u16 v8, v0, v2
	s_waitcnt lgkmcnt(0)
	s_cmp_eq_u32 s3, 1
	s_cselect_b32 s2, -1, 0
	s_cmp_lg_u32 s3, 1
	s_cselect_b32 s3, -1, 0
	s_lshl_b64 s[4:5], s[10:11], 3
	s_delay_alu instid0(SALU_CYCLE_1)
	s_add_u32 s6, s6, s4
	s_addc_u32 s7, s7, s5
	s_add_u32 s9, s6, 8
	s_addc_u32 s13, s7, 0
	;; [unrolled: 2-line block ×3, first 2 shown]
	s_cmp_eq_u64 s[14:15], 0
	s_load_b64 s[14:15], s[0:1], 0x58
	s_cselect_b32 s5, s13, s5
	s_cselect_b32 s4, s9, s4
	s_load_b64 s[20:21], s[6:7], 0x0
	s_load_b64 s[18:19], s[4:5], 0x0
	s_waitcnt lgkmcnt(0)
	v_cmp_ge_i64_e64 s4, s[20:21], s[18:19]
	s_delay_alu instid0(VALU_DEP_1)
	s_and_b32 vcc_lo, exec_lo, s4
	s_cbranch_vccnz .LBB274_12
; %bb.8:
	v_mul_lo_u16 v2, v1, 14
	v_and_b32_e32 v3, 0xffff, v0
	s_clause 0x1
	s_load_b128 s[4:7], s[0:1], 0x38
	s_load_b64 s[22:23], s[0:1], 0x48
	s_sub_u32 s0, s18, s16
	s_subb_u32 s1, s19, 0
	v_lshrrev_b16 v2, 8, v2
	v_mul_u32_u24_e32 v3, 0xb6, v3
	s_sub_u32 s18, s20, s16
	v_dual_mov_b32 v7, 0 :: v_dual_and_b32 v4, 0xffff, v8
	s_delay_alu instid0(VALU_DEP_3) | instskip(NEXT) | instid1(VALU_DEP_3)
	v_mul_lo_u16 v2, v2, 19
	v_lshrrev_b32_e32 v9, 16, v3
	s_subb_u32 s19, s21, 0
	s_mul_hi_u32 s9, s18, 0x169
	s_mul_i32 s17, s19, 0x169
	v_sub_nc_u16 v1, v1, v2
	v_add_co_u32 v2, s20, s20, v9
	s_delay_alu instid0(VALU_DEP_1) | instskip(NEXT) | instid1(VALU_DEP_3)
	v_add_co_ci_u32_e64 v5, null, s21, 0, s20
	v_and_b32_e32 v1, 0xff, v1
	s_delay_alu instid0(VALU_DEP_3) | instskip(SKIP_2) | instid1(VALU_DEP_2)
	v_sub_co_u32 v3, vcc_lo, v2, s16
	s_mul_i32 s13, s18, 0x169
	s_add_i32 s9, s9, s17
	v_cndmask_b32_e64 v1, v4, v1, s2
	v_subrev_co_ci_u32_e32 v4, vcc_lo, 0, v5, vcc_lo
	s_waitcnt lgkmcnt(0)
	s_delay_alu instid0(VALU_DEP_2) | instskip(NEXT) | instid1(VALU_DEP_2)
	v_add_co_u32 v1, s2, s22, v1
	v_lshlrev_b64 v[5:6], 3, v[3:4]
	v_add_co_ci_u32_e64 v2, null, s23, 0, s2
	s_add_u32 s2, s6, s13
	s_addc_u32 s6, s7, s9
	v_add_co_u32 v3, s2, s2, v0
	s_delay_alu instid0(VALU_DEP_3)
	v_add_co_u32 v5, vcc_lo, s4, v5
	v_add_co_ci_u32_e64 v4, null, s6, 0, s2
	v_add_co_ci_u32_e32 v6, vcc_lo, s5, v6, vcc_lo
	s_set_inst_prefetch_distance 0x1
	s_branch .LBB274_10
	.p2align	6
.LBB274_9:                              ;   in Loop: Header=BB274_10 Depth=1
	s_or_b32 exec_lo, exec_lo, s2
	s_add_u32 s18, s18, 1
	s_addc_u32 s19, s19, 0
	v_add_co_u32 v5, vcc_lo, v5, 8
	v_cmp_lt_i64_e64 s2, s[18:19], s[0:1]
	v_add_co_ci_u32_e32 v6, vcc_lo, 0, v6, vcc_lo
	s_delay_alu instid0(VALU_DEP_2)
	s_and_b32 vcc_lo, exec_lo, s2
	s_cbranch_vccz .LBB274_12
.LBB274_10:                             ; =>This Inner Loop Header: Depth=1
	v_add_co_u32 v10, s2, v9, s18
	s_delay_alu instid0(VALU_DEP_1) | instskip(SKIP_1) | instid1(VALU_DEP_1)
	v_add_co_ci_u32_e64 v11, null, 0, s19, s2
	s_mov_b32 s2, exec_lo
	v_cmpx_gt_i64_e64 s[0:1], v[10:11]
	s_cbranch_execz .LBB274_9
; %bb.11:                               ;   in Loop: Header=BB274_10 Depth=1
	global_load_b64 v[10:11], v[5:6], off
	s_waitcnt vmcnt(0)
	v_sub_co_u32 v12, vcc_lo, v10, s16
	v_subrev_co_ci_u32_e32 v14, vcc_lo, 0, v11, vcc_lo
	s_delay_alu instid0(VALU_DEP_2) | instskip(NEXT) | instid1(VALU_DEP_1)
	v_mad_u64_u32 v[10:11], null, v12, 19, v[1:2]
	v_mad_u64_u32 v[12:13], null, v14, 19, v[11:12]
	s_delay_alu instid0(VALU_DEP_1)
	v_mov_b32_e32 v11, v12
	global_load_i8 v12, v[3:4], off
	global_load_i8 v10, v[10:11], off
	v_add_co_u32 v3, vcc_lo, 0x169, v3
	v_add_co_ci_u32_e32 v4, vcc_lo, 0, v4, vcc_lo
	s_waitcnt vmcnt(1)
	v_cvt_f32_i32_e32 v11, v12
	s_waitcnt vmcnt(0)
	v_cvt_f32_i32_e32 v10, v10
	s_delay_alu instid0(VALU_DEP_1)
	v_fmac_f32_e32 v7, v11, v10
	s_branch .LBB274_9
.LBB274_12:
	s_set_inst_prefetch_distance 0x2
	v_lshlrev_b32_e32 v1, 2, v0
	s_and_b32 vcc_lo, exec_lo, s3
	ds_store_b32 v1, v7
	s_waitcnt lgkmcnt(0)
	s_barrier
	buffer_gl0_inv
	s_cbranch_vccz .LBB274_24
; %bb.13:
	s_mov_b32 s0, exec_lo
	v_cmpx_gt_u16_e32 3, v8
	s_cbranch_execz .LBB274_15
; %bb.14:
	ds_load_2addr_b32 v[2:3], v1 offset1:16
	s_waitcnt lgkmcnt(0)
	v_add_f32_e32 v2, v3, v2
	ds_store_b32 v1, v2
.LBB274_15:
	s_or_b32 exec_lo, exec_lo, s0
	s_delay_alu instid0(SALU_CYCLE_1)
	s_mov_b32 s0, exec_lo
	s_waitcnt lgkmcnt(0)
	s_barrier
	buffer_gl0_inv
	v_cmpx_gt_u16_e32 8, v8
	s_cbranch_execz .LBB274_17
; %bb.16:
	ds_load_2addr_b32 v[2:3], v1 offset1:8
	s_waitcnt lgkmcnt(0)
	v_add_f32_e32 v2, v3, v2
	ds_store_b32 v1, v2
.LBB274_17:
	s_or_b32 exec_lo, exec_lo, s0
	s_delay_alu instid0(SALU_CYCLE_1)
	s_mov_b32 s0, exec_lo
	s_waitcnt lgkmcnt(0)
	s_barrier
	buffer_gl0_inv
	;; [unrolled: 14-line block ×3, first 2 shown]
	v_cmpx_gt_u16_e32 2, v8
	s_cbranch_execz .LBB274_21
; %bb.20:
	ds_load_2addr_b32 v[2:3], v1 offset1:2
	s_waitcnt lgkmcnt(0)
	v_add_f32_e32 v2, v3, v2
	ds_store_b32 v1, v2
.LBB274_21:
	s_or_b32 exec_lo, exec_lo, s0
	s_mov_b32 s1, 0
	s_mov_b32 s0, 0
	s_mov_b32 s2, exec_lo
	s_waitcnt lgkmcnt(0)
	s_barrier
	buffer_gl0_inv
                                        ; implicit-def: $vgpr2
                                        ; implicit-def: $vgpr3
	v_cmpx_gt_u32_e32 19, v0
	s_xor_b32 s2, exec_lo, s2
; %bb.22:
	v_mad_u32_u24 v2, v0, 19, 1
	v_mad_u32_u24 v3, 0x48, v0, v1
	s_mov_b32 s0, exec_lo
; %bb.23:
	s_or_b32 exec_lo, exec_lo, s2
	s_delay_alu instid0(SALU_CYCLE_1)
	s_and_b32 vcc_lo, exec_lo, s1
	s_cbranch_vccnz .LBB274_25
	s_branch .LBB274_36
.LBB274_24:
	s_mov_b32 s0, 0
                                        ; implicit-def: $vgpr2
                                        ; implicit-def: $vgpr3
	s_cbranch_execz .LBB274_36
.LBB274_25:
	s_mov_b32 s1, exec_lo
	v_cmpx_gt_u32_e32 57, v0
	s_cbranch_execz .LBB274_27
; %bb.26:
	ds_load_b32 v2, v1 offset:1216
	ds_load_b32 v3, v1
	s_waitcnt lgkmcnt(0)
	v_add_f32_e32 v2, v2, v3
	ds_store_b32 v1, v2
.LBB274_27:
	s_or_b32 exec_lo, exec_lo, s1
	s_delay_alu instid0(SALU_CYCLE_1)
	s_mov_b32 s1, exec_lo
	s_waitcnt lgkmcnt(0)
	s_barrier
	buffer_gl0_inv
	v_cmpx_gt_u32_e32 0x98, v0
	s_cbranch_execz .LBB274_29
; %bb.28:
	ds_load_2addr_b32 v[2:3], v1 offset1:152
	s_waitcnt lgkmcnt(0)
	v_add_f32_e32 v2, v3, v2
	ds_store_b32 v1, v2
.LBB274_29:
	s_or_b32 exec_lo, exec_lo, s1
	s_delay_alu instid0(SALU_CYCLE_1)
	s_mov_b32 s1, exec_lo
	s_waitcnt lgkmcnt(0)
	s_barrier
	buffer_gl0_inv
	v_cmpx_gt_u32_e32 0x4c, v0
	s_cbranch_execz .LBB274_31
; %bb.30:
	ds_load_2addr_b32 v[2:3], v1 offset1:76
	s_waitcnt lgkmcnt(0)
	v_add_f32_e32 v2, v3, v2
	ds_store_b32 v1, v2
.LBB274_31:
	;; [unrolled: 14-line block ×3, first 2 shown]
	s_or_b32 exec_lo, exec_lo, s1
	s_delay_alu instid0(SALU_CYCLE_1)
	s_mov_b32 s1, exec_lo
	s_waitcnt lgkmcnt(0)
	buffer_gl0_inv
                                        ; implicit-def: $vgpr2
	v_cmpx_gt_u32_e32 19, v0
; %bb.34:
	v_add_nc_u32_e32 v2, 19, v0
	s_or_b32 s0, s0, exec_lo
                                        ; implicit-def: $vgpr7
; %bb.35:
	s_or_b32 exec_lo, exec_lo, s1
	v_mov_b32_e32 v3, v1
.LBB274_36:
	s_and_saveexec_b32 s1, s0
	s_cbranch_execz .LBB274_38
; %bb.37:
	v_lshlrev_b32_e32 v1, 2, v2
	ds_load_b32 v2, v3
	ds_load_b32 v1, v1
	s_waitcnt lgkmcnt(0)
	v_add_f32_e32 v7, v2, v1
.LBB274_38:
	s_or_b32 exec_lo, exec_lo, s1
	s_delay_alu instid0(SALU_CYCLE_1)
	s_mov_b32 s0, exec_lo
	v_cmpx_gt_u32_e32 19, v0
	s_cbranch_execz .LBB274_42
; %bb.39:
	v_cmp_eq_f32_e64 s1, s8, 0
	v_mul_f32_e32 v1, s12, v7
	s_mov_b32 s3, 0
	s_mul_i32 s0, s11, 0x4c
	s_mul_i32 s2, s10, 0x4c
	s_and_b32 vcc_lo, exec_lo, s1
	s_mul_hi_u32 s1, s10, 0x4c
	s_cbranch_vccz .LBB274_43
; %bb.40:
	v_lshlrev_b32_e32 v2, 2, v0
	s_add_i32 s5, s1, s0
	s_add_u32 s4, s14, s2
	s_addc_u32 s5, s15, s5
	global_store_b32 v2, v1, s[4:5]
	s_and_not1_b32 vcc_lo, exec_lo, s3
	s_cbranch_vccnz .LBB274_42
.LBB274_41:
	v_lshlrev_b32_e32 v0, 2, v0
	s_add_i32 s1, s1, s0
	s_add_u32 s0, s14, s2
	s_addc_u32 s1, s15, s1
	global_load_b32 v2, v0, s[0:1]
	s_waitcnt vmcnt(0)
	v_fmac_f32_e32 v1, s8, v2
	global_store_b32 v0, v1, s[0:1]
.LBB274_42:
	s_nop 0
	s_sendmsg sendmsg(MSG_DEALLOC_VGPRS)
	s_endpgm
.LBB274_43:
	s_branch .LBB274_41
	.section	.rodata,"a",@progbits
	.p2align	6, 0x0
	.amdhsa_kernel _ZN9rocsparseL20bsrxmvn_17_32_kernelILj19EfllaafEEvT2_20rocsparse_direction_NS_24const_host_device_scalarIT0_EES1_PKS1_PKT1_SA_S7_PKT3_PKT4_S5_PT5_21rocsparse_index_base_b
		.amdhsa_group_segment_fixed_size 1444
		.amdhsa_private_segment_fixed_size 0
		.amdhsa_kernarg_size 104
		.amdhsa_user_sgpr_count 15
		.amdhsa_user_sgpr_dispatch_ptr 0
		.amdhsa_user_sgpr_queue_ptr 0
		.amdhsa_user_sgpr_kernarg_segment_ptr 1
		.amdhsa_user_sgpr_dispatch_id 0
		.amdhsa_user_sgpr_private_segment_size 0
		.amdhsa_wavefront_size32 1
		.amdhsa_uses_dynamic_stack 0
		.amdhsa_enable_private_segment 0
		.amdhsa_system_sgpr_workgroup_id_x 1
		.amdhsa_system_sgpr_workgroup_id_y 0
		.amdhsa_system_sgpr_workgroup_id_z 0
		.amdhsa_system_sgpr_workgroup_info 0
		.amdhsa_system_vgpr_workitem_id 0
		.amdhsa_next_free_vgpr 15
		.amdhsa_next_free_sgpr 24
		.amdhsa_reserve_vcc 1
		.amdhsa_float_round_mode_32 0
		.amdhsa_float_round_mode_16_64 0
		.amdhsa_float_denorm_mode_32 3
		.amdhsa_float_denorm_mode_16_64 3
		.amdhsa_dx10_clamp 1
		.amdhsa_ieee_mode 1
		.amdhsa_fp16_overflow 0
		.amdhsa_workgroup_processor_mode 1
		.amdhsa_memory_ordered 1
		.amdhsa_forward_progress 0
		.amdhsa_shared_vgpr_count 0
		.amdhsa_exception_fp_ieee_invalid_op 0
		.amdhsa_exception_fp_denorm_src 0
		.amdhsa_exception_fp_ieee_div_zero 0
		.amdhsa_exception_fp_ieee_overflow 0
		.amdhsa_exception_fp_ieee_underflow 0
		.amdhsa_exception_fp_ieee_inexact 0
		.amdhsa_exception_int_div_zero 0
	.end_amdhsa_kernel
	.section	.text._ZN9rocsparseL20bsrxmvn_17_32_kernelILj19EfllaafEEvT2_20rocsparse_direction_NS_24const_host_device_scalarIT0_EES1_PKS1_PKT1_SA_S7_PKT3_PKT4_S5_PT5_21rocsparse_index_base_b,"axG",@progbits,_ZN9rocsparseL20bsrxmvn_17_32_kernelILj19EfllaafEEvT2_20rocsparse_direction_NS_24const_host_device_scalarIT0_EES1_PKS1_PKT1_SA_S7_PKT3_PKT4_S5_PT5_21rocsparse_index_base_b,comdat
.Lfunc_end274:
	.size	_ZN9rocsparseL20bsrxmvn_17_32_kernelILj19EfllaafEEvT2_20rocsparse_direction_NS_24const_host_device_scalarIT0_EES1_PKS1_PKT1_SA_S7_PKT3_PKT4_S5_PT5_21rocsparse_index_base_b, .Lfunc_end274-_ZN9rocsparseL20bsrxmvn_17_32_kernelILj19EfllaafEEvT2_20rocsparse_direction_NS_24const_host_device_scalarIT0_EES1_PKS1_PKT1_SA_S7_PKT3_PKT4_S5_PT5_21rocsparse_index_base_b
                                        ; -- End function
	.section	.AMDGPU.csdata,"",@progbits
; Kernel info:
; codeLenInByte = 1624
; NumSgprs: 26
; NumVgprs: 15
; ScratchSize: 0
; MemoryBound: 0
; FloatMode: 240
; IeeeMode: 1
; LDSByteSize: 1444 bytes/workgroup (compile time only)
; SGPRBlocks: 3
; VGPRBlocks: 1
; NumSGPRsForWavesPerEU: 26
; NumVGPRsForWavesPerEU: 15
; Occupancy: 15
; WaveLimiterHint : 1
; COMPUTE_PGM_RSRC2:SCRATCH_EN: 0
; COMPUTE_PGM_RSRC2:USER_SGPR: 15
; COMPUTE_PGM_RSRC2:TRAP_HANDLER: 0
; COMPUTE_PGM_RSRC2:TGID_X_EN: 1
; COMPUTE_PGM_RSRC2:TGID_Y_EN: 0
; COMPUTE_PGM_RSRC2:TGID_Z_EN: 0
; COMPUTE_PGM_RSRC2:TIDIG_COMP_CNT: 0
	.section	.text._ZN9rocsparseL20bsrxmvn_17_32_kernelILj20EfllaafEEvT2_20rocsparse_direction_NS_24const_host_device_scalarIT0_EES1_PKS1_PKT1_SA_S7_PKT3_PKT4_S5_PT5_21rocsparse_index_base_b,"axG",@progbits,_ZN9rocsparseL20bsrxmvn_17_32_kernelILj20EfllaafEEvT2_20rocsparse_direction_NS_24const_host_device_scalarIT0_EES1_PKS1_PKT1_SA_S7_PKT3_PKT4_S5_PT5_21rocsparse_index_base_b,comdat
	.globl	_ZN9rocsparseL20bsrxmvn_17_32_kernelILj20EfllaafEEvT2_20rocsparse_direction_NS_24const_host_device_scalarIT0_EES1_PKS1_PKT1_SA_S7_PKT3_PKT4_S5_PT5_21rocsparse_index_base_b ; -- Begin function _ZN9rocsparseL20bsrxmvn_17_32_kernelILj20EfllaafEEvT2_20rocsparse_direction_NS_24const_host_device_scalarIT0_EES1_PKS1_PKT1_SA_S7_PKT3_PKT4_S5_PT5_21rocsparse_index_base_b
	.p2align	8
	.type	_ZN9rocsparseL20bsrxmvn_17_32_kernelILj20EfllaafEEvT2_20rocsparse_direction_NS_24const_host_device_scalarIT0_EES1_PKS1_PKT1_SA_S7_PKT3_PKT4_S5_PT5_21rocsparse_index_base_b,@function
_ZN9rocsparseL20bsrxmvn_17_32_kernelILj20EfllaafEEvT2_20rocsparse_direction_NS_24const_host_device_scalarIT0_EES1_PKS1_PKT1_SA_S7_PKT3_PKT4_S5_PT5_21rocsparse_index_base_b: ; @_ZN9rocsparseL20bsrxmvn_17_32_kernelILj20EfllaafEEvT2_20rocsparse_direction_NS_24const_host_device_scalarIT0_EES1_PKS1_PKT1_SA_S7_PKT3_PKT4_S5_PT5_21rocsparse_index_base_b
; %bb.0:
	s_clause 0x2
	s_load_b64 s[16:17], s[0:1], 0x60
	s_load_b64 s[12:13], s[0:1], 0x10
	;; [unrolled: 1-line block ×3, first 2 shown]
	s_mov_b32 s10, s15
	s_waitcnt lgkmcnt(0)
	s_bitcmp1_b32 s17, 0
	s_cselect_b32 s2, -1, 0
	s_delay_alu instid0(SALU_CYCLE_1)
	s_and_b32 vcc_lo, exec_lo, s2
	s_xor_b32 s2, s2, -1
	s_cbranch_vccnz .LBB275_2
; %bb.1:
	s_load_b32 s12, s[12:13], 0x0
.LBB275_2:
	s_and_not1_b32 vcc_lo, exec_lo, s2
	s_cbranch_vccnz .LBB275_4
; %bb.3:
	s_load_b32 s8, s[8:9], 0x0
.LBB275_4:
	s_waitcnt lgkmcnt(0)
	v_cmp_neq_f32_e64 s2, s12, 0
	v_cmp_neq_f32_e64 s3, s8, 1.0
	s_mov_b32 s11, 0
	s_delay_alu instid0(VALU_DEP_1) | instskip(NEXT) | instid1(SALU_CYCLE_1)
	s_or_b32 s2, s2, s3
	s_and_not1_b32 vcc_lo, exec_lo, s2
	s_cbranch_vccnz .LBB275_42
; %bb.5:
	s_clause 0x1
	s_load_b128 s[4:7], s[0:1], 0x20
	s_load_b64 s[14:15], s[0:1], 0x30
	s_waitcnt lgkmcnt(0)
	s_cmp_eq_u64 s[4:5], 0
	s_cbranch_scc1 .LBB275_7
; %bb.6:
	s_lshl_b64 s[2:3], s[10:11], 3
	s_delay_alu instid0(SALU_CYCLE_1)
	s_add_u32 s2, s4, s2
	s_addc_u32 s3, s5, s3
	s_load_b64 s[2:3], s[2:3], 0x0
	s_waitcnt lgkmcnt(0)
	s_sub_u32 s10, s2, s16
	s_subb_u32 s11, s3, 0
.LBB275_7:
	s_load_b32 s3, s[0:1], 0x8
	v_mul_u32_u24_e32 v1, 0xccd, v0
	v_mov_b32_e32 v7, 0
	s_delay_alu instid0(VALU_DEP_2) | instskip(NEXT) | instid1(VALU_DEP_1)
	v_lshrrev_b32_e32 v1, 16, v1
	v_mul_lo_u16 v2, v1, 20
	s_delay_alu instid0(VALU_DEP_1)
	v_sub_nc_u16 v8, v0, v2
	s_waitcnt lgkmcnt(0)
	s_cmp_eq_u32 s3, 1
	s_cselect_b32 s2, -1, 0
	s_cmp_lg_u32 s3, 1
	s_cselect_b32 s3, -1, 0
	s_lshl_b64 s[4:5], s[10:11], 3
	s_delay_alu instid0(SALU_CYCLE_1)
	s_add_u32 s6, s6, s4
	s_addc_u32 s7, s7, s5
	s_add_u32 s9, s6, 8
	s_addc_u32 s13, s7, 0
	;; [unrolled: 2-line block ×3, first 2 shown]
	s_cmp_eq_u64 s[14:15], 0
	s_load_b64 s[14:15], s[0:1], 0x58
	s_cselect_b32 s5, s13, s5
	s_cselect_b32 s4, s9, s4
	s_load_b64 s[20:21], s[6:7], 0x0
	s_load_b64 s[18:19], s[4:5], 0x0
	s_waitcnt lgkmcnt(0)
	v_cmp_ge_i64_e64 s4, s[20:21], s[18:19]
	s_delay_alu instid0(VALU_DEP_1)
	s_and_b32 vcc_lo, exec_lo, s4
	s_cbranch_vccnz .LBB275_12
; %bb.8:
	v_mul_lo_u16 v2, v1, 13
	v_and_b32_e32 v3, 0xffff, v0
	s_clause 0x1
	s_load_b128 s[4:7], s[0:1], 0x38
	s_load_b64 s[22:23], s[0:1], 0x48
	s_sub_u32 s0, s18, s16
	s_subb_u32 s1, s19, 0
	v_lshrrev_b16 v2, 8, v2
	v_mul_u32_u24_e32 v3, 0xa4, v3
	s_sub_u32 s18, s20, s16
	v_dual_mov_b32 v7, 0 :: v_dual_and_b32 v4, 0xffff, v8
	s_delay_alu instid0(VALU_DEP_3) | instskip(NEXT) | instid1(VALU_DEP_3)
	v_mul_lo_u16 v2, v2, 20
	v_lshrrev_b32_e32 v9, 16, v3
	s_subb_u32 s19, s21, 0
	s_mul_hi_u32 s9, s18, 0x190
	s_mul_i32 s17, s19, 0x190
	v_sub_nc_u16 v1, v1, v2
	v_add_co_u32 v2, s20, s20, v9
	s_delay_alu instid0(VALU_DEP_1) | instskip(NEXT) | instid1(VALU_DEP_3)
	v_add_co_ci_u32_e64 v5, null, s21, 0, s20
	v_and_b32_e32 v1, 0xff, v1
	s_delay_alu instid0(VALU_DEP_3) | instskip(SKIP_2) | instid1(VALU_DEP_2)
	v_sub_co_u32 v3, vcc_lo, v2, s16
	s_mul_i32 s13, s18, 0x190
	s_add_i32 s9, s9, s17
	v_cndmask_b32_e64 v1, v4, v1, s2
	v_subrev_co_ci_u32_e32 v4, vcc_lo, 0, v5, vcc_lo
	s_waitcnt lgkmcnt(0)
	s_delay_alu instid0(VALU_DEP_2) | instskip(NEXT) | instid1(VALU_DEP_2)
	v_add_co_u32 v1, s2, s22, v1
	v_lshlrev_b64 v[5:6], 3, v[3:4]
	v_add_co_ci_u32_e64 v2, null, s23, 0, s2
	s_add_u32 s2, s6, s13
	s_addc_u32 s6, s7, s9
	v_add_co_u32 v3, s2, s2, v0
	s_delay_alu instid0(VALU_DEP_3)
	v_add_co_u32 v5, vcc_lo, s4, v5
	v_add_co_ci_u32_e64 v4, null, s6, 0, s2
	v_add_co_ci_u32_e32 v6, vcc_lo, s5, v6, vcc_lo
	s_set_inst_prefetch_distance 0x1
	s_branch .LBB275_10
	.p2align	6
.LBB275_9:                              ;   in Loop: Header=BB275_10 Depth=1
	s_or_b32 exec_lo, exec_lo, s2
	s_add_u32 s18, s18, 1
	s_addc_u32 s19, s19, 0
	v_add_co_u32 v5, vcc_lo, v5, 8
	v_cmp_lt_i64_e64 s2, s[18:19], s[0:1]
	v_add_co_ci_u32_e32 v6, vcc_lo, 0, v6, vcc_lo
	s_delay_alu instid0(VALU_DEP_2)
	s_and_b32 vcc_lo, exec_lo, s2
	s_cbranch_vccz .LBB275_12
.LBB275_10:                             ; =>This Inner Loop Header: Depth=1
	v_add_co_u32 v10, s2, v9, s18
	s_delay_alu instid0(VALU_DEP_1) | instskip(SKIP_1) | instid1(VALU_DEP_1)
	v_add_co_ci_u32_e64 v11, null, 0, s19, s2
	s_mov_b32 s2, exec_lo
	v_cmpx_gt_i64_e64 s[0:1], v[10:11]
	s_cbranch_execz .LBB275_9
; %bb.11:                               ;   in Loop: Header=BB275_10 Depth=1
	global_load_b64 v[10:11], v[5:6], off
	s_waitcnt vmcnt(0)
	v_sub_co_u32 v12, vcc_lo, v10, s16
	v_subrev_co_ci_u32_e32 v14, vcc_lo, 0, v11, vcc_lo
	s_delay_alu instid0(VALU_DEP_2) | instskip(NEXT) | instid1(VALU_DEP_1)
	v_mad_u64_u32 v[10:11], null, v12, 20, v[1:2]
	v_mad_u64_u32 v[12:13], null, v14, 20, v[11:12]
	s_delay_alu instid0(VALU_DEP_1)
	v_mov_b32_e32 v11, v12
	global_load_i8 v12, v[3:4], off
	global_load_i8 v10, v[10:11], off
	v_add_co_u32 v3, vcc_lo, 0x190, v3
	v_add_co_ci_u32_e32 v4, vcc_lo, 0, v4, vcc_lo
	s_waitcnt vmcnt(1)
	v_cvt_f32_i32_e32 v11, v12
	s_waitcnt vmcnt(0)
	v_cvt_f32_i32_e32 v10, v10
	s_delay_alu instid0(VALU_DEP_1)
	v_fmac_f32_e32 v7, v11, v10
	s_branch .LBB275_9
.LBB275_12:
	s_set_inst_prefetch_distance 0x2
	v_lshlrev_b32_e32 v1, 2, v0
	s_and_b32 vcc_lo, exec_lo, s3
	ds_store_b32 v1, v7
	s_waitcnt lgkmcnt(0)
	s_barrier
	buffer_gl0_inv
	s_cbranch_vccz .LBB275_24
; %bb.13:
	v_cmp_gt_u16_e32 vcc_lo, 4, v8
	s_and_saveexec_b32 s0, vcc_lo
	s_cbranch_execz .LBB275_15
; %bb.14:
	ds_load_2addr_b32 v[2:3], v1 offset1:16
	s_waitcnt lgkmcnt(0)
	v_add_f32_e32 v2, v3, v2
	ds_store_b32 v1, v2
.LBB275_15:
	s_or_b32 exec_lo, exec_lo, s0
	s_delay_alu instid0(SALU_CYCLE_1)
	s_mov_b32 s1, exec_lo
	s_waitcnt lgkmcnt(0)
	s_barrier
	buffer_gl0_inv
	v_cmpx_gt_u16_e32 8, v8
	s_cbranch_execz .LBB275_17
; %bb.16:
	ds_load_2addr_b32 v[2:3], v1 offset1:8
	s_waitcnt lgkmcnt(0)
	v_add_f32_e32 v2, v3, v2
	ds_store_b32 v1, v2
.LBB275_17:
	s_or_b32 exec_lo, exec_lo, s1
	s_waitcnt lgkmcnt(0)
	s_barrier
	buffer_gl0_inv
	s_and_saveexec_b32 s0, vcc_lo
	s_cbranch_execz .LBB275_19
; %bb.18:
	ds_load_2addr_b32 v[2:3], v1 offset1:4
	s_waitcnt lgkmcnt(0)
	v_add_f32_e32 v2, v3, v2
	ds_store_b32 v1, v2
.LBB275_19:
	s_or_b32 exec_lo, exec_lo, s0
	s_delay_alu instid0(SALU_CYCLE_1)
	s_mov_b32 s0, exec_lo
	s_waitcnt lgkmcnt(0)
	s_barrier
	buffer_gl0_inv
	v_cmpx_gt_u16_e32 2, v8
	s_cbranch_execz .LBB275_21
; %bb.20:
	ds_load_2addr_b32 v[2:3], v1 offset1:2
	s_waitcnt lgkmcnt(0)
	v_add_f32_e32 v2, v3, v2
	ds_store_b32 v1, v2
.LBB275_21:
	s_or_b32 exec_lo, exec_lo, s0
	s_mov_b32 s0, 0
	s_mov_b32 s1, 0
	s_mov_b32 s2, exec_lo
	s_waitcnt lgkmcnt(0)
	s_barrier
	buffer_gl0_inv
                                        ; implicit-def: $vgpr2
                                        ; implicit-def: $vgpr3
	v_cmpx_gt_u32_e32 20, v0
	s_xor_b32 s2, exec_lo, s2
; %bb.22:
	v_mul_u32_u24_e32 v2, 20, v0
	v_mad_u32_u24 v3, 0x4c, v0, v1
	s_mov_b32 s1, exec_lo
	s_delay_alu instid0(VALU_DEP_2)
	v_or_b32_e32 v2, 1, v2
; %bb.23:
	s_or_b32 exec_lo, exec_lo, s2
	s_delay_alu instid0(SALU_CYCLE_1)
	s_and_b32 vcc_lo, exec_lo, s0
	s_cbranch_vccnz .LBB275_25
	s_branch .LBB275_36
.LBB275_24:
	s_mov_b32 s1, 0
                                        ; implicit-def: $vgpr2
                                        ; implicit-def: $vgpr3
	s_cbranch_execz .LBB275_36
.LBB275_25:
	v_cmp_gt_u32_e32 vcc_lo, 0x50, v0
	s_and_saveexec_b32 s0, vcc_lo
	s_cbranch_execz .LBB275_27
; %bb.26:
	ds_load_2addr_stride64_b32 v[2:3], v1 offset1:5
	s_waitcnt lgkmcnt(0)
	v_add_f32_e32 v2, v3, v2
	ds_store_b32 v1, v2
.LBB275_27:
	s_or_b32 exec_lo, exec_lo, s0
	s_delay_alu instid0(SALU_CYCLE_1)
	s_mov_b32 s2, exec_lo
	s_waitcnt lgkmcnt(0)
	s_barrier
	buffer_gl0_inv
	v_cmpx_gt_u32_e32 0xa0, v0
	s_cbranch_execz .LBB275_29
; %bb.28:
	ds_load_2addr_b32 v[2:3], v1 offset1:160
	s_waitcnt lgkmcnt(0)
	v_add_f32_e32 v2, v3, v2
	ds_store_b32 v1, v2
.LBB275_29:
	s_or_b32 exec_lo, exec_lo, s2
	s_waitcnt lgkmcnt(0)
	s_barrier
	buffer_gl0_inv
	s_and_saveexec_b32 s0, vcc_lo
	s_cbranch_execz .LBB275_31
; %bb.30:
	ds_load_2addr_b32 v[2:3], v1 offset1:80
	s_waitcnt lgkmcnt(0)
	v_add_f32_e32 v2, v3, v2
	ds_store_b32 v1, v2
.LBB275_31:
	s_or_b32 exec_lo, exec_lo, s0
	s_delay_alu instid0(SALU_CYCLE_1)
	s_mov_b32 s0, exec_lo
	s_waitcnt lgkmcnt(0)
	s_barrier
	buffer_gl0_inv
	v_cmpx_gt_u32_e32 40, v0
	s_cbranch_execz .LBB275_33
; %bb.32:
	ds_load_2addr_b32 v[2:3], v1 offset1:40
	s_waitcnt lgkmcnt(0)
	v_add_f32_e32 v2, v3, v2
	ds_store_b32 v1, v2
.LBB275_33:
	s_or_b32 exec_lo, exec_lo, s0
	s_delay_alu instid0(SALU_CYCLE_1)
	s_mov_b32 s0, exec_lo
	s_waitcnt lgkmcnt(0)
	buffer_gl0_inv
                                        ; implicit-def: $vgpr2
	v_cmpx_gt_u32_e32 20, v0
; %bb.34:
	v_add_nc_u32_e32 v2, 20, v0
	s_or_b32 s1, s1, exec_lo
                                        ; implicit-def: $vgpr7
; %bb.35:
	s_or_b32 exec_lo, exec_lo, s0
	v_mov_b32_e32 v3, v1
.LBB275_36:
	s_and_saveexec_b32 s0, s1
	s_cbranch_execz .LBB275_38
; %bb.37:
	v_lshlrev_b32_e32 v1, 2, v2
	ds_load_b32 v2, v3
	ds_load_b32 v1, v1
	s_waitcnt lgkmcnt(0)
	v_add_f32_e32 v7, v2, v1
.LBB275_38:
	s_or_b32 exec_lo, exec_lo, s0
	s_delay_alu instid0(SALU_CYCLE_1)
	s_mov_b32 s0, exec_lo
	v_cmpx_gt_u32_e32 20, v0
	s_cbranch_execz .LBB275_42
; %bb.39:
	v_cmp_eq_f32_e64 s1, s8, 0
	v_mul_f32_e32 v1, s12, v7
	s_mov_b32 s3, 0
	s_mul_i32 s0, s11, 0x50
	s_mul_i32 s2, s10, 0x50
	s_and_b32 vcc_lo, exec_lo, s1
	s_mul_hi_u32 s1, s10, 0x50
	s_cbranch_vccz .LBB275_43
; %bb.40:
	v_lshlrev_b32_e32 v2, 2, v0
	s_add_i32 s5, s1, s0
	s_add_u32 s4, s14, s2
	s_addc_u32 s5, s15, s5
	global_store_b32 v2, v1, s[4:5]
	s_and_not1_b32 vcc_lo, exec_lo, s3
	s_cbranch_vccnz .LBB275_42
.LBB275_41:
	v_lshlrev_b32_e32 v0, 2, v0
	s_add_i32 s1, s1, s0
	s_add_u32 s0, s14, s2
	s_addc_u32 s1, s15, s1
	global_load_b32 v2, v0, s[0:1]
	s_waitcnt vmcnt(0)
	v_fmac_f32_e32 v1, s8, v2
	global_store_b32 v0, v1, s[0:1]
.LBB275_42:
	s_nop 0
	s_sendmsg sendmsg(MSG_DEALLOC_VGPRS)
	s_endpgm
.LBB275_43:
	s_branch .LBB275_41
	.section	.rodata,"a",@progbits
	.p2align	6, 0x0
	.amdhsa_kernel _ZN9rocsparseL20bsrxmvn_17_32_kernelILj20EfllaafEEvT2_20rocsparse_direction_NS_24const_host_device_scalarIT0_EES1_PKS1_PKT1_SA_S7_PKT3_PKT4_S5_PT5_21rocsparse_index_base_b
		.amdhsa_group_segment_fixed_size 1600
		.amdhsa_private_segment_fixed_size 0
		.amdhsa_kernarg_size 104
		.amdhsa_user_sgpr_count 15
		.amdhsa_user_sgpr_dispatch_ptr 0
		.amdhsa_user_sgpr_queue_ptr 0
		.amdhsa_user_sgpr_kernarg_segment_ptr 1
		.amdhsa_user_sgpr_dispatch_id 0
		.amdhsa_user_sgpr_private_segment_size 0
		.amdhsa_wavefront_size32 1
		.amdhsa_uses_dynamic_stack 0
		.amdhsa_enable_private_segment 0
		.amdhsa_system_sgpr_workgroup_id_x 1
		.amdhsa_system_sgpr_workgroup_id_y 0
		.amdhsa_system_sgpr_workgroup_id_z 0
		.amdhsa_system_sgpr_workgroup_info 0
		.amdhsa_system_vgpr_workitem_id 0
		.amdhsa_next_free_vgpr 15
		.amdhsa_next_free_sgpr 24
		.amdhsa_reserve_vcc 1
		.amdhsa_float_round_mode_32 0
		.amdhsa_float_round_mode_16_64 0
		.amdhsa_float_denorm_mode_32 3
		.amdhsa_float_denorm_mode_16_64 3
		.amdhsa_dx10_clamp 1
		.amdhsa_ieee_mode 1
		.amdhsa_fp16_overflow 0
		.amdhsa_workgroup_processor_mode 1
		.amdhsa_memory_ordered 1
		.amdhsa_forward_progress 0
		.amdhsa_shared_vgpr_count 0
		.amdhsa_exception_fp_ieee_invalid_op 0
		.amdhsa_exception_fp_denorm_src 0
		.amdhsa_exception_fp_ieee_div_zero 0
		.amdhsa_exception_fp_ieee_overflow 0
		.amdhsa_exception_fp_ieee_underflow 0
		.amdhsa_exception_fp_ieee_inexact 0
		.amdhsa_exception_int_div_zero 0
	.end_amdhsa_kernel
	.section	.text._ZN9rocsparseL20bsrxmvn_17_32_kernelILj20EfllaafEEvT2_20rocsparse_direction_NS_24const_host_device_scalarIT0_EES1_PKS1_PKT1_SA_S7_PKT3_PKT4_S5_PT5_21rocsparse_index_base_b,"axG",@progbits,_ZN9rocsparseL20bsrxmvn_17_32_kernelILj20EfllaafEEvT2_20rocsparse_direction_NS_24const_host_device_scalarIT0_EES1_PKS1_PKT1_SA_S7_PKT3_PKT4_S5_PT5_21rocsparse_index_base_b,comdat
.Lfunc_end275:
	.size	_ZN9rocsparseL20bsrxmvn_17_32_kernelILj20EfllaafEEvT2_20rocsparse_direction_NS_24const_host_device_scalarIT0_EES1_PKS1_PKT1_SA_S7_PKT3_PKT4_S5_PT5_21rocsparse_index_base_b, .Lfunc_end275-_ZN9rocsparseL20bsrxmvn_17_32_kernelILj20EfllaafEEvT2_20rocsparse_direction_NS_24const_host_device_scalarIT0_EES1_PKS1_PKT1_SA_S7_PKT3_PKT4_S5_PT5_21rocsparse_index_base_b
                                        ; -- End function
	.section	.AMDGPU.csdata,"",@progbits
; Kernel info:
; codeLenInByte = 1604
; NumSgprs: 26
; NumVgprs: 15
; ScratchSize: 0
; MemoryBound: 0
; FloatMode: 240
; IeeeMode: 1
; LDSByteSize: 1600 bytes/workgroup (compile time only)
; SGPRBlocks: 3
; VGPRBlocks: 1
; NumSGPRsForWavesPerEU: 26
; NumVGPRsForWavesPerEU: 15
; Occupancy: 13
; WaveLimiterHint : 1
; COMPUTE_PGM_RSRC2:SCRATCH_EN: 0
; COMPUTE_PGM_RSRC2:USER_SGPR: 15
; COMPUTE_PGM_RSRC2:TRAP_HANDLER: 0
; COMPUTE_PGM_RSRC2:TGID_X_EN: 1
; COMPUTE_PGM_RSRC2:TGID_Y_EN: 0
; COMPUTE_PGM_RSRC2:TGID_Z_EN: 0
; COMPUTE_PGM_RSRC2:TIDIG_COMP_CNT: 0
	.section	.text._ZN9rocsparseL20bsrxmvn_17_32_kernelILj21EfllaafEEvT2_20rocsparse_direction_NS_24const_host_device_scalarIT0_EES1_PKS1_PKT1_SA_S7_PKT3_PKT4_S5_PT5_21rocsparse_index_base_b,"axG",@progbits,_ZN9rocsparseL20bsrxmvn_17_32_kernelILj21EfllaafEEvT2_20rocsparse_direction_NS_24const_host_device_scalarIT0_EES1_PKS1_PKT1_SA_S7_PKT3_PKT4_S5_PT5_21rocsparse_index_base_b,comdat
	.globl	_ZN9rocsparseL20bsrxmvn_17_32_kernelILj21EfllaafEEvT2_20rocsparse_direction_NS_24const_host_device_scalarIT0_EES1_PKS1_PKT1_SA_S7_PKT3_PKT4_S5_PT5_21rocsparse_index_base_b ; -- Begin function _ZN9rocsparseL20bsrxmvn_17_32_kernelILj21EfllaafEEvT2_20rocsparse_direction_NS_24const_host_device_scalarIT0_EES1_PKS1_PKT1_SA_S7_PKT3_PKT4_S5_PT5_21rocsparse_index_base_b
	.p2align	8
	.type	_ZN9rocsparseL20bsrxmvn_17_32_kernelILj21EfllaafEEvT2_20rocsparse_direction_NS_24const_host_device_scalarIT0_EES1_PKS1_PKT1_SA_S7_PKT3_PKT4_S5_PT5_21rocsparse_index_base_b,@function
_ZN9rocsparseL20bsrxmvn_17_32_kernelILj21EfllaafEEvT2_20rocsparse_direction_NS_24const_host_device_scalarIT0_EES1_PKS1_PKT1_SA_S7_PKT3_PKT4_S5_PT5_21rocsparse_index_base_b: ; @_ZN9rocsparseL20bsrxmvn_17_32_kernelILj21EfllaafEEvT2_20rocsparse_direction_NS_24const_host_device_scalarIT0_EES1_PKS1_PKT1_SA_S7_PKT3_PKT4_S5_PT5_21rocsparse_index_base_b
; %bb.0:
	s_clause 0x2
	s_load_b64 s[16:17], s[0:1], 0x60
	s_load_b64 s[12:13], s[0:1], 0x10
	;; [unrolled: 1-line block ×3, first 2 shown]
	s_mov_b32 s10, s15
	s_waitcnt lgkmcnt(0)
	s_bitcmp1_b32 s17, 0
	s_cselect_b32 s2, -1, 0
	s_delay_alu instid0(SALU_CYCLE_1)
	s_and_b32 vcc_lo, exec_lo, s2
	s_xor_b32 s2, s2, -1
	s_cbranch_vccnz .LBB276_2
; %bb.1:
	s_load_b32 s12, s[12:13], 0x0
.LBB276_2:
	s_and_not1_b32 vcc_lo, exec_lo, s2
	s_cbranch_vccnz .LBB276_4
; %bb.3:
	s_load_b32 s8, s[8:9], 0x0
.LBB276_4:
	s_waitcnt lgkmcnt(0)
	v_cmp_neq_f32_e64 s2, s12, 0
	v_cmp_neq_f32_e64 s3, s8, 1.0
	s_mov_b32 s11, 0
	s_delay_alu instid0(VALU_DEP_1) | instskip(NEXT) | instid1(SALU_CYCLE_1)
	s_or_b32 s2, s2, s3
	s_and_not1_b32 vcc_lo, exec_lo, s2
	s_cbranch_vccnz .LBB276_42
; %bb.5:
	s_clause 0x1
	s_load_b128 s[4:7], s[0:1], 0x20
	s_load_b64 s[14:15], s[0:1], 0x30
	s_waitcnt lgkmcnt(0)
	s_cmp_eq_u64 s[4:5], 0
	s_cbranch_scc1 .LBB276_7
; %bb.6:
	s_lshl_b64 s[2:3], s[10:11], 3
	s_delay_alu instid0(SALU_CYCLE_1)
	s_add_u32 s2, s4, s2
	s_addc_u32 s3, s5, s3
	s_load_b64 s[2:3], s[2:3], 0x0
	s_waitcnt lgkmcnt(0)
	s_sub_u32 s10, s2, s16
	s_subb_u32 s11, s3, 0
.LBB276_7:
	s_load_b32 s3, s[0:1], 0x8
	v_mul_u32_u24_e32 v1, 0xc31, v0
	v_mov_b32_e32 v7, 0
	s_delay_alu instid0(VALU_DEP_2) | instskip(NEXT) | instid1(VALU_DEP_1)
	v_lshrrev_b32_e32 v1, 16, v1
	v_mul_lo_u16 v2, v1, 21
	s_delay_alu instid0(VALU_DEP_1)
	v_sub_nc_u16 v8, v0, v2
	s_waitcnt lgkmcnt(0)
	s_cmp_eq_u32 s3, 1
	s_cselect_b32 s2, -1, 0
	s_cmp_lg_u32 s3, 1
	s_cselect_b32 s3, -1, 0
	s_lshl_b64 s[4:5], s[10:11], 3
	s_delay_alu instid0(SALU_CYCLE_1)
	s_add_u32 s6, s6, s4
	s_addc_u32 s7, s7, s5
	s_add_u32 s9, s6, 8
	s_addc_u32 s13, s7, 0
	;; [unrolled: 2-line block ×3, first 2 shown]
	s_cmp_eq_u64 s[14:15], 0
	s_load_b64 s[14:15], s[0:1], 0x58
	s_cselect_b32 s5, s13, s5
	s_cselect_b32 s4, s9, s4
	s_load_b64 s[20:21], s[6:7], 0x0
	s_load_b64 s[18:19], s[4:5], 0x0
	s_waitcnt lgkmcnt(0)
	v_cmp_ge_i64_e64 s4, s[20:21], s[18:19]
	s_delay_alu instid0(VALU_DEP_1)
	s_and_b32 vcc_lo, exec_lo, s4
	s_cbranch_vccnz .LBB276_12
; %bb.8:
	v_mul_lo_u16 v2, v1, 25
	v_and_b32_e32 v3, 0xffff, v0
	s_clause 0x1
	s_load_b128 s[4:7], s[0:1], 0x38
	s_load_b64 s[22:23], s[0:1], 0x48
	s_sub_u32 s0, s18, s16
	s_subb_u32 s1, s19, 0
	v_lshrrev_b16 v2, 9, v2
	v_mul_u32_u24_e32 v3, 0x253, v3
	s_sub_u32 s18, s20, s16
	v_dual_mov_b32 v7, 0 :: v_dual_and_b32 v4, 0xffff, v8
	s_delay_alu instid0(VALU_DEP_3) | instskip(NEXT) | instid1(VALU_DEP_3)
	v_mul_lo_u16 v2, v2, 21
	v_lshrrev_b32_e32 v9, 18, v3
	s_subb_u32 s19, s21, 0
	s_mul_hi_u32 s9, s18, 0x1b9
	s_mul_i32 s17, s19, 0x1b9
	v_sub_nc_u16 v1, v1, v2
	v_add_co_u32 v2, s20, s20, v9
	s_delay_alu instid0(VALU_DEP_1) | instskip(NEXT) | instid1(VALU_DEP_3)
	v_add_co_ci_u32_e64 v5, null, s21, 0, s20
	v_and_b32_e32 v1, 0xff, v1
	s_delay_alu instid0(VALU_DEP_3) | instskip(SKIP_2) | instid1(VALU_DEP_2)
	v_sub_co_u32 v3, vcc_lo, v2, s16
	s_mul_i32 s13, s18, 0x1b9
	s_add_i32 s9, s9, s17
	v_cndmask_b32_e64 v1, v4, v1, s2
	v_subrev_co_ci_u32_e32 v4, vcc_lo, 0, v5, vcc_lo
	s_waitcnt lgkmcnt(0)
	s_delay_alu instid0(VALU_DEP_2) | instskip(NEXT) | instid1(VALU_DEP_2)
	v_add_co_u32 v1, s2, s22, v1
	v_lshlrev_b64 v[5:6], 3, v[3:4]
	v_add_co_ci_u32_e64 v2, null, s23, 0, s2
	s_add_u32 s2, s6, s13
	s_addc_u32 s6, s7, s9
	v_add_co_u32 v3, s2, s2, v0
	s_delay_alu instid0(VALU_DEP_3)
	v_add_co_u32 v5, vcc_lo, s4, v5
	v_add_co_ci_u32_e64 v4, null, s6, 0, s2
	v_add_co_ci_u32_e32 v6, vcc_lo, s5, v6, vcc_lo
	s_set_inst_prefetch_distance 0x1
	s_branch .LBB276_10
	.p2align	6
.LBB276_9:                              ;   in Loop: Header=BB276_10 Depth=1
	s_or_b32 exec_lo, exec_lo, s2
	s_add_u32 s18, s18, 1
	s_addc_u32 s19, s19, 0
	v_add_co_u32 v5, vcc_lo, v5, 8
	v_cmp_lt_i64_e64 s2, s[18:19], s[0:1]
	v_add_co_ci_u32_e32 v6, vcc_lo, 0, v6, vcc_lo
	s_delay_alu instid0(VALU_DEP_2)
	s_and_b32 vcc_lo, exec_lo, s2
	s_cbranch_vccz .LBB276_12
.LBB276_10:                             ; =>This Inner Loop Header: Depth=1
	v_add_co_u32 v10, s2, v9, s18
	s_delay_alu instid0(VALU_DEP_1) | instskip(SKIP_1) | instid1(VALU_DEP_1)
	v_add_co_ci_u32_e64 v11, null, 0, s19, s2
	s_mov_b32 s2, exec_lo
	v_cmpx_gt_i64_e64 s[0:1], v[10:11]
	s_cbranch_execz .LBB276_9
; %bb.11:                               ;   in Loop: Header=BB276_10 Depth=1
	global_load_b64 v[10:11], v[5:6], off
	s_waitcnt vmcnt(0)
	v_sub_co_u32 v12, vcc_lo, v10, s16
	v_subrev_co_ci_u32_e32 v14, vcc_lo, 0, v11, vcc_lo
	s_delay_alu instid0(VALU_DEP_2) | instskip(NEXT) | instid1(VALU_DEP_1)
	v_mad_u64_u32 v[10:11], null, v12, 21, v[1:2]
	v_mad_u64_u32 v[12:13], null, v14, 21, v[11:12]
	s_delay_alu instid0(VALU_DEP_1)
	v_mov_b32_e32 v11, v12
	global_load_i8 v12, v[3:4], off
	global_load_i8 v10, v[10:11], off
	v_add_co_u32 v3, vcc_lo, 0x1b9, v3
	v_add_co_ci_u32_e32 v4, vcc_lo, 0, v4, vcc_lo
	s_waitcnt vmcnt(1)
	v_cvt_f32_i32_e32 v11, v12
	s_waitcnt vmcnt(0)
	v_cvt_f32_i32_e32 v10, v10
	s_delay_alu instid0(VALU_DEP_1)
	v_fmac_f32_e32 v7, v11, v10
	s_branch .LBB276_9
.LBB276_12:
	s_set_inst_prefetch_distance 0x2
	v_lshlrev_b32_e32 v1, 2, v0
	s_and_b32 vcc_lo, exec_lo, s3
	ds_store_b32 v1, v7
	s_waitcnt lgkmcnt(0)
	s_barrier
	buffer_gl0_inv
	s_cbranch_vccz .LBB276_24
; %bb.13:
	s_mov_b32 s0, exec_lo
	v_cmpx_gt_u16_e32 5, v8
	s_cbranch_execz .LBB276_15
; %bb.14:
	ds_load_2addr_b32 v[2:3], v1 offset1:16
	s_waitcnt lgkmcnt(0)
	v_add_f32_e32 v2, v3, v2
	ds_store_b32 v1, v2
.LBB276_15:
	s_or_b32 exec_lo, exec_lo, s0
	s_delay_alu instid0(SALU_CYCLE_1)
	s_mov_b32 s0, exec_lo
	s_waitcnt lgkmcnt(0)
	s_barrier
	buffer_gl0_inv
	v_cmpx_gt_u16_e32 8, v8
	s_cbranch_execz .LBB276_17
; %bb.16:
	ds_load_2addr_b32 v[2:3], v1 offset1:8
	s_waitcnt lgkmcnt(0)
	v_add_f32_e32 v2, v3, v2
	ds_store_b32 v1, v2
.LBB276_17:
	s_or_b32 exec_lo, exec_lo, s0
	s_delay_alu instid0(SALU_CYCLE_1)
	s_mov_b32 s0, exec_lo
	s_waitcnt lgkmcnt(0)
	s_barrier
	buffer_gl0_inv
	;; [unrolled: 14-line block ×3, first 2 shown]
	v_cmpx_gt_u16_e32 2, v8
	s_cbranch_execz .LBB276_21
; %bb.20:
	ds_load_2addr_b32 v[2:3], v1 offset1:2
	s_waitcnt lgkmcnt(0)
	v_add_f32_e32 v2, v3, v2
	ds_store_b32 v1, v2
.LBB276_21:
	s_or_b32 exec_lo, exec_lo, s0
	s_mov_b32 s1, 0
	s_mov_b32 s0, 0
	s_mov_b32 s2, exec_lo
	s_waitcnt lgkmcnt(0)
	s_barrier
	buffer_gl0_inv
                                        ; implicit-def: $vgpr2
                                        ; implicit-def: $vgpr3
	v_cmpx_gt_u32_e32 21, v0
	s_xor_b32 s2, exec_lo, s2
; %bb.22:
	v_mad_u32_u24 v2, v0, 21, 1
	v_mad_u32_u24 v3, 0x50, v0, v1
	s_mov_b32 s0, exec_lo
; %bb.23:
	s_or_b32 exec_lo, exec_lo, s2
	s_delay_alu instid0(SALU_CYCLE_1)
	s_and_b32 vcc_lo, exec_lo, s1
	s_cbranch_vccnz .LBB276_25
	s_branch .LBB276_36
.LBB276_24:
	s_mov_b32 s0, 0
                                        ; implicit-def: $vgpr2
                                        ; implicit-def: $vgpr3
	s_cbranch_execz .LBB276_36
.LBB276_25:
	s_mov_b32 s1, exec_lo
	v_cmpx_gt_u32_e32 0x69, v0
	s_cbranch_execz .LBB276_27
; %bb.26:
	ds_load_b32 v2, v1 offset:1344
	ds_load_b32 v3, v1
	s_waitcnt lgkmcnt(0)
	v_add_f32_e32 v2, v2, v3
	ds_store_b32 v1, v2
.LBB276_27:
	s_or_b32 exec_lo, exec_lo, s1
	s_delay_alu instid0(SALU_CYCLE_1)
	s_mov_b32 s1, exec_lo
	s_waitcnt lgkmcnt(0)
	s_barrier
	buffer_gl0_inv
	v_cmpx_gt_u32_e32 0xa8, v0
	s_cbranch_execz .LBB276_29
; %bb.28:
	ds_load_2addr_b32 v[2:3], v1 offset1:168
	s_waitcnt lgkmcnt(0)
	v_add_f32_e32 v2, v3, v2
	ds_store_b32 v1, v2
.LBB276_29:
	s_or_b32 exec_lo, exec_lo, s1
	s_delay_alu instid0(SALU_CYCLE_1)
	s_mov_b32 s1, exec_lo
	s_waitcnt lgkmcnt(0)
	s_barrier
	buffer_gl0_inv
	v_cmpx_gt_u32_e32 0x54, v0
	s_cbranch_execz .LBB276_31
; %bb.30:
	ds_load_2addr_b32 v[2:3], v1 offset1:84
	s_waitcnt lgkmcnt(0)
	v_add_f32_e32 v2, v3, v2
	ds_store_b32 v1, v2
.LBB276_31:
	;; [unrolled: 14-line block ×3, first 2 shown]
	s_or_b32 exec_lo, exec_lo, s1
	s_delay_alu instid0(SALU_CYCLE_1)
	s_mov_b32 s1, exec_lo
	s_waitcnt lgkmcnt(0)
	buffer_gl0_inv
                                        ; implicit-def: $vgpr2
	v_cmpx_gt_u32_e32 21, v0
; %bb.34:
	v_add_nc_u32_e32 v2, 21, v0
	s_or_b32 s0, s0, exec_lo
                                        ; implicit-def: $vgpr7
; %bb.35:
	s_or_b32 exec_lo, exec_lo, s1
	v_mov_b32_e32 v3, v1
.LBB276_36:
	s_and_saveexec_b32 s1, s0
	s_cbranch_execz .LBB276_38
; %bb.37:
	v_lshlrev_b32_e32 v1, 2, v2
	ds_load_b32 v2, v3
	ds_load_b32 v1, v1
	s_waitcnt lgkmcnt(0)
	v_add_f32_e32 v7, v2, v1
.LBB276_38:
	s_or_b32 exec_lo, exec_lo, s1
	s_delay_alu instid0(SALU_CYCLE_1)
	s_mov_b32 s0, exec_lo
	v_cmpx_gt_u32_e32 21, v0
	s_cbranch_execz .LBB276_42
; %bb.39:
	v_cmp_eq_f32_e64 s1, s8, 0
	v_mul_f32_e32 v1, s12, v7
	s_mov_b32 s3, 0
	s_mul_i32 s0, s11, 0x54
	s_mul_i32 s2, s10, 0x54
	s_and_b32 vcc_lo, exec_lo, s1
	s_mul_hi_u32 s1, s10, 0x54
	s_cbranch_vccz .LBB276_43
; %bb.40:
	v_lshlrev_b32_e32 v2, 2, v0
	s_add_i32 s5, s1, s0
	s_add_u32 s4, s14, s2
	s_addc_u32 s5, s15, s5
	global_store_b32 v2, v1, s[4:5]
	s_and_not1_b32 vcc_lo, exec_lo, s3
	s_cbranch_vccnz .LBB276_42
.LBB276_41:
	v_lshlrev_b32_e32 v0, 2, v0
	s_add_i32 s1, s1, s0
	s_add_u32 s0, s14, s2
	s_addc_u32 s1, s15, s1
	global_load_b32 v2, v0, s[0:1]
	s_waitcnt vmcnt(0)
	v_fmac_f32_e32 v1, s8, v2
	global_store_b32 v0, v1, s[0:1]
.LBB276_42:
	s_nop 0
	s_sendmsg sendmsg(MSG_DEALLOC_VGPRS)
	s_endpgm
.LBB276_43:
	s_branch .LBB276_41
	.section	.rodata,"a",@progbits
	.p2align	6, 0x0
	.amdhsa_kernel _ZN9rocsparseL20bsrxmvn_17_32_kernelILj21EfllaafEEvT2_20rocsparse_direction_NS_24const_host_device_scalarIT0_EES1_PKS1_PKT1_SA_S7_PKT3_PKT4_S5_PT5_21rocsparse_index_base_b
		.amdhsa_group_segment_fixed_size 1764
		.amdhsa_private_segment_fixed_size 0
		.amdhsa_kernarg_size 104
		.amdhsa_user_sgpr_count 15
		.amdhsa_user_sgpr_dispatch_ptr 0
		.amdhsa_user_sgpr_queue_ptr 0
		.amdhsa_user_sgpr_kernarg_segment_ptr 1
		.amdhsa_user_sgpr_dispatch_id 0
		.amdhsa_user_sgpr_private_segment_size 0
		.amdhsa_wavefront_size32 1
		.amdhsa_uses_dynamic_stack 0
		.amdhsa_enable_private_segment 0
		.amdhsa_system_sgpr_workgroup_id_x 1
		.amdhsa_system_sgpr_workgroup_id_y 0
		.amdhsa_system_sgpr_workgroup_id_z 0
		.amdhsa_system_sgpr_workgroup_info 0
		.amdhsa_system_vgpr_workitem_id 0
		.amdhsa_next_free_vgpr 15
		.amdhsa_next_free_sgpr 24
		.amdhsa_reserve_vcc 1
		.amdhsa_float_round_mode_32 0
		.amdhsa_float_round_mode_16_64 0
		.amdhsa_float_denorm_mode_32 3
		.amdhsa_float_denorm_mode_16_64 3
		.amdhsa_dx10_clamp 1
		.amdhsa_ieee_mode 1
		.amdhsa_fp16_overflow 0
		.amdhsa_workgroup_processor_mode 1
		.amdhsa_memory_ordered 1
		.amdhsa_forward_progress 0
		.amdhsa_shared_vgpr_count 0
		.amdhsa_exception_fp_ieee_invalid_op 0
		.amdhsa_exception_fp_denorm_src 0
		.amdhsa_exception_fp_ieee_div_zero 0
		.amdhsa_exception_fp_ieee_overflow 0
		.amdhsa_exception_fp_ieee_underflow 0
		.amdhsa_exception_fp_ieee_inexact 0
		.amdhsa_exception_int_div_zero 0
	.end_amdhsa_kernel
	.section	.text._ZN9rocsparseL20bsrxmvn_17_32_kernelILj21EfllaafEEvT2_20rocsparse_direction_NS_24const_host_device_scalarIT0_EES1_PKS1_PKT1_SA_S7_PKT3_PKT4_S5_PT5_21rocsparse_index_base_b,"axG",@progbits,_ZN9rocsparseL20bsrxmvn_17_32_kernelILj21EfllaafEEvT2_20rocsparse_direction_NS_24const_host_device_scalarIT0_EES1_PKS1_PKT1_SA_S7_PKT3_PKT4_S5_PT5_21rocsparse_index_base_b,comdat
.Lfunc_end276:
	.size	_ZN9rocsparseL20bsrxmvn_17_32_kernelILj21EfllaafEEvT2_20rocsparse_direction_NS_24const_host_device_scalarIT0_EES1_PKS1_PKT1_SA_S7_PKT3_PKT4_S5_PT5_21rocsparse_index_base_b, .Lfunc_end276-_ZN9rocsparseL20bsrxmvn_17_32_kernelILj21EfllaafEEvT2_20rocsparse_direction_NS_24const_host_device_scalarIT0_EES1_PKS1_PKT1_SA_S7_PKT3_PKT4_S5_PT5_21rocsparse_index_base_b
                                        ; -- End function
	.section	.AMDGPU.csdata,"",@progbits
; Kernel info:
; codeLenInByte = 1628
; NumSgprs: 26
; NumVgprs: 15
; ScratchSize: 0
; MemoryBound: 0
; FloatMode: 240
; IeeeMode: 1
; LDSByteSize: 1764 bytes/workgroup (compile time only)
; SGPRBlocks: 3
; VGPRBlocks: 1
; NumSGPRsForWavesPerEU: 26
; NumVGPRsForWavesPerEU: 15
; Occupancy: 14
; WaveLimiterHint : 1
; COMPUTE_PGM_RSRC2:SCRATCH_EN: 0
; COMPUTE_PGM_RSRC2:USER_SGPR: 15
; COMPUTE_PGM_RSRC2:TRAP_HANDLER: 0
; COMPUTE_PGM_RSRC2:TGID_X_EN: 1
; COMPUTE_PGM_RSRC2:TGID_Y_EN: 0
; COMPUTE_PGM_RSRC2:TGID_Z_EN: 0
; COMPUTE_PGM_RSRC2:TIDIG_COMP_CNT: 0
	.section	.text._ZN9rocsparseL20bsrxmvn_17_32_kernelILj22EfllaafEEvT2_20rocsparse_direction_NS_24const_host_device_scalarIT0_EES1_PKS1_PKT1_SA_S7_PKT3_PKT4_S5_PT5_21rocsparse_index_base_b,"axG",@progbits,_ZN9rocsparseL20bsrxmvn_17_32_kernelILj22EfllaafEEvT2_20rocsparse_direction_NS_24const_host_device_scalarIT0_EES1_PKS1_PKT1_SA_S7_PKT3_PKT4_S5_PT5_21rocsparse_index_base_b,comdat
	.globl	_ZN9rocsparseL20bsrxmvn_17_32_kernelILj22EfllaafEEvT2_20rocsparse_direction_NS_24const_host_device_scalarIT0_EES1_PKS1_PKT1_SA_S7_PKT3_PKT4_S5_PT5_21rocsparse_index_base_b ; -- Begin function _ZN9rocsparseL20bsrxmvn_17_32_kernelILj22EfllaafEEvT2_20rocsparse_direction_NS_24const_host_device_scalarIT0_EES1_PKS1_PKT1_SA_S7_PKT3_PKT4_S5_PT5_21rocsparse_index_base_b
	.p2align	8
	.type	_ZN9rocsparseL20bsrxmvn_17_32_kernelILj22EfllaafEEvT2_20rocsparse_direction_NS_24const_host_device_scalarIT0_EES1_PKS1_PKT1_SA_S7_PKT3_PKT4_S5_PT5_21rocsparse_index_base_b,@function
_ZN9rocsparseL20bsrxmvn_17_32_kernelILj22EfllaafEEvT2_20rocsparse_direction_NS_24const_host_device_scalarIT0_EES1_PKS1_PKT1_SA_S7_PKT3_PKT4_S5_PT5_21rocsparse_index_base_b: ; @_ZN9rocsparseL20bsrxmvn_17_32_kernelILj22EfllaafEEvT2_20rocsparse_direction_NS_24const_host_device_scalarIT0_EES1_PKS1_PKT1_SA_S7_PKT3_PKT4_S5_PT5_21rocsparse_index_base_b
; %bb.0:
	s_clause 0x2
	s_load_b64 s[16:17], s[0:1], 0x60
	s_load_b64 s[12:13], s[0:1], 0x10
	;; [unrolled: 1-line block ×3, first 2 shown]
	s_mov_b32 s10, s15
	s_waitcnt lgkmcnt(0)
	s_bitcmp1_b32 s17, 0
	s_cselect_b32 s2, -1, 0
	s_delay_alu instid0(SALU_CYCLE_1)
	s_and_b32 vcc_lo, exec_lo, s2
	s_xor_b32 s2, s2, -1
	s_cbranch_vccnz .LBB277_2
; %bb.1:
	s_load_b32 s12, s[12:13], 0x0
.LBB277_2:
	s_and_not1_b32 vcc_lo, exec_lo, s2
	s_cbranch_vccnz .LBB277_4
; %bb.3:
	s_load_b32 s8, s[8:9], 0x0
.LBB277_4:
	s_waitcnt lgkmcnt(0)
	v_cmp_neq_f32_e64 s2, s12, 0
	v_cmp_neq_f32_e64 s3, s8, 1.0
	s_mov_b32 s11, 0
	s_delay_alu instid0(VALU_DEP_1) | instskip(NEXT) | instid1(SALU_CYCLE_1)
	s_or_b32 s2, s2, s3
	s_and_not1_b32 vcc_lo, exec_lo, s2
	s_cbranch_vccnz .LBB277_42
; %bb.5:
	s_clause 0x1
	s_load_b128 s[4:7], s[0:1], 0x20
	s_load_b64 s[14:15], s[0:1], 0x30
	s_waitcnt lgkmcnt(0)
	s_cmp_eq_u64 s[4:5], 0
	s_cbranch_scc1 .LBB277_7
; %bb.6:
	s_lshl_b64 s[2:3], s[10:11], 3
	s_delay_alu instid0(SALU_CYCLE_1)
	s_add_u32 s2, s4, s2
	s_addc_u32 s3, s5, s3
	s_load_b64 s[2:3], s[2:3], 0x0
	s_waitcnt lgkmcnt(0)
	s_sub_u32 s10, s2, s16
	s_subb_u32 s11, s3, 0
.LBB277_7:
	s_load_b32 s3, s[0:1], 0x8
	v_mul_u32_u24_e32 v1, 0xba3, v0
	v_mov_b32_e32 v7, 0
	s_delay_alu instid0(VALU_DEP_2) | instskip(NEXT) | instid1(VALU_DEP_1)
	v_lshrrev_b32_e32 v1, 16, v1
	v_mul_lo_u16 v2, v1, 22
	s_delay_alu instid0(VALU_DEP_1)
	v_sub_nc_u16 v8, v0, v2
	s_waitcnt lgkmcnt(0)
	s_cmp_eq_u32 s3, 1
	s_cselect_b32 s2, -1, 0
	s_cmp_lg_u32 s3, 1
	s_cselect_b32 s3, -1, 0
	s_lshl_b64 s[4:5], s[10:11], 3
	s_delay_alu instid0(SALU_CYCLE_1)
	s_add_u32 s6, s6, s4
	s_addc_u32 s7, s7, s5
	s_add_u32 s9, s6, 8
	s_addc_u32 s13, s7, 0
	;; [unrolled: 2-line block ×3, first 2 shown]
	s_cmp_eq_u64 s[14:15], 0
	s_load_b64 s[14:15], s[0:1], 0x58
	s_cselect_b32 s5, s13, s5
	s_cselect_b32 s4, s9, s4
	s_load_b64 s[20:21], s[6:7], 0x0
	s_load_b64 s[18:19], s[4:5], 0x0
	s_waitcnt lgkmcnt(0)
	v_cmp_ge_i64_e64 s4, s[20:21], s[18:19]
	s_delay_alu instid0(VALU_DEP_1)
	s_and_b32 vcc_lo, exec_lo, s4
	s_cbranch_vccnz .LBB277_12
; %bb.8:
	v_mul_lo_u16 v2, v1, 12
	v_and_b32_e32 v3, 0xffff, v0
	s_clause 0x1
	s_load_b128 s[4:7], s[0:1], 0x38
	s_load_b64 s[22:23], s[0:1], 0x48
	s_sub_u32 s0, s18, s16
	s_subb_u32 s1, s19, 0
	v_lshrrev_b16 v2, 8, v2
	v_mul_u32_u24_e32 v3, 0x10f, v3
	s_sub_u32 s18, s20, s16
	v_dual_mov_b32 v7, 0 :: v_dual_and_b32 v4, 0xffff, v8
	s_delay_alu instid0(VALU_DEP_3) | instskip(NEXT) | instid1(VALU_DEP_3)
	v_mul_lo_u16 v2, v2, 22
	v_lshrrev_b32_e32 v9, 17, v3
	s_subb_u32 s19, s21, 0
	s_mul_hi_u32 s9, s18, 0x1e4
	s_mul_i32 s17, s19, 0x1e4
	v_sub_nc_u16 v1, v1, v2
	v_add_co_u32 v2, s20, s20, v9
	s_delay_alu instid0(VALU_DEP_1) | instskip(NEXT) | instid1(VALU_DEP_3)
	v_add_co_ci_u32_e64 v5, null, s21, 0, s20
	v_and_b32_e32 v1, 0xff, v1
	s_delay_alu instid0(VALU_DEP_3) | instskip(SKIP_2) | instid1(VALU_DEP_2)
	v_sub_co_u32 v3, vcc_lo, v2, s16
	s_mul_i32 s13, s18, 0x1e4
	s_add_i32 s9, s9, s17
	v_cndmask_b32_e64 v1, v4, v1, s2
	v_subrev_co_ci_u32_e32 v4, vcc_lo, 0, v5, vcc_lo
	s_waitcnt lgkmcnt(0)
	s_delay_alu instid0(VALU_DEP_2) | instskip(NEXT) | instid1(VALU_DEP_2)
	v_add_co_u32 v1, s2, s22, v1
	v_lshlrev_b64 v[5:6], 3, v[3:4]
	v_add_co_ci_u32_e64 v2, null, s23, 0, s2
	s_add_u32 s2, s6, s13
	s_addc_u32 s6, s7, s9
	v_add_co_u32 v3, s2, s2, v0
	s_delay_alu instid0(VALU_DEP_3)
	v_add_co_u32 v5, vcc_lo, s4, v5
	v_add_co_ci_u32_e64 v4, null, s6, 0, s2
	v_add_co_ci_u32_e32 v6, vcc_lo, s5, v6, vcc_lo
	s_set_inst_prefetch_distance 0x1
	s_branch .LBB277_10
	.p2align	6
.LBB277_9:                              ;   in Loop: Header=BB277_10 Depth=1
	s_or_b32 exec_lo, exec_lo, s2
	s_add_u32 s18, s18, 1
	s_addc_u32 s19, s19, 0
	v_add_co_u32 v5, vcc_lo, v5, 8
	v_cmp_lt_i64_e64 s2, s[18:19], s[0:1]
	v_add_co_ci_u32_e32 v6, vcc_lo, 0, v6, vcc_lo
	s_delay_alu instid0(VALU_DEP_2)
	s_and_b32 vcc_lo, exec_lo, s2
	s_cbranch_vccz .LBB277_12
.LBB277_10:                             ; =>This Inner Loop Header: Depth=1
	v_add_co_u32 v10, s2, v9, s18
	s_delay_alu instid0(VALU_DEP_1) | instskip(SKIP_1) | instid1(VALU_DEP_1)
	v_add_co_ci_u32_e64 v11, null, 0, s19, s2
	s_mov_b32 s2, exec_lo
	v_cmpx_gt_i64_e64 s[0:1], v[10:11]
	s_cbranch_execz .LBB277_9
; %bb.11:                               ;   in Loop: Header=BB277_10 Depth=1
	global_load_b64 v[10:11], v[5:6], off
	s_waitcnt vmcnt(0)
	v_sub_co_u32 v12, vcc_lo, v10, s16
	v_subrev_co_ci_u32_e32 v14, vcc_lo, 0, v11, vcc_lo
	s_delay_alu instid0(VALU_DEP_2) | instskip(NEXT) | instid1(VALU_DEP_1)
	v_mad_u64_u32 v[10:11], null, v12, 22, v[1:2]
	v_mad_u64_u32 v[12:13], null, v14, 22, v[11:12]
	s_delay_alu instid0(VALU_DEP_1)
	v_mov_b32_e32 v11, v12
	global_load_i8 v12, v[3:4], off
	global_load_i8 v10, v[10:11], off
	v_add_co_u32 v3, vcc_lo, 0x1e4, v3
	v_add_co_ci_u32_e32 v4, vcc_lo, 0, v4, vcc_lo
	s_waitcnt vmcnt(1)
	v_cvt_f32_i32_e32 v11, v12
	s_waitcnt vmcnt(0)
	v_cvt_f32_i32_e32 v10, v10
	s_delay_alu instid0(VALU_DEP_1)
	v_fmac_f32_e32 v7, v11, v10
	s_branch .LBB277_9
.LBB277_12:
	s_set_inst_prefetch_distance 0x2
	v_lshlrev_b32_e32 v1, 2, v0
	s_and_b32 vcc_lo, exec_lo, s3
	ds_store_b32 v1, v7
	s_waitcnt lgkmcnt(0)
	s_barrier
	buffer_gl0_inv
	s_cbranch_vccz .LBB277_24
; %bb.13:
	s_mov_b32 s0, exec_lo
	v_cmpx_gt_u16_e32 6, v8
	s_cbranch_execz .LBB277_15
; %bb.14:
	ds_load_2addr_b32 v[2:3], v1 offset1:16
	s_waitcnt lgkmcnt(0)
	v_add_f32_e32 v2, v3, v2
	ds_store_b32 v1, v2
.LBB277_15:
	s_or_b32 exec_lo, exec_lo, s0
	s_delay_alu instid0(SALU_CYCLE_1)
	s_mov_b32 s0, exec_lo
	s_waitcnt lgkmcnt(0)
	s_barrier
	buffer_gl0_inv
	v_cmpx_gt_u16_e32 8, v8
	s_cbranch_execz .LBB277_17
; %bb.16:
	ds_load_2addr_b32 v[2:3], v1 offset1:8
	s_waitcnt lgkmcnt(0)
	v_add_f32_e32 v2, v3, v2
	ds_store_b32 v1, v2
.LBB277_17:
	s_or_b32 exec_lo, exec_lo, s0
	s_delay_alu instid0(SALU_CYCLE_1)
	s_mov_b32 s0, exec_lo
	s_waitcnt lgkmcnt(0)
	s_barrier
	buffer_gl0_inv
	;; [unrolled: 14-line block ×3, first 2 shown]
	v_cmpx_gt_u16_e32 2, v8
	s_cbranch_execz .LBB277_21
; %bb.20:
	ds_load_2addr_b32 v[2:3], v1 offset1:2
	s_waitcnt lgkmcnt(0)
	v_add_f32_e32 v2, v3, v2
	ds_store_b32 v1, v2
.LBB277_21:
	s_or_b32 exec_lo, exec_lo, s0
	s_mov_b32 s1, 0
	s_mov_b32 s0, 0
	s_mov_b32 s2, exec_lo
	s_waitcnt lgkmcnt(0)
	s_barrier
	buffer_gl0_inv
                                        ; implicit-def: $vgpr2
                                        ; implicit-def: $vgpr3
	v_cmpx_gt_u32_e32 22, v0
	s_xor_b32 s2, exec_lo, s2
; %bb.22:
	v_mul_u32_u24_e32 v2, 22, v0
	v_mad_u32_u24 v3, 0x54, v0, v1
	s_mov_b32 s0, exec_lo
	s_delay_alu instid0(VALU_DEP_2)
	v_or_b32_e32 v2, 1, v2
; %bb.23:
	s_or_b32 exec_lo, exec_lo, s2
	s_delay_alu instid0(SALU_CYCLE_1)
	s_and_b32 vcc_lo, exec_lo, s1
	s_cbranch_vccnz .LBB277_25
	s_branch .LBB277_36
.LBB277_24:
	s_mov_b32 s0, 0
                                        ; implicit-def: $vgpr2
                                        ; implicit-def: $vgpr3
	s_cbranch_execz .LBB277_36
.LBB277_25:
	s_mov_b32 s1, exec_lo
	v_cmpx_gt_u32_e32 0x84, v0
	s_cbranch_execz .LBB277_27
; %bb.26:
	ds_load_b32 v2, v1 offset:1408
	ds_load_b32 v3, v1
	s_waitcnt lgkmcnt(0)
	v_add_f32_e32 v2, v2, v3
	ds_store_b32 v1, v2
.LBB277_27:
	s_or_b32 exec_lo, exec_lo, s1
	s_delay_alu instid0(SALU_CYCLE_1)
	s_mov_b32 s1, exec_lo
	s_waitcnt lgkmcnt(0)
	s_barrier
	buffer_gl0_inv
	v_cmpx_gt_u32_e32 0xb0, v0
	s_cbranch_execz .LBB277_29
; %bb.28:
	ds_load_2addr_b32 v[2:3], v1 offset1:176
	s_waitcnt lgkmcnt(0)
	v_add_f32_e32 v2, v3, v2
	ds_store_b32 v1, v2
.LBB277_29:
	s_or_b32 exec_lo, exec_lo, s1
	s_delay_alu instid0(SALU_CYCLE_1)
	s_mov_b32 s1, exec_lo
	s_waitcnt lgkmcnt(0)
	s_barrier
	buffer_gl0_inv
	v_cmpx_gt_u32_e32 0x58, v0
	s_cbranch_execz .LBB277_31
; %bb.30:
	ds_load_2addr_b32 v[2:3], v1 offset1:88
	s_waitcnt lgkmcnt(0)
	v_add_f32_e32 v2, v3, v2
	ds_store_b32 v1, v2
.LBB277_31:
	;; [unrolled: 14-line block ×3, first 2 shown]
	s_or_b32 exec_lo, exec_lo, s1
	s_delay_alu instid0(SALU_CYCLE_1)
	s_mov_b32 s1, exec_lo
	s_waitcnt lgkmcnt(0)
	buffer_gl0_inv
                                        ; implicit-def: $vgpr2
	v_cmpx_gt_u32_e32 22, v0
; %bb.34:
	v_add_nc_u32_e32 v2, 22, v0
	s_or_b32 s0, s0, exec_lo
                                        ; implicit-def: $vgpr7
; %bb.35:
	s_or_b32 exec_lo, exec_lo, s1
	v_mov_b32_e32 v3, v1
.LBB277_36:
	s_and_saveexec_b32 s1, s0
	s_cbranch_execz .LBB277_38
; %bb.37:
	v_lshlrev_b32_e32 v1, 2, v2
	ds_load_b32 v2, v3
	ds_load_b32 v1, v1
	s_waitcnt lgkmcnt(0)
	v_add_f32_e32 v7, v2, v1
.LBB277_38:
	s_or_b32 exec_lo, exec_lo, s1
	s_delay_alu instid0(SALU_CYCLE_1)
	s_mov_b32 s0, exec_lo
	v_cmpx_gt_u32_e32 22, v0
	s_cbranch_execz .LBB277_42
; %bb.39:
	v_cmp_eq_f32_e64 s1, s8, 0
	v_mul_f32_e32 v1, s12, v7
	s_mov_b32 s3, 0
	s_mul_i32 s0, s11, 0x58
	s_mul_i32 s2, s10, 0x58
	s_and_b32 vcc_lo, exec_lo, s1
	s_mul_hi_u32 s1, s10, 0x58
	s_cbranch_vccz .LBB277_43
; %bb.40:
	v_lshlrev_b32_e32 v2, 2, v0
	s_add_i32 s5, s1, s0
	s_add_u32 s4, s14, s2
	s_addc_u32 s5, s15, s5
	global_store_b32 v2, v1, s[4:5]
	s_and_not1_b32 vcc_lo, exec_lo, s3
	s_cbranch_vccnz .LBB277_42
.LBB277_41:
	v_lshlrev_b32_e32 v0, 2, v0
	s_add_i32 s1, s1, s0
	s_add_u32 s0, s14, s2
	s_addc_u32 s1, s15, s1
	global_load_b32 v2, v0, s[0:1]
	s_waitcnt vmcnt(0)
	v_fmac_f32_e32 v1, s8, v2
	global_store_b32 v0, v1, s[0:1]
.LBB277_42:
	s_nop 0
	s_sendmsg sendmsg(MSG_DEALLOC_VGPRS)
	s_endpgm
.LBB277_43:
	s_branch .LBB277_41
	.section	.rodata,"a",@progbits
	.p2align	6, 0x0
	.amdhsa_kernel _ZN9rocsparseL20bsrxmvn_17_32_kernelILj22EfllaafEEvT2_20rocsparse_direction_NS_24const_host_device_scalarIT0_EES1_PKS1_PKT1_SA_S7_PKT3_PKT4_S5_PT5_21rocsparse_index_base_b
		.amdhsa_group_segment_fixed_size 1936
		.amdhsa_private_segment_fixed_size 0
		.amdhsa_kernarg_size 104
		.amdhsa_user_sgpr_count 15
		.amdhsa_user_sgpr_dispatch_ptr 0
		.amdhsa_user_sgpr_queue_ptr 0
		.amdhsa_user_sgpr_kernarg_segment_ptr 1
		.amdhsa_user_sgpr_dispatch_id 0
		.amdhsa_user_sgpr_private_segment_size 0
		.amdhsa_wavefront_size32 1
		.amdhsa_uses_dynamic_stack 0
		.amdhsa_enable_private_segment 0
		.amdhsa_system_sgpr_workgroup_id_x 1
		.amdhsa_system_sgpr_workgroup_id_y 0
		.amdhsa_system_sgpr_workgroup_id_z 0
		.amdhsa_system_sgpr_workgroup_info 0
		.amdhsa_system_vgpr_workitem_id 0
		.amdhsa_next_free_vgpr 15
		.amdhsa_next_free_sgpr 24
		.amdhsa_reserve_vcc 1
		.amdhsa_float_round_mode_32 0
		.amdhsa_float_round_mode_16_64 0
		.amdhsa_float_denorm_mode_32 3
		.amdhsa_float_denorm_mode_16_64 3
		.amdhsa_dx10_clamp 1
		.amdhsa_ieee_mode 1
		.amdhsa_fp16_overflow 0
		.amdhsa_workgroup_processor_mode 1
		.amdhsa_memory_ordered 1
		.amdhsa_forward_progress 0
		.amdhsa_shared_vgpr_count 0
		.amdhsa_exception_fp_ieee_invalid_op 0
		.amdhsa_exception_fp_denorm_src 0
		.amdhsa_exception_fp_ieee_div_zero 0
		.amdhsa_exception_fp_ieee_overflow 0
		.amdhsa_exception_fp_ieee_underflow 0
		.amdhsa_exception_fp_ieee_inexact 0
		.amdhsa_exception_int_div_zero 0
	.end_amdhsa_kernel
	.section	.text._ZN9rocsparseL20bsrxmvn_17_32_kernelILj22EfllaafEEvT2_20rocsparse_direction_NS_24const_host_device_scalarIT0_EES1_PKS1_PKT1_SA_S7_PKT3_PKT4_S5_PT5_21rocsparse_index_base_b,"axG",@progbits,_ZN9rocsparseL20bsrxmvn_17_32_kernelILj22EfllaafEEvT2_20rocsparse_direction_NS_24const_host_device_scalarIT0_EES1_PKS1_PKT1_SA_S7_PKT3_PKT4_S5_PT5_21rocsparse_index_base_b,comdat
.Lfunc_end277:
	.size	_ZN9rocsparseL20bsrxmvn_17_32_kernelILj22EfllaafEEvT2_20rocsparse_direction_NS_24const_host_device_scalarIT0_EES1_PKS1_PKT1_SA_S7_PKT3_PKT4_S5_PT5_21rocsparse_index_base_b, .Lfunc_end277-_ZN9rocsparseL20bsrxmvn_17_32_kernelILj22EfllaafEEvT2_20rocsparse_direction_NS_24const_host_device_scalarIT0_EES1_PKS1_PKT1_SA_S7_PKT3_PKT4_S5_PT5_21rocsparse_index_base_b
                                        ; -- End function
	.section	.AMDGPU.csdata,"",@progbits
; Kernel info:
; codeLenInByte = 1632
; NumSgprs: 26
; NumVgprs: 15
; ScratchSize: 0
; MemoryBound: 0
; FloatMode: 240
; IeeeMode: 1
; LDSByteSize: 1936 bytes/workgroup (compile time only)
; SGPRBlocks: 3
; VGPRBlocks: 1
; NumSGPRsForWavesPerEU: 26
; NumVGPRsForWavesPerEU: 15
; Occupancy: 16
; WaveLimiterHint : 1
; COMPUTE_PGM_RSRC2:SCRATCH_EN: 0
; COMPUTE_PGM_RSRC2:USER_SGPR: 15
; COMPUTE_PGM_RSRC2:TRAP_HANDLER: 0
; COMPUTE_PGM_RSRC2:TGID_X_EN: 1
; COMPUTE_PGM_RSRC2:TGID_Y_EN: 0
; COMPUTE_PGM_RSRC2:TGID_Z_EN: 0
; COMPUTE_PGM_RSRC2:TIDIG_COMP_CNT: 0
	.section	.text._ZN9rocsparseL20bsrxmvn_17_32_kernelILj23EfllaafEEvT2_20rocsparse_direction_NS_24const_host_device_scalarIT0_EES1_PKS1_PKT1_SA_S7_PKT3_PKT4_S5_PT5_21rocsparse_index_base_b,"axG",@progbits,_ZN9rocsparseL20bsrxmvn_17_32_kernelILj23EfllaafEEvT2_20rocsparse_direction_NS_24const_host_device_scalarIT0_EES1_PKS1_PKT1_SA_S7_PKT3_PKT4_S5_PT5_21rocsparse_index_base_b,comdat
	.globl	_ZN9rocsparseL20bsrxmvn_17_32_kernelILj23EfllaafEEvT2_20rocsparse_direction_NS_24const_host_device_scalarIT0_EES1_PKS1_PKT1_SA_S7_PKT3_PKT4_S5_PT5_21rocsparse_index_base_b ; -- Begin function _ZN9rocsparseL20bsrxmvn_17_32_kernelILj23EfllaafEEvT2_20rocsparse_direction_NS_24const_host_device_scalarIT0_EES1_PKS1_PKT1_SA_S7_PKT3_PKT4_S5_PT5_21rocsparse_index_base_b
	.p2align	8
	.type	_ZN9rocsparseL20bsrxmvn_17_32_kernelILj23EfllaafEEvT2_20rocsparse_direction_NS_24const_host_device_scalarIT0_EES1_PKS1_PKT1_SA_S7_PKT3_PKT4_S5_PT5_21rocsparse_index_base_b,@function
_ZN9rocsparseL20bsrxmvn_17_32_kernelILj23EfllaafEEvT2_20rocsparse_direction_NS_24const_host_device_scalarIT0_EES1_PKS1_PKT1_SA_S7_PKT3_PKT4_S5_PT5_21rocsparse_index_base_b: ; @_ZN9rocsparseL20bsrxmvn_17_32_kernelILj23EfllaafEEvT2_20rocsparse_direction_NS_24const_host_device_scalarIT0_EES1_PKS1_PKT1_SA_S7_PKT3_PKT4_S5_PT5_21rocsparse_index_base_b
; %bb.0:
	s_mov_b32 s10, s15
	s_clause 0x2
	s_load_b64 s[14:15], s[0:1], 0x60
	s_load_b64 s[12:13], s[0:1], 0x10
	;; [unrolled: 1-line block ×3, first 2 shown]
	s_waitcnt lgkmcnt(0)
	s_bitcmp1_b32 s15, 0
	s_cselect_b32 s2, -1, 0
	s_delay_alu instid0(SALU_CYCLE_1)
	s_and_b32 vcc_lo, exec_lo, s2
	s_xor_b32 s2, s2, -1
	s_cbranch_vccnz .LBB278_2
; %bb.1:
	s_load_b32 s12, s[12:13], 0x0
.LBB278_2:
	s_and_not1_b32 vcc_lo, exec_lo, s2
	s_cbranch_vccnz .LBB278_4
; %bb.3:
	s_load_b32 s8, s[8:9], 0x0
.LBB278_4:
	s_waitcnt lgkmcnt(0)
	v_cmp_neq_f32_e64 s2, s12, 0
	v_cmp_neq_f32_e64 s3, s8, 1.0
	s_mov_b32 s11, 0
	s_delay_alu instid0(VALU_DEP_1) | instskip(NEXT) | instid1(SALU_CYCLE_1)
	s_or_b32 s2, s2, s3
	s_and_not1_b32 vcc_lo, exec_lo, s2
	s_cbranch_vccnz .LBB278_42
; %bb.5:
	s_clause 0x1
	s_load_b128 s[4:7], s[0:1], 0x20
	s_load_b64 s[16:17], s[0:1], 0x30
	s_waitcnt lgkmcnt(0)
	s_cmp_eq_u64 s[4:5], 0
	s_cbranch_scc1 .LBB278_7
; %bb.6:
	s_lshl_b64 s[2:3], s[10:11], 3
	s_delay_alu instid0(SALU_CYCLE_1)
	s_add_u32 s2, s4, s2
	s_addc_u32 s3, s5, s3
	s_load_b64 s[2:3], s[2:3], 0x0
	s_waitcnt lgkmcnt(0)
	s_sub_u32 s10, s2, s14
	s_subb_u32 s11, s3, 0
.LBB278_7:
	s_load_b32 s3, s[0:1], 0x8
	v_mul_u32_u24_e32 v1, 0xb22, v0
	v_mov_b32_e32 v7, 0
	s_delay_alu instid0(VALU_DEP_2) | instskip(NEXT) | instid1(VALU_DEP_1)
	v_lshrrev_b32_e32 v1, 16, v1
	v_mul_lo_u16 v2, v1, 23
	s_delay_alu instid0(VALU_DEP_1)
	v_sub_nc_u16 v8, v0, v2
	s_waitcnt lgkmcnt(0)
	s_cmp_eq_u32 s3, 1
	s_cselect_b32 s2, -1, 0
	s_cmp_lg_u32 s3, 1
	s_cselect_b32 s3, -1, 0
	s_lshl_b64 s[4:5], s[10:11], 3
	s_delay_alu instid0(SALU_CYCLE_1)
	s_add_u32 s6, s6, s4
	s_addc_u32 s7, s7, s5
	s_add_u32 s9, s6, 8
	s_addc_u32 s13, s7, 0
	;; [unrolled: 2-line block ×3, first 2 shown]
	s_cmp_eq_u64 s[16:17], 0
	s_cselect_b32 s5, s13, s5
	s_cselect_b32 s4, s9, s4
	s_load_b64 s[16:17], s[6:7], 0x0
	s_load_b64 s[6:7], s[4:5], 0x0
	s_load_b64 s[4:5], s[0:1], 0x58
	s_waitcnt lgkmcnt(0)
	v_cmp_ge_i64_e64 s9, s[16:17], s[6:7]
	s_delay_alu instid0(VALU_DEP_1)
	s_and_b32 vcc_lo, exec_lo, s9
	s_cbranch_vccnz .LBB278_12
; %bb.8:
	s_clause 0x1
	s_load_b64 s[18:19], s[0:1], 0x48
	s_load_b128 s[20:23], s[0:1], 0x38
	v_and_b32_e32 v1, 0xffff, v1
	v_cmp_gt_u32_e32 vcc_lo, 0x211, v0
	v_and_b32_e32 v3, 0xffff, v8
	s_sub_u32 s0, s6, s14
	s_subb_u32 s1, s7, 0
	v_subrev_nc_u32_e32 v2, 23, v1
	s_sub_u32 s6, s16, s14
	s_subb_u32 s7, s17, 0
	s_mul_i32 s13, s6, 0x211
	v_mov_b32_e32 v7, 0
	v_cndmask_b32_e32 v1, v2, v1, vcc_lo
	v_cmp_lt_u32_e32 vcc_lo, 0x210, v0
	s_delay_alu instid0(VALU_DEP_2) | instskip(SKIP_3) | instid1(VALU_DEP_2)
	v_cndmask_b32_e64 v1, v3, v1, s2
	v_cndmask_b32_e64 v9, 0, 1, vcc_lo
	s_mul_i32 s2, s7, 0x211
	s_waitcnt lgkmcnt(0)
	v_add_co_u32 v1, s9, s18, v1
	s_delay_alu instid0(VALU_DEP_1) | instskip(SKIP_1) | instid1(VALU_DEP_1)
	v_add_co_ci_u32_e64 v2, null, s19, 0, s9
	v_add_co_u32 v3, s9, s16, v9
	v_add_co_ci_u32_e64 v4, null, s17, 0, s9
	s_mul_hi_u32 s9, s6, 0x211
	s_delay_alu instid0(VALU_DEP_2) | instskip(NEXT) | instid1(VALU_DEP_2)
	v_sub_co_u32 v3, vcc_lo, v3, s14
	v_subrev_co_ci_u32_e32 v4, vcc_lo, 0, v4, vcc_lo
	s_add_i32 s9, s9, s2
	s_add_u32 s2, s22, s13
	s_addc_u32 s9, s23, s9
	s_delay_alu instid0(VALU_DEP_1) | instskip(SKIP_1) | instid1(VALU_DEP_1)
	v_lshlrev_b64 v[5:6], 3, v[3:4]
	v_add_co_u32 v3, s2, s2, v0
	v_add_co_ci_u32_e64 v4, null, s9, 0, s2
	s_delay_alu instid0(VALU_DEP_3) | instskip(NEXT) | instid1(VALU_DEP_4)
	v_add_co_u32 v5, vcc_lo, s20, v5
	v_add_co_ci_u32_e32 v6, vcc_lo, s21, v6, vcc_lo
	s_set_inst_prefetch_distance 0x1
	s_branch .LBB278_10
	.p2align	6
.LBB278_9:                              ;   in Loop: Header=BB278_10 Depth=1
	s_or_b32 exec_lo, exec_lo, s2
	s_add_u32 s6, s6, 1
	s_addc_u32 s7, s7, 0
	v_add_co_u32 v5, vcc_lo, v5, 8
	v_cmp_lt_i64_e64 s2, s[6:7], s[0:1]
	v_add_co_ci_u32_e32 v6, vcc_lo, 0, v6, vcc_lo
	s_delay_alu instid0(VALU_DEP_2)
	s_and_b32 vcc_lo, exec_lo, s2
	s_cbranch_vccz .LBB278_12
.LBB278_10:                             ; =>This Inner Loop Header: Depth=1
	v_add_co_u32 v10, s2, v9, s6
	s_delay_alu instid0(VALU_DEP_1) | instskip(SKIP_1) | instid1(VALU_DEP_1)
	v_add_co_ci_u32_e64 v11, null, 0, s7, s2
	s_mov_b32 s2, exec_lo
	v_cmpx_gt_i64_e64 s[0:1], v[10:11]
	s_cbranch_execz .LBB278_9
; %bb.11:                               ;   in Loop: Header=BB278_10 Depth=1
	global_load_b64 v[10:11], v[5:6], off
	s_waitcnt vmcnt(0)
	v_sub_co_u32 v12, vcc_lo, v10, s14
	v_subrev_co_ci_u32_e32 v14, vcc_lo, 0, v11, vcc_lo
	s_delay_alu instid0(VALU_DEP_2) | instskip(NEXT) | instid1(VALU_DEP_1)
	v_mad_u64_u32 v[10:11], null, v12, 23, v[1:2]
	v_mad_u64_u32 v[12:13], null, v14, 23, v[11:12]
	s_delay_alu instid0(VALU_DEP_1)
	v_mov_b32_e32 v11, v12
	global_load_i8 v12, v[3:4], off
	global_load_i8 v10, v[10:11], off
	v_add_co_u32 v3, vcc_lo, 0x211, v3
	v_add_co_ci_u32_e32 v4, vcc_lo, 0, v4, vcc_lo
	s_waitcnt vmcnt(1)
	v_cvt_f32_i32_e32 v11, v12
	s_waitcnt vmcnt(0)
	v_cvt_f32_i32_e32 v10, v10
	s_delay_alu instid0(VALU_DEP_1)
	v_fmac_f32_e32 v7, v11, v10
	s_branch .LBB278_9
.LBB278_12:
	s_set_inst_prefetch_distance 0x2
	v_lshlrev_b32_e32 v1, 2, v0
	s_and_b32 vcc_lo, exec_lo, s3
	ds_store_b32 v1, v7
	s_waitcnt lgkmcnt(0)
	s_barrier
	buffer_gl0_inv
	s_cbranch_vccz .LBB278_24
; %bb.13:
	s_mov_b32 s0, exec_lo
	v_cmpx_gt_u16_e32 7, v8
	s_cbranch_execz .LBB278_15
; %bb.14:
	ds_load_2addr_b32 v[2:3], v1 offset1:16
	s_waitcnt lgkmcnt(0)
	v_add_f32_e32 v2, v3, v2
	ds_store_b32 v1, v2
.LBB278_15:
	s_or_b32 exec_lo, exec_lo, s0
	s_delay_alu instid0(SALU_CYCLE_1)
	s_mov_b32 s0, exec_lo
	s_waitcnt lgkmcnt(0)
	s_barrier
	buffer_gl0_inv
	v_cmpx_gt_u16_e32 8, v8
	s_cbranch_execz .LBB278_17
; %bb.16:
	ds_load_2addr_b32 v[2:3], v1 offset1:8
	s_waitcnt lgkmcnt(0)
	v_add_f32_e32 v2, v3, v2
	ds_store_b32 v1, v2
.LBB278_17:
	s_or_b32 exec_lo, exec_lo, s0
	s_delay_alu instid0(SALU_CYCLE_1)
	s_mov_b32 s0, exec_lo
	s_waitcnt lgkmcnt(0)
	s_barrier
	buffer_gl0_inv
	v_cmpx_gt_u16_e32 4, v8
	s_cbranch_execz .LBB278_19
; %bb.18:
	ds_load_2addr_b32 v[2:3], v1 offset1:4
	s_waitcnt lgkmcnt(0)
	v_add_f32_e32 v2, v3, v2
	ds_store_b32 v1, v2
.LBB278_19:
	s_or_b32 exec_lo, exec_lo, s0
	s_delay_alu instid0(SALU_CYCLE_1)
	s_mov_b32 s0, exec_lo
	s_waitcnt lgkmcnt(0)
	s_barrier
	buffer_gl0_inv
	v_cmpx_gt_u16_e32 2, v8
	s_cbranch_execz .LBB278_21
; %bb.20:
	ds_load_2addr_b32 v[2:3], v1 offset1:2
	s_waitcnt lgkmcnt(0)
	v_add_f32_e32 v2, v3, v2
	ds_store_b32 v1, v2
.LBB278_21:
	s_or_b32 exec_lo, exec_lo, s0
	s_mov_b32 s1, 0
	s_mov_b32 s0, 0
	s_mov_b32 s2, exec_lo
	s_waitcnt lgkmcnt(0)
	s_barrier
	buffer_gl0_inv
                                        ; implicit-def: $vgpr2
                                        ; implicit-def: $vgpr3
	v_cmpx_gt_u32_e32 23, v0
	s_xor_b32 s2, exec_lo, s2
; %bb.22:
	v_mad_u32_u24 v2, v0, 23, 1
	v_mad_u32_u24 v3, 0x58, v0, v1
	s_mov_b32 s0, exec_lo
; %bb.23:
	s_or_b32 exec_lo, exec_lo, s2
	s_delay_alu instid0(SALU_CYCLE_1)
	s_and_b32 vcc_lo, exec_lo, s1
	s_cbranch_vccnz .LBB278_25
	s_branch .LBB278_36
.LBB278_24:
	s_mov_b32 s0, 0
                                        ; implicit-def: $vgpr2
                                        ; implicit-def: $vgpr3
	s_cbranch_execz .LBB278_36
.LBB278_25:
	s_mov_b32 s1, exec_lo
	v_cmpx_gt_u32_e32 0xa1, v0
	s_cbranch_execz .LBB278_27
; %bb.26:
	ds_load_b32 v2, v1 offset:1472
	ds_load_b32 v3, v1
	s_waitcnt lgkmcnt(0)
	v_add_f32_e32 v2, v2, v3
	ds_store_b32 v1, v2
.LBB278_27:
	s_or_b32 exec_lo, exec_lo, s1
	s_delay_alu instid0(SALU_CYCLE_1)
	s_mov_b32 s1, exec_lo
	s_waitcnt lgkmcnt(0)
	s_barrier
	buffer_gl0_inv
	v_cmpx_gt_u32_e32 0xb8, v0
	s_cbranch_execz .LBB278_29
; %bb.28:
	ds_load_2addr_b32 v[2:3], v1 offset1:184
	s_waitcnt lgkmcnt(0)
	v_add_f32_e32 v2, v3, v2
	ds_store_b32 v1, v2
.LBB278_29:
	s_or_b32 exec_lo, exec_lo, s1
	s_delay_alu instid0(SALU_CYCLE_1)
	s_mov_b32 s1, exec_lo
	s_waitcnt lgkmcnt(0)
	s_barrier
	buffer_gl0_inv
	v_cmpx_gt_u32_e32 0x5c, v0
	s_cbranch_execz .LBB278_31
; %bb.30:
	ds_load_2addr_b32 v[2:3], v1 offset1:92
	s_waitcnt lgkmcnt(0)
	v_add_f32_e32 v2, v3, v2
	ds_store_b32 v1, v2
.LBB278_31:
	s_or_b32 exec_lo, exec_lo, s1
	s_delay_alu instid0(SALU_CYCLE_1)
	s_mov_b32 s1, exec_lo
	s_waitcnt lgkmcnt(0)
	s_barrier
	buffer_gl0_inv
	v_cmpx_gt_u32_e32 46, v0
	s_cbranch_execz .LBB278_33
; %bb.32:
	ds_load_2addr_b32 v[2:3], v1 offset1:46
	s_waitcnt lgkmcnt(0)
	v_add_f32_e32 v2, v3, v2
	ds_store_b32 v1, v2
.LBB278_33:
	s_or_b32 exec_lo, exec_lo, s1
	s_delay_alu instid0(SALU_CYCLE_1)
	s_mov_b32 s1, exec_lo
	s_waitcnt lgkmcnt(0)
	buffer_gl0_inv
                                        ; implicit-def: $vgpr2
	v_cmpx_gt_u32_e32 23, v0
; %bb.34:
	v_add_nc_u32_e32 v2, 23, v0
	s_or_b32 s0, s0, exec_lo
                                        ; implicit-def: $vgpr7
; %bb.35:
	s_or_b32 exec_lo, exec_lo, s1
	v_mov_b32_e32 v3, v1
.LBB278_36:
	s_and_saveexec_b32 s1, s0
	s_cbranch_execz .LBB278_38
; %bb.37:
	v_lshlrev_b32_e32 v1, 2, v2
	ds_load_b32 v2, v3
	ds_load_b32 v1, v1
	s_waitcnt lgkmcnt(0)
	v_add_f32_e32 v7, v2, v1
.LBB278_38:
	s_or_b32 exec_lo, exec_lo, s1
	s_delay_alu instid0(SALU_CYCLE_1)
	s_mov_b32 s0, exec_lo
	v_cmpx_gt_u32_e32 23, v0
	s_cbranch_execz .LBB278_42
; %bb.39:
	v_cmp_eq_f32_e64 s1, s8, 0
	v_mul_f32_e32 v1, s12, v7
	s_mov_b32 s3, 0
	s_mul_i32 s0, s11, 0x5c
	s_mul_i32 s2, s10, 0x5c
	s_and_b32 vcc_lo, exec_lo, s1
	s_mul_hi_u32 s1, s10, 0x5c
	s_cbranch_vccz .LBB278_43
; %bb.40:
	v_lshlrev_b32_e32 v2, 2, v0
	s_add_i32 s7, s1, s0
	s_add_u32 s6, s4, s2
	s_addc_u32 s7, s5, s7
	global_store_b32 v2, v1, s[6:7]
	s_and_not1_b32 vcc_lo, exec_lo, s3
	s_cbranch_vccnz .LBB278_42
.LBB278_41:
	v_lshlrev_b32_e32 v0, 2, v0
	s_add_i32 s1, s1, s0
	s_add_u32 s0, s4, s2
	s_addc_u32 s1, s5, s1
	global_load_b32 v2, v0, s[0:1]
	s_waitcnt vmcnt(0)
	v_fmac_f32_e32 v1, s8, v2
	global_store_b32 v0, v1, s[0:1]
.LBB278_42:
	s_nop 0
	s_sendmsg sendmsg(MSG_DEALLOC_VGPRS)
	s_endpgm
.LBB278_43:
	s_branch .LBB278_41
	.section	.rodata,"a",@progbits
	.p2align	6, 0x0
	.amdhsa_kernel _ZN9rocsparseL20bsrxmvn_17_32_kernelILj23EfllaafEEvT2_20rocsparse_direction_NS_24const_host_device_scalarIT0_EES1_PKS1_PKT1_SA_S7_PKT3_PKT4_S5_PT5_21rocsparse_index_base_b
		.amdhsa_group_segment_fixed_size 2116
		.amdhsa_private_segment_fixed_size 0
		.amdhsa_kernarg_size 104
		.amdhsa_user_sgpr_count 15
		.amdhsa_user_sgpr_dispatch_ptr 0
		.amdhsa_user_sgpr_queue_ptr 0
		.amdhsa_user_sgpr_kernarg_segment_ptr 1
		.amdhsa_user_sgpr_dispatch_id 0
		.amdhsa_user_sgpr_private_segment_size 0
		.amdhsa_wavefront_size32 1
		.amdhsa_uses_dynamic_stack 0
		.amdhsa_enable_private_segment 0
		.amdhsa_system_sgpr_workgroup_id_x 1
		.amdhsa_system_sgpr_workgroup_id_y 0
		.amdhsa_system_sgpr_workgroup_id_z 0
		.amdhsa_system_sgpr_workgroup_info 0
		.amdhsa_system_vgpr_workitem_id 0
		.amdhsa_next_free_vgpr 15
		.amdhsa_next_free_sgpr 24
		.amdhsa_reserve_vcc 1
		.amdhsa_float_round_mode_32 0
		.amdhsa_float_round_mode_16_64 0
		.amdhsa_float_denorm_mode_32 3
		.amdhsa_float_denorm_mode_16_64 3
		.amdhsa_dx10_clamp 1
		.amdhsa_ieee_mode 1
		.amdhsa_fp16_overflow 0
		.amdhsa_workgroup_processor_mode 1
		.amdhsa_memory_ordered 1
		.amdhsa_forward_progress 0
		.amdhsa_shared_vgpr_count 0
		.amdhsa_exception_fp_ieee_invalid_op 0
		.amdhsa_exception_fp_denorm_src 0
		.amdhsa_exception_fp_ieee_div_zero 0
		.amdhsa_exception_fp_ieee_overflow 0
		.amdhsa_exception_fp_ieee_underflow 0
		.amdhsa_exception_fp_ieee_inexact 0
		.amdhsa_exception_int_div_zero 0
	.end_amdhsa_kernel
	.section	.text._ZN9rocsparseL20bsrxmvn_17_32_kernelILj23EfllaafEEvT2_20rocsparse_direction_NS_24const_host_device_scalarIT0_EES1_PKS1_PKT1_SA_S7_PKT3_PKT4_S5_PT5_21rocsparse_index_base_b,"axG",@progbits,_ZN9rocsparseL20bsrxmvn_17_32_kernelILj23EfllaafEEvT2_20rocsparse_direction_NS_24const_host_device_scalarIT0_EES1_PKS1_PKT1_SA_S7_PKT3_PKT4_S5_PT5_21rocsparse_index_base_b,comdat
.Lfunc_end278:
	.size	_ZN9rocsparseL20bsrxmvn_17_32_kernelILj23EfllaafEEvT2_20rocsparse_direction_NS_24const_host_device_scalarIT0_EES1_PKS1_PKT1_SA_S7_PKT3_PKT4_S5_PT5_21rocsparse_index_base_b, .Lfunc_end278-_ZN9rocsparseL20bsrxmvn_17_32_kernelILj23EfllaafEEvT2_20rocsparse_direction_NS_24const_host_device_scalarIT0_EES1_PKS1_PKT1_SA_S7_PKT3_PKT4_S5_PT5_21rocsparse_index_base_b
                                        ; -- End function
	.section	.AMDGPU.csdata,"",@progbits
; Kernel info:
; codeLenInByte = 1608
; NumSgprs: 26
; NumVgprs: 15
; ScratchSize: 0
; MemoryBound: 0
; FloatMode: 240
; IeeeMode: 1
; LDSByteSize: 2116 bytes/workgroup (compile time only)
; SGPRBlocks: 3
; VGPRBlocks: 1
; NumSGPRsForWavesPerEU: 26
; NumVGPRsForWavesPerEU: 15
; Occupancy: 13
; WaveLimiterHint : 1
; COMPUTE_PGM_RSRC2:SCRATCH_EN: 0
; COMPUTE_PGM_RSRC2:USER_SGPR: 15
; COMPUTE_PGM_RSRC2:TRAP_HANDLER: 0
; COMPUTE_PGM_RSRC2:TGID_X_EN: 1
; COMPUTE_PGM_RSRC2:TGID_Y_EN: 0
; COMPUTE_PGM_RSRC2:TGID_Z_EN: 0
; COMPUTE_PGM_RSRC2:TIDIG_COMP_CNT: 0
	.section	.text._ZN9rocsparseL20bsrxmvn_17_32_kernelILj24EfllaafEEvT2_20rocsparse_direction_NS_24const_host_device_scalarIT0_EES1_PKS1_PKT1_SA_S7_PKT3_PKT4_S5_PT5_21rocsparse_index_base_b,"axG",@progbits,_ZN9rocsparseL20bsrxmvn_17_32_kernelILj24EfllaafEEvT2_20rocsparse_direction_NS_24const_host_device_scalarIT0_EES1_PKS1_PKT1_SA_S7_PKT3_PKT4_S5_PT5_21rocsparse_index_base_b,comdat
	.globl	_ZN9rocsparseL20bsrxmvn_17_32_kernelILj24EfllaafEEvT2_20rocsparse_direction_NS_24const_host_device_scalarIT0_EES1_PKS1_PKT1_SA_S7_PKT3_PKT4_S5_PT5_21rocsparse_index_base_b ; -- Begin function _ZN9rocsparseL20bsrxmvn_17_32_kernelILj24EfllaafEEvT2_20rocsparse_direction_NS_24const_host_device_scalarIT0_EES1_PKS1_PKT1_SA_S7_PKT3_PKT4_S5_PT5_21rocsparse_index_base_b
	.p2align	8
	.type	_ZN9rocsparseL20bsrxmvn_17_32_kernelILj24EfllaafEEvT2_20rocsparse_direction_NS_24const_host_device_scalarIT0_EES1_PKS1_PKT1_SA_S7_PKT3_PKT4_S5_PT5_21rocsparse_index_base_b,@function
_ZN9rocsparseL20bsrxmvn_17_32_kernelILj24EfllaafEEvT2_20rocsparse_direction_NS_24const_host_device_scalarIT0_EES1_PKS1_PKT1_SA_S7_PKT3_PKT4_S5_PT5_21rocsparse_index_base_b: ; @_ZN9rocsparseL20bsrxmvn_17_32_kernelILj24EfllaafEEvT2_20rocsparse_direction_NS_24const_host_device_scalarIT0_EES1_PKS1_PKT1_SA_S7_PKT3_PKT4_S5_PT5_21rocsparse_index_base_b
; %bb.0:
	s_mov_b32 s10, s15
	s_clause 0x2
	s_load_b64 s[14:15], s[0:1], 0x60
	s_load_b64 s[12:13], s[0:1], 0x10
	;; [unrolled: 1-line block ×3, first 2 shown]
	s_waitcnt lgkmcnt(0)
	s_bitcmp1_b32 s15, 0
	s_cselect_b32 s2, -1, 0
	s_delay_alu instid0(SALU_CYCLE_1)
	s_and_b32 vcc_lo, exec_lo, s2
	s_xor_b32 s2, s2, -1
	s_cbranch_vccnz .LBB279_2
; %bb.1:
	s_load_b32 s12, s[12:13], 0x0
.LBB279_2:
	s_and_not1_b32 vcc_lo, exec_lo, s2
	s_cbranch_vccnz .LBB279_4
; %bb.3:
	s_load_b32 s8, s[8:9], 0x0
.LBB279_4:
	s_waitcnt lgkmcnt(0)
	v_cmp_neq_f32_e64 s2, s12, 0
	v_cmp_neq_f32_e64 s3, s8, 1.0
	s_mov_b32 s11, 0
	s_delay_alu instid0(VALU_DEP_1) | instskip(NEXT) | instid1(SALU_CYCLE_1)
	s_or_b32 s2, s2, s3
	s_and_not1_b32 vcc_lo, exec_lo, s2
	s_cbranch_vccnz .LBB279_42
; %bb.5:
	s_clause 0x1
	s_load_b128 s[4:7], s[0:1], 0x20
	s_load_b64 s[16:17], s[0:1], 0x30
	s_waitcnt lgkmcnt(0)
	s_cmp_eq_u64 s[4:5], 0
	s_cbranch_scc1 .LBB279_7
; %bb.6:
	s_lshl_b64 s[2:3], s[10:11], 3
	s_delay_alu instid0(SALU_CYCLE_1)
	s_add_u32 s2, s4, s2
	s_addc_u32 s3, s5, s3
	s_load_b64 s[2:3], s[2:3], 0x0
	s_waitcnt lgkmcnt(0)
	s_sub_u32 s10, s2, s14
	s_subb_u32 s11, s3, 0
.LBB279_7:
	s_load_b32 s3, s[0:1], 0x8
	v_mul_u32_u24_e32 v1, 0xaab, v0
	v_mov_b32_e32 v7, 0
	s_delay_alu instid0(VALU_DEP_2) | instskip(NEXT) | instid1(VALU_DEP_1)
	v_lshrrev_b32_e32 v1, 16, v1
	v_mul_lo_u16 v2, v1, 24
	s_delay_alu instid0(VALU_DEP_1)
	v_sub_nc_u16 v8, v0, v2
	s_waitcnt lgkmcnt(0)
	s_cmp_eq_u32 s3, 1
	s_cselect_b32 s2, -1, 0
	s_cmp_lg_u32 s3, 1
	s_cselect_b32 s3, -1, 0
	s_lshl_b64 s[4:5], s[10:11], 3
	s_delay_alu instid0(SALU_CYCLE_1)
	s_add_u32 s6, s6, s4
	s_addc_u32 s7, s7, s5
	s_add_u32 s9, s6, 8
	s_addc_u32 s13, s7, 0
	;; [unrolled: 2-line block ×3, first 2 shown]
	s_cmp_eq_u64 s[16:17], 0
	s_cselect_b32 s5, s13, s5
	s_cselect_b32 s4, s9, s4
	s_load_b64 s[16:17], s[6:7], 0x0
	s_load_b64 s[6:7], s[4:5], 0x0
	;; [unrolled: 1-line block ×3, first 2 shown]
	s_waitcnt lgkmcnt(0)
	v_cmp_ge_i64_e64 s9, s[16:17], s[6:7]
	s_delay_alu instid0(VALU_DEP_1)
	s_and_b32 vcc_lo, exec_lo, s9
	s_cbranch_vccnz .LBB279_12
; %bb.8:
	s_clause 0x1
	s_load_b64 s[18:19], s[0:1], 0x48
	s_load_b128 s[20:23], s[0:1], 0x38
	v_and_b32_e32 v1, 0xffff, v1
	v_cmp_gt_u32_e32 vcc_lo, 0x240, v0
	v_and_b32_e32 v3, 0xffff, v8
	s_sub_u32 s0, s6, s14
	s_subb_u32 s1, s7, 0
	v_subrev_nc_u32_e32 v2, 24, v1
	s_sub_u32 s6, s16, s14
	s_subb_u32 s7, s17, 0
	s_mul_i32 s13, s6, 0x240
	v_mov_b32_e32 v7, 0
	v_cndmask_b32_e32 v1, v2, v1, vcc_lo
	v_cmp_lt_u32_e32 vcc_lo, 0x23f, v0
	s_delay_alu instid0(VALU_DEP_2) | instskip(SKIP_3) | instid1(VALU_DEP_2)
	v_cndmask_b32_e64 v1, v3, v1, s2
	v_cndmask_b32_e64 v9, 0, 1, vcc_lo
	s_mul_i32 s2, s7, 0x240
	s_waitcnt lgkmcnt(0)
	v_add_co_u32 v1, s9, s18, v1
	s_delay_alu instid0(VALU_DEP_1) | instskip(SKIP_1) | instid1(VALU_DEP_1)
	v_add_co_ci_u32_e64 v2, null, s19, 0, s9
	v_add_co_u32 v3, s9, s16, v9
	v_add_co_ci_u32_e64 v4, null, s17, 0, s9
	s_mul_hi_u32 s9, s6, 0x240
	s_delay_alu instid0(VALU_DEP_2) | instskip(NEXT) | instid1(VALU_DEP_2)
	v_sub_co_u32 v3, vcc_lo, v3, s14
	v_subrev_co_ci_u32_e32 v4, vcc_lo, 0, v4, vcc_lo
	s_add_i32 s9, s9, s2
	s_add_u32 s2, s22, s13
	s_addc_u32 s9, s23, s9
	s_delay_alu instid0(VALU_DEP_1) | instskip(SKIP_1) | instid1(VALU_DEP_1)
	v_lshlrev_b64 v[5:6], 3, v[3:4]
	v_add_co_u32 v3, s2, s2, v0
	v_add_co_ci_u32_e64 v4, null, s9, 0, s2
	s_delay_alu instid0(VALU_DEP_3) | instskip(NEXT) | instid1(VALU_DEP_4)
	v_add_co_u32 v5, vcc_lo, s20, v5
	v_add_co_ci_u32_e32 v6, vcc_lo, s21, v6, vcc_lo
	s_set_inst_prefetch_distance 0x1
	s_branch .LBB279_10
	.p2align	6
.LBB279_9:                              ;   in Loop: Header=BB279_10 Depth=1
	s_or_b32 exec_lo, exec_lo, s2
	s_add_u32 s6, s6, 1
	s_addc_u32 s7, s7, 0
	v_add_co_u32 v5, vcc_lo, v5, 8
	v_cmp_lt_i64_e64 s2, s[6:7], s[0:1]
	v_add_co_ci_u32_e32 v6, vcc_lo, 0, v6, vcc_lo
	s_delay_alu instid0(VALU_DEP_2)
	s_and_b32 vcc_lo, exec_lo, s2
	s_cbranch_vccz .LBB279_12
.LBB279_10:                             ; =>This Inner Loop Header: Depth=1
	v_add_co_u32 v10, s2, v9, s6
	s_delay_alu instid0(VALU_DEP_1) | instskip(SKIP_1) | instid1(VALU_DEP_1)
	v_add_co_ci_u32_e64 v11, null, 0, s7, s2
	s_mov_b32 s2, exec_lo
	v_cmpx_gt_i64_e64 s[0:1], v[10:11]
	s_cbranch_execz .LBB279_9
; %bb.11:                               ;   in Loop: Header=BB279_10 Depth=1
	global_load_b64 v[10:11], v[5:6], off
	s_waitcnt vmcnt(0)
	v_sub_co_u32 v12, vcc_lo, v10, s14
	v_subrev_co_ci_u32_e32 v14, vcc_lo, 0, v11, vcc_lo
	s_delay_alu instid0(VALU_DEP_2) | instskip(NEXT) | instid1(VALU_DEP_1)
	v_mad_u64_u32 v[10:11], null, v12, 24, v[1:2]
	v_mad_u64_u32 v[12:13], null, v14, 24, v[11:12]
	s_delay_alu instid0(VALU_DEP_1)
	v_mov_b32_e32 v11, v12
	global_load_i8 v12, v[3:4], off
	global_load_i8 v10, v[10:11], off
	v_add_co_u32 v3, vcc_lo, 0x240, v3
	v_add_co_ci_u32_e32 v4, vcc_lo, 0, v4, vcc_lo
	s_waitcnt vmcnt(1)
	v_cvt_f32_i32_e32 v11, v12
	s_waitcnt vmcnt(0)
	v_cvt_f32_i32_e32 v10, v10
	s_delay_alu instid0(VALU_DEP_1)
	v_fmac_f32_e32 v7, v11, v10
	s_branch .LBB279_9
.LBB279_12:
	s_set_inst_prefetch_distance 0x2
	v_lshlrev_b32_e32 v1, 2, v0
	s_and_b32 vcc_lo, exec_lo, s3
	ds_store_b32 v1, v7
	s_waitcnt lgkmcnt(0)
	s_barrier
	buffer_gl0_inv
	s_cbranch_vccz .LBB279_24
; %bb.13:
	v_cmp_gt_u16_e32 vcc_lo, 8, v8
	s_and_saveexec_b32 s0, vcc_lo
	s_cbranch_execz .LBB279_15
; %bb.14:
	ds_load_2addr_b32 v[2:3], v1 offset1:16
	s_waitcnt lgkmcnt(0)
	v_add_f32_e32 v2, v3, v2
	ds_store_b32 v1, v2
.LBB279_15:
	s_or_b32 exec_lo, exec_lo, s0
	s_waitcnt lgkmcnt(0)
	s_barrier
	buffer_gl0_inv
	s_and_saveexec_b32 s0, vcc_lo
	s_cbranch_execz .LBB279_17
; %bb.16:
	ds_load_2addr_b32 v[2:3], v1 offset1:8
	s_waitcnt lgkmcnt(0)
	v_add_f32_e32 v2, v3, v2
	ds_store_b32 v1, v2
.LBB279_17:
	s_or_b32 exec_lo, exec_lo, s0
	s_delay_alu instid0(SALU_CYCLE_1)
	s_mov_b32 s0, exec_lo
	s_waitcnt lgkmcnt(0)
	s_barrier
	buffer_gl0_inv
	v_cmpx_gt_u16_e32 4, v8
	s_cbranch_execz .LBB279_19
; %bb.18:
	ds_load_2addr_b32 v[2:3], v1 offset1:4
	s_waitcnt lgkmcnt(0)
	v_add_f32_e32 v2, v3, v2
	ds_store_b32 v1, v2
.LBB279_19:
	s_or_b32 exec_lo, exec_lo, s0
	s_delay_alu instid0(SALU_CYCLE_1)
	s_mov_b32 s0, exec_lo
	s_waitcnt lgkmcnt(0)
	s_barrier
	buffer_gl0_inv
	v_cmpx_gt_u16_e32 2, v8
	s_cbranch_execz .LBB279_21
; %bb.20:
	ds_load_2addr_b32 v[2:3], v1 offset1:2
	s_waitcnt lgkmcnt(0)
	v_add_f32_e32 v2, v3, v2
	ds_store_b32 v1, v2
.LBB279_21:
	s_or_b32 exec_lo, exec_lo, s0
	s_mov_b32 s1, 0
	s_mov_b32 s0, 0
	s_mov_b32 s2, exec_lo
	s_waitcnt lgkmcnt(0)
	s_barrier
	buffer_gl0_inv
                                        ; implicit-def: $vgpr2
                                        ; implicit-def: $vgpr3
	v_cmpx_gt_u32_e32 24, v0
	s_xor_b32 s2, exec_lo, s2
; %bb.22:
	v_mul_u32_u24_e32 v2, 24, v0
	v_mad_u32_u24 v3, 0x5c, v0, v1
	s_mov_b32 s0, exec_lo
	s_delay_alu instid0(VALU_DEP_2)
	v_or_b32_e32 v2, 1, v2
; %bb.23:
	s_or_b32 exec_lo, exec_lo, s2
	s_delay_alu instid0(SALU_CYCLE_1)
	s_and_b32 vcc_lo, exec_lo, s1
	s_cbranch_vccnz .LBB279_25
	s_branch .LBB279_36
.LBB279_24:
	s_mov_b32 s0, 0
                                        ; implicit-def: $vgpr2
                                        ; implicit-def: $vgpr3
	s_cbranch_execz .LBB279_36
.LBB279_25:
	v_cmp_gt_u32_e32 vcc_lo, 0xc0, v0
	s_and_saveexec_b32 s1, vcc_lo
	s_cbranch_execz .LBB279_27
; %bb.26:
	ds_load_2addr_stride64_b32 v[2:3], v1 offset1:6
	s_waitcnt lgkmcnt(0)
	v_add_f32_e32 v2, v3, v2
	ds_store_b32 v1, v2
.LBB279_27:
	s_or_b32 exec_lo, exec_lo, s1
	s_waitcnt lgkmcnt(0)
	s_barrier
	buffer_gl0_inv
	s_and_saveexec_b32 s1, vcc_lo
	s_cbranch_execz .LBB279_29
; %bb.28:
	ds_load_2addr_stride64_b32 v[2:3], v1 offset1:3
	s_waitcnt lgkmcnt(0)
	v_add_f32_e32 v2, v3, v2
	ds_store_b32 v1, v2
.LBB279_29:
	s_or_b32 exec_lo, exec_lo, s1
	s_delay_alu instid0(SALU_CYCLE_1)
	s_mov_b32 s1, exec_lo
	s_waitcnt lgkmcnt(0)
	s_barrier
	buffer_gl0_inv
	v_cmpx_gt_u32_e32 0x60, v0
	s_cbranch_execz .LBB279_31
; %bb.30:
	ds_load_2addr_b32 v[2:3], v1 offset1:96
	s_waitcnt lgkmcnt(0)
	v_add_f32_e32 v2, v3, v2
	ds_store_b32 v1, v2
.LBB279_31:
	s_or_b32 exec_lo, exec_lo, s1
	s_delay_alu instid0(SALU_CYCLE_1)
	s_mov_b32 s1, exec_lo
	s_waitcnt lgkmcnt(0)
	s_barrier
	buffer_gl0_inv
	v_cmpx_gt_u32_e32 48, v0
	s_cbranch_execz .LBB279_33
; %bb.32:
	ds_load_2addr_b32 v[2:3], v1 offset1:48
	s_waitcnt lgkmcnt(0)
	v_add_f32_e32 v2, v3, v2
	ds_store_b32 v1, v2
.LBB279_33:
	s_or_b32 exec_lo, exec_lo, s1
	s_delay_alu instid0(SALU_CYCLE_1)
	s_mov_b32 s1, exec_lo
	s_waitcnt lgkmcnt(0)
	buffer_gl0_inv
                                        ; implicit-def: $vgpr2
	v_cmpx_gt_u32_e32 24, v0
; %bb.34:
	v_add_nc_u32_e32 v2, 24, v0
	s_or_b32 s0, s0, exec_lo
                                        ; implicit-def: $vgpr7
; %bb.35:
	s_or_b32 exec_lo, exec_lo, s1
	v_mov_b32_e32 v3, v1
.LBB279_36:
	s_and_saveexec_b32 s1, s0
	s_cbranch_execz .LBB279_38
; %bb.37:
	v_lshlrev_b32_e32 v1, 2, v2
	ds_load_b32 v2, v3
	ds_load_b32 v1, v1
	s_waitcnt lgkmcnt(0)
	v_add_f32_e32 v7, v2, v1
.LBB279_38:
	s_or_b32 exec_lo, exec_lo, s1
	s_delay_alu instid0(SALU_CYCLE_1)
	s_mov_b32 s0, exec_lo
	v_cmpx_gt_u32_e32 24, v0
	s_cbranch_execz .LBB279_42
; %bb.39:
	v_cmp_eq_f32_e64 s1, s8, 0
	v_mul_f32_e32 v1, s12, v7
	s_mov_b32 s3, 0
	s_mul_i32 s0, s11, 0x60
	s_mul_i32 s2, s10, 0x60
	s_and_b32 vcc_lo, exec_lo, s1
	s_mul_hi_u32 s1, s10, 0x60
	s_cbranch_vccz .LBB279_43
; %bb.40:
	v_lshlrev_b32_e32 v2, 2, v0
	s_add_i32 s7, s1, s0
	s_add_u32 s6, s4, s2
	s_addc_u32 s7, s5, s7
	global_store_b32 v2, v1, s[6:7]
	s_and_not1_b32 vcc_lo, exec_lo, s3
	s_cbranch_vccnz .LBB279_42
.LBB279_41:
	v_lshlrev_b32_e32 v0, 2, v0
	s_add_i32 s1, s1, s0
	s_add_u32 s0, s4, s2
	s_addc_u32 s1, s5, s1
	global_load_b32 v2, v0, s[0:1]
	s_waitcnt vmcnt(0)
	v_fmac_f32_e32 v1, s8, v2
	global_store_b32 v0, v1, s[0:1]
.LBB279_42:
	s_nop 0
	s_sendmsg sendmsg(MSG_DEALLOC_VGPRS)
	s_endpgm
.LBB279_43:
	s_branch .LBB279_41
	.section	.rodata,"a",@progbits
	.p2align	6, 0x0
	.amdhsa_kernel _ZN9rocsparseL20bsrxmvn_17_32_kernelILj24EfllaafEEvT2_20rocsparse_direction_NS_24const_host_device_scalarIT0_EES1_PKS1_PKT1_SA_S7_PKT3_PKT4_S5_PT5_21rocsparse_index_base_b
		.amdhsa_group_segment_fixed_size 2304
		.amdhsa_private_segment_fixed_size 0
		.amdhsa_kernarg_size 104
		.amdhsa_user_sgpr_count 15
		.amdhsa_user_sgpr_dispatch_ptr 0
		.amdhsa_user_sgpr_queue_ptr 0
		.amdhsa_user_sgpr_kernarg_segment_ptr 1
		.amdhsa_user_sgpr_dispatch_id 0
		.amdhsa_user_sgpr_private_segment_size 0
		.amdhsa_wavefront_size32 1
		.amdhsa_uses_dynamic_stack 0
		.amdhsa_enable_private_segment 0
		.amdhsa_system_sgpr_workgroup_id_x 1
		.amdhsa_system_sgpr_workgroup_id_y 0
		.amdhsa_system_sgpr_workgroup_id_z 0
		.amdhsa_system_sgpr_workgroup_info 0
		.amdhsa_system_vgpr_workitem_id 0
		.amdhsa_next_free_vgpr 15
		.amdhsa_next_free_sgpr 24
		.amdhsa_reserve_vcc 1
		.amdhsa_float_round_mode_32 0
		.amdhsa_float_round_mode_16_64 0
		.amdhsa_float_denorm_mode_32 3
		.amdhsa_float_denorm_mode_16_64 3
		.amdhsa_dx10_clamp 1
		.amdhsa_ieee_mode 1
		.amdhsa_fp16_overflow 0
		.amdhsa_workgroup_processor_mode 1
		.amdhsa_memory_ordered 1
		.amdhsa_forward_progress 0
		.amdhsa_shared_vgpr_count 0
		.amdhsa_exception_fp_ieee_invalid_op 0
		.amdhsa_exception_fp_denorm_src 0
		.amdhsa_exception_fp_ieee_div_zero 0
		.amdhsa_exception_fp_ieee_overflow 0
		.amdhsa_exception_fp_ieee_underflow 0
		.amdhsa_exception_fp_ieee_inexact 0
		.amdhsa_exception_int_div_zero 0
	.end_amdhsa_kernel
	.section	.text._ZN9rocsparseL20bsrxmvn_17_32_kernelILj24EfllaafEEvT2_20rocsparse_direction_NS_24const_host_device_scalarIT0_EES1_PKS1_PKT1_SA_S7_PKT3_PKT4_S5_PT5_21rocsparse_index_base_b,"axG",@progbits,_ZN9rocsparseL20bsrxmvn_17_32_kernelILj24EfllaafEEvT2_20rocsparse_direction_NS_24const_host_device_scalarIT0_EES1_PKS1_PKT1_SA_S7_PKT3_PKT4_S5_PT5_21rocsparse_index_base_b,comdat
.Lfunc_end279:
	.size	_ZN9rocsparseL20bsrxmvn_17_32_kernelILj24EfllaafEEvT2_20rocsparse_direction_NS_24const_host_device_scalarIT0_EES1_PKS1_PKT1_SA_S7_PKT3_PKT4_S5_PT5_21rocsparse_index_base_b, .Lfunc_end279-_ZN9rocsparseL20bsrxmvn_17_32_kernelILj24EfllaafEEvT2_20rocsparse_direction_NS_24const_host_device_scalarIT0_EES1_PKS1_PKT1_SA_S7_PKT3_PKT4_S5_PT5_21rocsparse_index_base_b
                                        ; -- End function
	.section	.AMDGPU.csdata,"",@progbits
; Kernel info:
; codeLenInByte = 1584
; NumSgprs: 26
; NumVgprs: 15
; ScratchSize: 0
; MemoryBound: 0
; FloatMode: 240
; IeeeMode: 1
; LDSByteSize: 2304 bytes/workgroup (compile time only)
; SGPRBlocks: 3
; VGPRBlocks: 1
; NumSGPRsForWavesPerEU: 26
; NumVGPRsForWavesPerEU: 15
; Occupancy: 14
; WaveLimiterHint : 1
; COMPUTE_PGM_RSRC2:SCRATCH_EN: 0
; COMPUTE_PGM_RSRC2:USER_SGPR: 15
; COMPUTE_PGM_RSRC2:TRAP_HANDLER: 0
; COMPUTE_PGM_RSRC2:TGID_X_EN: 1
; COMPUTE_PGM_RSRC2:TGID_Y_EN: 0
; COMPUTE_PGM_RSRC2:TGID_Z_EN: 0
; COMPUTE_PGM_RSRC2:TIDIG_COMP_CNT: 0
	.section	.text._ZN9rocsparseL20bsrxmvn_17_32_kernelILj25EfllaafEEvT2_20rocsparse_direction_NS_24const_host_device_scalarIT0_EES1_PKS1_PKT1_SA_S7_PKT3_PKT4_S5_PT5_21rocsparse_index_base_b,"axG",@progbits,_ZN9rocsparseL20bsrxmvn_17_32_kernelILj25EfllaafEEvT2_20rocsparse_direction_NS_24const_host_device_scalarIT0_EES1_PKS1_PKT1_SA_S7_PKT3_PKT4_S5_PT5_21rocsparse_index_base_b,comdat
	.globl	_ZN9rocsparseL20bsrxmvn_17_32_kernelILj25EfllaafEEvT2_20rocsparse_direction_NS_24const_host_device_scalarIT0_EES1_PKS1_PKT1_SA_S7_PKT3_PKT4_S5_PT5_21rocsparse_index_base_b ; -- Begin function _ZN9rocsparseL20bsrxmvn_17_32_kernelILj25EfllaafEEvT2_20rocsparse_direction_NS_24const_host_device_scalarIT0_EES1_PKS1_PKT1_SA_S7_PKT3_PKT4_S5_PT5_21rocsparse_index_base_b
	.p2align	8
	.type	_ZN9rocsparseL20bsrxmvn_17_32_kernelILj25EfllaafEEvT2_20rocsparse_direction_NS_24const_host_device_scalarIT0_EES1_PKS1_PKT1_SA_S7_PKT3_PKT4_S5_PT5_21rocsparse_index_base_b,@function
_ZN9rocsparseL20bsrxmvn_17_32_kernelILj25EfllaafEEvT2_20rocsparse_direction_NS_24const_host_device_scalarIT0_EES1_PKS1_PKT1_SA_S7_PKT3_PKT4_S5_PT5_21rocsparse_index_base_b: ; @_ZN9rocsparseL20bsrxmvn_17_32_kernelILj25EfllaafEEvT2_20rocsparse_direction_NS_24const_host_device_scalarIT0_EES1_PKS1_PKT1_SA_S7_PKT3_PKT4_S5_PT5_21rocsparse_index_base_b
; %bb.0:
	s_mov_b32 s10, s15
	s_clause 0x2
	s_load_b64 s[14:15], s[0:1], 0x60
	s_load_b64 s[12:13], s[0:1], 0x10
	;; [unrolled: 1-line block ×3, first 2 shown]
	s_waitcnt lgkmcnt(0)
	s_bitcmp1_b32 s15, 0
	s_cselect_b32 s2, -1, 0
	s_delay_alu instid0(SALU_CYCLE_1)
	s_and_b32 vcc_lo, exec_lo, s2
	s_xor_b32 s2, s2, -1
	s_cbranch_vccnz .LBB280_2
; %bb.1:
	s_load_b32 s12, s[12:13], 0x0
.LBB280_2:
	s_and_not1_b32 vcc_lo, exec_lo, s2
	s_cbranch_vccnz .LBB280_4
; %bb.3:
	s_load_b32 s8, s[8:9], 0x0
.LBB280_4:
	s_waitcnt lgkmcnt(0)
	v_cmp_neq_f32_e64 s2, s12, 0
	v_cmp_neq_f32_e64 s3, s8, 1.0
	s_mov_b32 s11, 0
	s_delay_alu instid0(VALU_DEP_1) | instskip(NEXT) | instid1(SALU_CYCLE_1)
	s_or_b32 s2, s2, s3
	s_and_not1_b32 vcc_lo, exec_lo, s2
	s_cbranch_vccnz .LBB280_42
; %bb.5:
	s_clause 0x1
	s_load_b128 s[4:7], s[0:1], 0x20
	s_load_b64 s[16:17], s[0:1], 0x30
	s_waitcnt lgkmcnt(0)
	s_cmp_eq_u64 s[4:5], 0
	s_cbranch_scc1 .LBB280_7
; %bb.6:
	s_lshl_b64 s[2:3], s[10:11], 3
	s_delay_alu instid0(SALU_CYCLE_1)
	s_add_u32 s2, s4, s2
	s_addc_u32 s3, s5, s3
	s_load_b64 s[2:3], s[2:3], 0x0
	s_waitcnt lgkmcnt(0)
	s_sub_u32 s10, s2, s14
	s_subb_u32 s11, s3, 0
.LBB280_7:
	s_load_b32 s3, s[0:1], 0x8
	v_mul_u32_u24_e32 v1, 0xa3e, v0
	v_mov_b32_e32 v7, 0
	s_delay_alu instid0(VALU_DEP_2) | instskip(NEXT) | instid1(VALU_DEP_1)
	v_lshrrev_b32_e32 v1, 16, v1
	v_mul_lo_u16 v2, v1, 25
	s_delay_alu instid0(VALU_DEP_1)
	v_sub_nc_u16 v8, v0, v2
	s_waitcnt lgkmcnt(0)
	s_cmp_eq_u32 s3, 1
	s_cselect_b32 s2, -1, 0
	s_cmp_lg_u32 s3, 1
	s_cselect_b32 s3, -1, 0
	s_lshl_b64 s[4:5], s[10:11], 3
	s_delay_alu instid0(SALU_CYCLE_1)
	s_add_u32 s6, s6, s4
	s_addc_u32 s7, s7, s5
	s_add_u32 s9, s6, 8
	s_addc_u32 s13, s7, 0
	;; [unrolled: 2-line block ×3, first 2 shown]
	s_cmp_eq_u64 s[16:17], 0
	s_cselect_b32 s5, s13, s5
	s_cselect_b32 s4, s9, s4
	s_load_b64 s[16:17], s[6:7], 0x0
	s_load_b64 s[6:7], s[4:5], 0x0
	;; [unrolled: 1-line block ×3, first 2 shown]
	s_waitcnt lgkmcnt(0)
	v_cmp_ge_i64_e64 s9, s[16:17], s[6:7]
	s_delay_alu instid0(VALU_DEP_1)
	s_and_b32 vcc_lo, exec_lo, s9
	s_cbranch_vccnz .LBB280_12
; %bb.8:
	s_clause 0x1
	s_load_b64 s[18:19], s[0:1], 0x48
	s_load_b128 s[20:23], s[0:1], 0x38
	v_and_b32_e32 v1, 0xffff, v1
	v_cmp_gt_u32_e32 vcc_lo, 0x271, v0
	v_and_b32_e32 v3, 0xffff, v8
	s_sub_u32 s0, s6, s14
	s_subb_u32 s1, s7, 0
	v_subrev_nc_u32_e32 v2, 25, v1
	s_sub_u32 s6, s16, s14
	s_subb_u32 s7, s17, 0
	s_mul_i32 s13, s6, 0x271
	v_mov_b32_e32 v7, 0
	v_cndmask_b32_e32 v1, v2, v1, vcc_lo
	v_cmp_lt_u32_e32 vcc_lo, 0x270, v0
	s_delay_alu instid0(VALU_DEP_2) | instskip(SKIP_3) | instid1(VALU_DEP_2)
	v_cndmask_b32_e64 v1, v3, v1, s2
	v_cndmask_b32_e64 v9, 0, 1, vcc_lo
	s_mul_i32 s2, s7, 0x271
	s_waitcnt lgkmcnt(0)
	v_add_co_u32 v1, s9, s18, v1
	s_delay_alu instid0(VALU_DEP_1) | instskip(SKIP_1) | instid1(VALU_DEP_1)
	v_add_co_ci_u32_e64 v2, null, s19, 0, s9
	v_add_co_u32 v3, s9, s16, v9
	v_add_co_ci_u32_e64 v4, null, s17, 0, s9
	s_mul_hi_u32 s9, s6, 0x271
	s_delay_alu instid0(VALU_DEP_2) | instskip(NEXT) | instid1(VALU_DEP_2)
	v_sub_co_u32 v3, vcc_lo, v3, s14
	v_subrev_co_ci_u32_e32 v4, vcc_lo, 0, v4, vcc_lo
	s_add_i32 s9, s9, s2
	s_add_u32 s2, s22, s13
	s_addc_u32 s9, s23, s9
	s_delay_alu instid0(VALU_DEP_1) | instskip(SKIP_1) | instid1(VALU_DEP_1)
	v_lshlrev_b64 v[5:6], 3, v[3:4]
	v_add_co_u32 v3, s2, s2, v0
	v_add_co_ci_u32_e64 v4, null, s9, 0, s2
	s_delay_alu instid0(VALU_DEP_3) | instskip(NEXT) | instid1(VALU_DEP_4)
	v_add_co_u32 v5, vcc_lo, s20, v5
	v_add_co_ci_u32_e32 v6, vcc_lo, s21, v6, vcc_lo
	s_set_inst_prefetch_distance 0x1
	s_branch .LBB280_10
	.p2align	6
.LBB280_9:                              ;   in Loop: Header=BB280_10 Depth=1
	s_or_b32 exec_lo, exec_lo, s2
	s_add_u32 s6, s6, 1
	s_addc_u32 s7, s7, 0
	v_add_co_u32 v5, vcc_lo, v5, 8
	v_cmp_lt_i64_e64 s2, s[6:7], s[0:1]
	v_add_co_ci_u32_e32 v6, vcc_lo, 0, v6, vcc_lo
	s_delay_alu instid0(VALU_DEP_2)
	s_and_b32 vcc_lo, exec_lo, s2
	s_cbranch_vccz .LBB280_12
.LBB280_10:                             ; =>This Inner Loop Header: Depth=1
	v_add_co_u32 v10, s2, v9, s6
	s_delay_alu instid0(VALU_DEP_1) | instskip(SKIP_1) | instid1(VALU_DEP_1)
	v_add_co_ci_u32_e64 v11, null, 0, s7, s2
	s_mov_b32 s2, exec_lo
	v_cmpx_gt_i64_e64 s[0:1], v[10:11]
	s_cbranch_execz .LBB280_9
; %bb.11:                               ;   in Loop: Header=BB280_10 Depth=1
	global_load_b64 v[10:11], v[5:6], off
	s_waitcnt vmcnt(0)
	v_sub_co_u32 v12, vcc_lo, v10, s14
	v_subrev_co_ci_u32_e32 v14, vcc_lo, 0, v11, vcc_lo
	s_delay_alu instid0(VALU_DEP_2) | instskip(NEXT) | instid1(VALU_DEP_1)
	v_mad_u64_u32 v[10:11], null, v12, 25, v[1:2]
	v_mad_u64_u32 v[12:13], null, v14, 25, v[11:12]
	s_delay_alu instid0(VALU_DEP_1)
	v_mov_b32_e32 v11, v12
	global_load_i8 v12, v[3:4], off
	global_load_i8 v10, v[10:11], off
	v_add_co_u32 v3, vcc_lo, 0x271, v3
	v_add_co_ci_u32_e32 v4, vcc_lo, 0, v4, vcc_lo
	s_waitcnt vmcnt(1)
	v_cvt_f32_i32_e32 v11, v12
	s_waitcnt vmcnt(0)
	v_cvt_f32_i32_e32 v10, v10
	s_delay_alu instid0(VALU_DEP_1)
	v_fmac_f32_e32 v7, v11, v10
	s_branch .LBB280_9
.LBB280_12:
	s_set_inst_prefetch_distance 0x2
	v_lshlrev_b32_e32 v1, 2, v0
	s_and_b32 vcc_lo, exec_lo, s3
	ds_store_b32 v1, v7
	s_waitcnt lgkmcnt(0)
	s_barrier
	buffer_gl0_inv
	s_cbranch_vccz .LBB280_24
; %bb.13:
	s_mov_b32 s0, exec_lo
	v_cmpx_gt_u16_e32 9, v8
	s_cbranch_execz .LBB280_15
; %bb.14:
	ds_load_2addr_b32 v[2:3], v1 offset1:16
	s_waitcnt lgkmcnt(0)
	v_add_f32_e32 v2, v3, v2
	ds_store_b32 v1, v2
.LBB280_15:
	s_or_b32 exec_lo, exec_lo, s0
	s_delay_alu instid0(SALU_CYCLE_1)
	s_mov_b32 s0, exec_lo
	s_waitcnt lgkmcnt(0)
	s_barrier
	buffer_gl0_inv
	v_cmpx_gt_u16_e32 8, v8
	s_cbranch_execz .LBB280_17
; %bb.16:
	ds_load_2addr_b32 v[2:3], v1 offset1:8
	s_waitcnt lgkmcnt(0)
	v_add_f32_e32 v2, v3, v2
	ds_store_b32 v1, v2
.LBB280_17:
	s_or_b32 exec_lo, exec_lo, s0
	s_delay_alu instid0(SALU_CYCLE_1)
	s_mov_b32 s0, exec_lo
	s_waitcnt lgkmcnt(0)
	s_barrier
	buffer_gl0_inv
	;; [unrolled: 14-line block ×3, first 2 shown]
	v_cmpx_gt_u16_e32 2, v8
	s_cbranch_execz .LBB280_21
; %bb.20:
	ds_load_2addr_b32 v[2:3], v1 offset1:2
	s_waitcnt lgkmcnt(0)
	v_add_f32_e32 v2, v3, v2
	ds_store_b32 v1, v2
.LBB280_21:
	s_or_b32 exec_lo, exec_lo, s0
	s_mov_b32 s1, 0
	s_mov_b32 s0, 0
	s_mov_b32 s2, exec_lo
	s_waitcnt lgkmcnt(0)
	s_barrier
	buffer_gl0_inv
                                        ; implicit-def: $vgpr2
                                        ; implicit-def: $vgpr3
	v_cmpx_gt_u32_e32 25, v0
	s_xor_b32 s2, exec_lo, s2
; %bb.22:
	v_mad_u32_u24 v2, v0, 25, 1
	v_mad_u32_u24 v3, 0x60, v0, v1
	s_mov_b32 s0, exec_lo
; %bb.23:
	s_or_b32 exec_lo, exec_lo, s2
	s_delay_alu instid0(SALU_CYCLE_1)
	s_and_b32 vcc_lo, exec_lo, s1
	s_cbranch_vccnz .LBB280_25
	s_branch .LBB280_36
.LBB280_24:
	s_mov_b32 s0, 0
                                        ; implicit-def: $vgpr2
                                        ; implicit-def: $vgpr3
	s_cbranch_execz .LBB280_36
.LBB280_25:
	s_mov_b32 s1, exec_lo
	v_cmpx_gt_u32_e32 0xe1, v0
	s_cbranch_execz .LBB280_27
; %bb.26:
	ds_load_b32 v2, v1 offset:1600
	ds_load_b32 v3, v1
	s_waitcnt lgkmcnt(0)
	v_add_f32_e32 v2, v2, v3
	ds_store_b32 v1, v2
.LBB280_27:
	s_or_b32 exec_lo, exec_lo, s1
	s_delay_alu instid0(SALU_CYCLE_1)
	s_mov_b32 s1, exec_lo
	s_waitcnt lgkmcnt(0)
	s_barrier
	buffer_gl0_inv
	v_cmpx_gt_u32_e32 0xc8, v0
	s_cbranch_execz .LBB280_29
; %bb.28:
	ds_load_2addr_b32 v[2:3], v1 offset1:200
	s_waitcnt lgkmcnt(0)
	v_add_f32_e32 v2, v3, v2
	ds_store_b32 v1, v2
.LBB280_29:
	s_or_b32 exec_lo, exec_lo, s1
	s_delay_alu instid0(SALU_CYCLE_1)
	s_mov_b32 s1, exec_lo
	s_waitcnt lgkmcnt(0)
	s_barrier
	buffer_gl0_inv
	v_cmpx_gt_u32_e32 0x64, v0
	s_cbranch_execz .LBB280_31
; %bb.30:
	ds_load_2addr_b32 v[2:3], v1 offset1:100
	s_waitcnt lgkmcnt(0)
	v_add_f32_e32 v2, v3, v2
	ds_store_b32 v1, v2
.LBB280_31:
	;; [unrolled: 14-line block ×3, first 2 shown]
	s_or_b32 exec_lo, exec_lo, s1
	s_delay_alu instid0(SALU_CYCLE_1)
	s_mov_b32 s1, exec_lo
	s_waitcnt lgkmcnt(0)
	buffer_gl0_inv
                                        ; implicit-def: $vgpr2
	v_cmpx_gt_u32_e32 25, v0
; %bb.34:
	v_add_nc_u32_e32 v2, 25, v0
	s_or_b32 s0, s0, exec_lo
                                        ; implicit-def: $vgpr7
; %bb.35:
	s_or_b32 exec_lo, exec_lo, s1
	v_mov_b32_e32 v3, v1
.LBB280_36:
	s_and_saveexec_b32 s1, s0
	s_cbranch_execz .LBB280_38
; %bb.37:
	v_lshlrev_b32_e32 v1, 2, v2
	ds_load_b32 v2, v3
	ds_load_b32 v1, v1
	s_waitcnt lgkmcnt(0)
	v_add_f32_e32 v7, v2, v1
.LBB280_38:
	s_or_b32 exec_lo, exec_lo, s1
	s_delay_alu instid0(SALU_CYCLE_1)
	s_mov_b32 s0, exec_lo
	v_cmpx_gt_u32_e32 25, v0
	s_cbranch_execz .LBB280_42
; %bb.39:
	v_cmp_eq_f32_e64 s1, s8, 0
	v_mul_f32_e32 v1, s12, v7
	s_mov_b32 s3, 0
	s_mul_i32 s0, s11, 0x64
	s_mul_i32 s2, s10, 0x64
	s_and_b32 vcc_lo, exec_lo, s1
	s_mul_hi_u32 s1, s10, 0x64
	s_cbranch_vccz .LBB280_43
; %bb.40:
	v_lshlrev_b32_e32 v2, 2, v0
	s_add_i32 s7, s1, s0
	s_add_u32 s6, s4, s2
	s_addc_u32 s7, s5, s7
	global_store_b32 v2, v1, s[6:7]
	s_and_not1_b32 vcc_lo, exec_lo, s3
	s_cbranch_vccnz .LBB280_42
.LBB280_41:
	v_lshlrev_b32_e32 v0, 2, v0
	s_add_i32 s1, s1, s0
	s_add_u32 s0, s4, s2
	s_addc_u32 s1, s5, s1
	global_load_b32 v2, v0, s[0:1]
	s_waitcnt vmcnt(0)
	v_fmac_f32_e32 v1, s8, v2
	global_store_b32 v0, v1, s[0:1]
.LBB280_42:
	s_nop 0
	s_sendmsg sendmsg(MSG_DEALLOC_VGPRS)
	s_endpgm
.LBB280_43:
	s_branch .LBB280_41
	.section	.rodata,"a",@progbits
	.p2align	6, 0x0
	.amdhsa_kernel _ZN9rocsparseL20bsrxmvn_17_32_kernelILj25EfllaafEEvT2_20rocsparse_direction_NS_24const_host_device_scalarIT0_EES1_PKS1_PKT1_SA_S7_PKT3_PKT4_S5_PT5_21rocsparse_index_base_b
		.amdhsa_group_segment_fixed_size 2500
		.amdhsa_private_segment_fixed_size 0
		.amdhsa_kernarg_size 104
		.amdhsa_user_sgpr_count 15
		.amdhsa_user_sgpr_dispatch_ptr 0
		.amdhsa_user_sgpr_queue_ptr 0
		.amdhsa_user_sgpr_kernarg_segment_ptr 1
		.amdhsa_user_sgpr_dispatch_id 0
		.amdhsa_user_sgpr_private_segment_size 0
		.amdhsa_wavefront_size32 1
		.amdhsa_uses_dynamic_stack 0
		.amdhsa_enable_private_segment 0
		.amdhsa_system_sgpr_workgroup_id_x 1
		.amdhsa_system_sgpr_workgroup_id_y 0
		.amdhsa_system_sgpr_workgroup_id_z 0
		.amdhsa_system_sgpr_workgroup_info 0
		.amdhsa_system_vgpr_workitem_id 0
		.amdhsa_next_free_vgpr 15
		.amdhsa_next_free_sgpr 24
		.amdhsa_reserve_vcc 1
		.amdhsa_float_round_mode_32 0
		.amdhsa_float_round_mode_16_64 0
		.amdhsa_float_denorm_mode_32 3
		.amdhsa_float_denorm_mode_16_64 3
		.amdhsa_dx10_clamp 1
		.amdhsa_ieee_mode 1
		.amdhsa_fp16_overflow 0
		.amdhsa_workgroup_processor_mode 1
		.amdhsa_memory_ordered 1
		.amdhsa_forward_progress 0
		.amdhsa_shared_vgpr_count 0
		.amdhsa_exception_fp_ieee_invalid_op 0
		.amdhsa_exception_fp_denorm_src 0
		.amdhsa_exception_fp_ieee_div_zero 0
		.amdhsa_exception_fp_ieee_overflow 0
		.amdhsa_exception_fp_ieee_underflow 0
		.amdhsa_exception_fp_ieee_inexact 0
		.amdhsa_exception_int_div_zero 0
	.end_amdhsa_kernel
	.section	.text._ZN9rocsparseL20bsrxmvn_17_32_kernelILj25EfllaafEEvT2_20rocsparse_direction_NS_24const_host_device_scalarIT0_EES1_PKS1_PKT1_SA_S7_PKT3_PKT4_S5_PT5_21rocsparse_index_base_b,"axG",@progbits,_ZN9rocsparseL20bsrxmvn_17_32_kernelILj25EfllaafEEvT2_20rocsparse_direction_NS_24const_host_device_scalarIT0_EES1_PKS1_PKT1_SA_S7_PKT3_PKT4_S5_PT5_21rocsparse_index_base_b,comdat
.Lfunc_end280:
	.size	_ZN9rocsparseL20bsrxmvn_17_32_kernelILj25EfllaafEEvT2_20rocsparse_direction_NS_24const_host_device_scalarIT0_EES1_PKS1_PKT1_SA_S7_PKT3_PKT4_S5_PT5_21rocsparse_index_base_b, .Lfunc_end280-_ZN9rocsparseL20bsrxmvn_17_32_kernelILj25EfllaafEEvT2_20rocsparse_direction_NS_24const_host_device_scalarIT0_EES1_PKS1_PKT1_SA_S7_PKT3_PKT4_S5_PT5_21rocsparse_index_base_b
                                        ; -- End function
	.section	.AMDGPU.csdata,"",@progbits
; Kernel info:
; codeLenInByte = 1608
; NumSgprs: 26
; NumVgprs: 15
; ScratchSize: 0
; MemoryBound: 0
; FloatMode: 240
; IeeeMode: 1
; LDSByteSize: 2500 bytes/workgroup (compile time only)
; SGPRBlocks: 3
; VGPRBlocks: 1
; NumSGPRsForWavesPerEU: 26
; NumVGPRsForWavesPerEU: 15
; Occupancy: 15
; WaveLimiterHint : 1
; COMPUTE_PGM_RSRC2:SCRATCH_EN: 0
; COMPUTE_PGM_RSRC2:USER_SGPR: 15
; COMPUTE_PGM_RSRC2:TRAP_HANDLER: 0
; COMPUTE_PGM_RSRC2:TGID_X_EN: 1
; COMPUTE_PGM_RSRC2:TGID_Y_EN: 0
; COMPUTE_PGM_RSRC2:TGID_Z_EN: 0
; COMPUTE_PGM_RSRC2:TIDIG_COMP_CNT: 0
	.section	.text._ZN9rocsparseL20bsrxmvn_17_32_kernelILj26EfllaafEEvT2_20rocsparse_direction_NS_24const_host_device_scalarIT0_EES1_PKS1_PKT1_SA_S7_PKT3_PKT4_S5_PT5_21rocsparse_index_base_b,"axG",@progbits,_ZN9rocsparseL20bsrxmvn_17_32_kernelILj26EfllaafEEvT2_20rocsparse_direction_NS_24const_host_device_scalarIT0_EES1_PKS1_PKT1_SA_S7_PKT3_PKT4_S5_PT5_21rocsparse_index_base_b,comdat
	.globl	_ZN9rocsparseL20bsrxmvn_17_32_kernelILj26EfllaafEEvT2_20rocsparse_direction_NS_24const_host_device_scalarIT0_EES1_PKS1_PKT1_SA_S7_PKT3_PKT4_S5_PT5_21rocsparse_index_base_b ; -- Begin function _ZN9rocsparseL20bsrxmvn_17_32_kernelILj26EfllaafEEvT2_20rocsparse_direction_NS_24const_host_device_scalarIT0_EES1_PKS1_PKT1_SA_S7_PKT3_PKT4_S5_PT5_21rocsparse_index_base_b
	.p2align	8
	.type	_ZN9rocsparseL20bsrxmvn_17_32_kernelILj26EfllaafEEvT2_20rocsparse_direction_NS_24const_host_device_scalarIT0_EES1_PKS1_PKT1_SA_S7_PKT3_PKT4_S5_PT5_21rocsparse_index_base_b,@function
_ZN9rocsparseL20bsrxmvn_17_32_kernelILj26EfllaafEEvT2_20rocsparse_direction_NS_24const_host_device_scalarIT0_EES1_PKS1_PKT1_SA_S7_PKT3_PKT4_S5_PT5_21rocsparse_index_base_b: ; @_ZN9rocsparseL20bsrxmvn_17_32_kernelILj26EfllaafEEvT2_20rocsparse_direction_NS_24const_host_device_scalarIT0_EES1_PKS1_PKT1_SA_S7_PKT3_PKT4_S5_PT5_21rocsparse_index_base_b
; %bb.0:
	s_mov_b32 s10, s15
	s_clause 0x2
	s_load_b64 s[14:15], s[0:1], 0x60
	s_load_b64 s[12:13], s[0:1], 0x10
	;; [unrolled: 1-line block ×3, first 2 shown]
	s_waitcnt lgkmcnt(0)
	s_bitcmp1_b32 s15, 0
	s_cselect_b32 s2, -1, 0
	s_delay_alu instid0(SALU_CYCLE_1)
	s_and_b32 vcc_lo, exec_lo, s2
	s_xor_b32 s2, s2, -1
	s_cbranch_vccnz .LBB281_2
; %bb.1:
	s_load_b32 s12, s[12:13], 0x0
.LBB281_2:
	s_and_not1_b32 vcc_lo, exec_lo, s2
	s_cbranch_vccnz .LBB281_4
; %bb.3:
	s_load_b32 s8, s[8:9], 0x0
.LBB281_4:
	s_waitcnt lgkmcnt(0)
	v_cmp_neq_f32_e64 s2, s12, 0
	v_cmp_neq_f32_e64 s3, s8, 1.0
	s_mov_b32 s11, 0
	s_delay_alu instid0(VALU_DEP_1) | instskip(NEXT) | instid1(SALU_CYCLE_1)
	s_or_b32 s2, s2, s3
	s_and_not1_b32 vcc_lo, exec_lo, s2
	s_cbranch_vccnz .LBB281_42
; %bb.5:
	s_clause 0x1
	s_load_b128 s[4:7], s[0:1], 0x20
	s_load_b64 s[16:17], s[0:1], 0x30
	s_waitcnt lgkmcnt(0)
	s_cmp_eq_u64 s[4:5], 0
	s_cbranch_scc1 .LBB281_7
; %bb.6:
	s_lshl_b64 s[2:3], s[10:11], 3
	s_delay_alu instid0(SALU_CYCLE_1)
	s_add_u32 s2, s4, s2
	s_addc_u32 s3, s5, s3
	s_load_b64 s[2:3], s[2:3], 0x0
	s_waitcnt lgkmcnt(0)
	s_sub_u32 s10, s2, s14
	s_subb_u32 s11, s3, 0
.LBB281_7:
	s_load_b32 s3, s[0:1], 0x8
	v_mul_u32_u24_e32 v1, 0x9d9, v0
	v_mov_b32_e32 v7, 0
	s_delay_alu instid0(VALU_DEP_2) | instskip(NEXT) | instid1(VALU_DEP_1)
	v_lshrrev_b32_e32 v1, 16, v1
	v_mul_lo_u16 v2, v1, 26
	s_delay_alu instid0(VALU_DEP_1)
	v_sub_nc_u16 v8, v0, v2
	s_waitcnt lgkmcnt(0)
	s_cmp_eq_u32 s3, 1
	s_cselect_b32 s2, -1, 0
	s_cmp_lg_u32 s3, 1
	s_cselect_b32 s3, -1, 0
	s_lshl_b64 s[4:5], s[10:11], 3
	s_delay_alu instid0(SALU_CYCLE_1)
	s_add_u32 s6, s6, s4
	s_addc_u32 s7, s7, s5
	s_add_u32 s9, s6, 8
	s_addc_u32 s13, s7, 0
	;; [unrolled: 2-line block ×3, first 2 shown]
	s_cmp_eq_u64 s[16:17], 0
	s_cselect_b32 s5, s13, s5
	s_cselect_b32 s4, s9, s4
	s_load_b64 s[16:17], s[6:7], 0x0
	s_load_b64 s[6:7], s[4:5], 0x0
	;; [unrolled: 1-line block ×3, first 2 shown]
	s_waitcnt lgkmcnt(0)
	v_cmp_ge_i64_e64 s9, s[16:17], s[6:7]
	s_delay_alu instid0(VALU_DEP_1)
	s_and_b32 vcc_lo, exec_lo, s9
	s_cbranch_vccnz .LBB281_12
; %bb.8:
	s_clause 0x1
	s_load_b64 s[18:19], s[0:1], 0x48
	s_load_b128 s[20:23], s[0:1], 0x38
	v_and_b32_e32 v1, 0xffff, v1
	v_cmp_gt_u32_e32 vcc_lo, 0x2a4, v0
	v_and_b32_e32 v3, 0xffff, v8
	s_sub_u32 s0, s6, s14
	s_subb_u32 s1, s7, 0
	v_subrev_nc_u32_e32 v2, 26, v1
	s_sub_u32 s6, s16, s14
	s_subb_u32 s7, s17, 0
	s_mul_i32 s13, s6, 0x2a4
	v_mov_b32_e32 v7, 0
	v_cndmask_b32_e32 v1, v2, v1, vcc_lo
	v_cmp_lt_u32_e32 vcc_lo, 0x2a3, v0
	s_delay_alu instid0(VALU_DEP_2) | instskip(SKIP_3) | instid1(VALU_DEP_2)
	v_cndmask_b32_e64 v1, v3, v1, s2
	v_cndmask_b32_e64 v9, 0, 1, vcc_lo
	s_mul_i32 s2, s7, 0x2a4
	s_waitcnt lgkmcnt(0)
	v_add_co_u32 v1, s9, s18, v1
	s_delay_alu instid0(VALU_DEP_1) | instskip(SKIP_1) | instid1(VALU_DEP_1)
	v_add_co_ci_u32_e64 v2, null, s19, 0, s9
	v_add_co_u32 v3, s9, s16, v9
	v_add_co_ci_u32_e64 v4, null, s17, 0, s9
	s_mul_hi_u32 s9, s6, 0x2a4
	s_delay_alu instid0(VALU_DEP_2) | instskip(NEXT) | instid1(VALU_DEP_2)
	v_sub_co_u32 v3, vcc_lo, v3, s14
	v_subrev_co_ci_u32_e32 v4, vcc_lo, 0, v4, vcc_lo
	s_add_i32 s9, s9, s2
	s_add_u32 s2, s22, s13
	s_addc_u32 s9, s23, s9
	s_delay_alu instid0(VALU_DEP_1) | instskip(SKIP_1) | instid1(VALU_DEP_1)
	v_lshlrev_b64 v[5:6], 3, v[3:4]
	v_add_co_u32 v3, s2, s2, v0
	v_add_co_ci_u32_e64 v4, null, s9, 0, s2
	s_delay_alu instid0(VALU_DEP_3) | instskip(NEXT) | instid1(VALU_DEP_4)
	v_add_co_u32 v5, vcc_lo, s20, v5
	v_add_co_ci_u32_e32 v6, vcc_lo, s21, v6, vcc_lo
	s_set_inst_prefetch_distance 0x1
	s_branch .LBB281_10
	.p2align	6
.LBB281_9:                              ;   in Loop: Header=BB281_10 Depth=1
	s_or_b32 exec_lo, exec_lo, s2
	s_add_u32 s6, s6, 1
	s_addc_u32 s7, s7, 0
	v_add_co_u32 v5, vcc_lo, v5, 8
	v_cmp_lt_i64_e64 s2, s[6:7], s[0:1]
	v_add_co_ci_u32_e32 v6, vcc_lo, 0, v6, vcc_lo
	s_delay_alu instid0(VALU_DEP_2)
	s_and_b32 vcc_lo, exec_lo, s2
	s_cbranch_vccz .LBB281_12
.LBB281_10:                             ; =>This Inner Loop Header: Depth=1
	v_add_co_u32 v10, s2, v9, s6
	s_delay_alu instid0(VALU_DEP_1) | instskip(SKIP_1) | instid1(VALU_DEP_1)
	v_add_co_ci_u32_e64 v11, null, 0, s7, s2
	s_mov_b32 s2, exec_lo
	v_cmpx_gt_i64_e64 s[0:1], v[10:11]
	s_cbranch_execz .LBB281_9
; %bb.11:                               ;   in Loop: Header=BB281_10 Depth=1
	global_load_b64 v[10:11], v[5:6], off
	s_waitcnt vmcnt(0)
	v_sub_co_u32 v12, vcc_lo, v10, s14
	v_subrev_co_ci_u32_e32 v14, vcc_lo, 0, v11, vcc_lo
	s_delay_alu instid0(VALU_DEP_2) | instskip(NEXT) | instid1(VALU_DEP_1)
	v_mad_u64_u32 v[10:11], null, v12, 26, v[1:2]
	v_mad_u64_u32 v[12:13], null, v14, 26, v[11:12]
	s_delay_alu instid0(VALU_DEP_1)
	v_mov_b32_e32 v11, v12
	global_load_i8 v12, v[3:4], off
	global_load_i8 v10, v[10:11], off
	v_add_co_u32 v3, vcc_lo, 0x2a4, v3
	v_add_co_ci_u32_e32 v4, vcc_lo, 0, v4, vcc_lo
	s_waitcnt vmcnt(1)
	v_cvt_f32_i32_e32 v11, v12
	s_waitcnt vmcnt(0)
	v_cvt_f32_i32_e32 v10, v10
	s_delay_alu instid0(VALU_DEP_1)
	v_fmac_f32_e32 v7, v11, v10
	s_branch .LBB281_9
.LBB281_12:
	s_set_inst_prefetch_distance 0x2
	v_lshlrev_b32_e32 v1, 2, v0
	s_and_b32 vcc_lo, exec_lo, s3
	ds_store_b32 v1, v7
	s_waitcnt lgkmcnt(0)
	s_barrier
	buffer_gl0_inv
	s_cbranch_vccz .LBB281_24
; %bb.13:
	s_mov_b32 s0, exec_lo
	v_cmpx_gt_u16_e32 10, v8
	s_cbranch_execz .LBB281_15
; %bb.14:
	ds_load_2addr_b32 v[2:3], v1 offset1:16
	s_waitcnt lgkmcnt(0)
	v_add_f32_e32 v2, v3, v2
	ds_store_b32 v1, v2
.LBB281_15:
	s_or_b32 exec_lo, exec_lo, s0
	s_delay_alu instid0(SALU_CYCLE_1)
	s_mov_b32 s0, exec_lo
	s_waitcnt lgkmcnt(0)
	s_barrier
	buffer_gl0_inv
	v_cmpx_gt_u16_e32 8, v8
	s_cbranch_execz .LBB281_17
; %bb.16:
	ds_load_2addr_b32 v[2:3], v1 offset1:8
	s_waitcnt lgkmcnt(0)
	v_add_f32_e32 v2, v3, v2
	ds_store_b32 v1, v2
.LBB281_17:
	s_or_b32 exec_lo, exec_lo, s0
	s_delay_alu instid0(SALU_CYCLE_1)
	s_mov_b32 s0, exec_lo
	s_waitcnt lgkmcnt(0)
	s_barrier
	buffer_gl0_inv
	v_cmpx_gt_u16_e32 4, v8
	s_cbranch_execz .LBB281_19
; %bb.18:
	ds_load_2addr_b32 v[2:3], v1 offset1:4
	s_waitcnt lgkmcnt(0)
	v_add_f32_e32 v2, v3, v2
	ds_store_b32 v1, v2
.LBB281_19:
	s_or_b32 exec_lo, exec_lo, s0
	s_delay_alu instid0(SALU_CYCLE_1)
	s_mov_b32 s0, exec_lo
	s_waitcnt lgkmcnt(0)
	s_barrier
	buffer_gl0_inv
	v_cmpx_gt_u16_e32 2, v8
	s_cbranch_execz .LBB281_21
; %bb.20:
	ds_load_2addr_b32 v[2:3], v1 offset1:2
	s_waitcnt lgkmcnt(0)
	v_add_f32_e32 v2, v3, v2
	ds_store_b32 v1, v2
.LBB281_21:
	s_or_b32 exec_lo, exec_lo, s0
	s_mov_b32 s1, 0
	s_mov_b32 s0, 0
	s_mov_b32 s2, exec_lo
	s_waitcnt lgkmcnt(0)
	s_barrier
	buffer_gl0_inv
                                        ; implicit-def: $vgpr2
                                        ; implicit-def: $vgpr3
	v_cmpx_gt_u32_e32 26, v0
	s_xor_b32 s2, exec_lo, s2
; %bb.22:
	v_mul_u32_u24_e32 v2, 26, v0
	v_mad_u32_u24 v3, 0x64, v0, v1
	s_mov_b32 s0, exec_lo
	s_delay_alu instid0(VALU_DEP_2)
	v_or_b32_e32 v2, 1, v2
; %bb.23:
	s_or_b32 exec_lo, exec_lo, s2
	s_delay_alu instid0(SALU_CYCLE_1)
	s_and_b32 vcc_lo, exec_lo, s1
	s_cbranch_vccnz .LBB281_25
	s_branch .LBB281_36
.LBB281_24:
	s_mov_b32 s0, 0
                                        ; implicit-def: $vgpr2
                                        ; implicit-def: $vgpr3
	s_cbranch_execz .LBB281_36
.LBB281_25:
	s_mov_b32 s1, exec_lo
	v_cmpx_gt_u32_e32 0x104, v0
	s_cbranch_execz .LBB281_27
; %bb.26:
	ds_load_b32 v2, v1 offset:1664
	ds_load_b32 v3, v1
	s_waitcnt lgkmcnt(0)
	v_add_f32_e32 v2, v2, v3
	ds_store_b32 v1, v2
.LBB281_27:
	s_or_b32 exec_lo, exec_lo, s1
	s_delay_alu instid0(SALU_CYCLE_1)
	s_mov_b32 s1, exec_lo
	s_waitcnt lgkmcnt(0)
	s_barrier
	buffer_gl0_inv
	v_cmpx_gt_u32_e32 0xd0, v0
	s_cbranch_execz .LBB281_29
; %bb.28:
	ds_load_2addr_b32 v[2:3], v1 offset1:208
	s_waitcnt lgkmcnt(0)
	v_add_f32_e32 v2, v3, v2
	ds_store_b32 v1, v2
.LBB281_29:
	s_or_b32 exec_lo, exec_lo, s1
	s_delay_alu instid0(SALU_CYCLE_1)
	s_mov_b32 s1, exec_lo
	s_waitcnt lgkmcnt(0)
	s_barrier
	buffer_gl0_inv
	v_cmpx_gt_u32_e32 0x68, v0
	s_cbranch_execz .LBB281_31
; %bb.30:
	ds_load_2addr_b32 v[2:3], v1 offset1:104
	s_waitcnt lgkmcnt(0)
	v_add_f32_e32 v2, v3, v2
	ds_store_b32 v1, v2
.LBB281_31:
	;; [unrolled: 14-line block ×3, first 2 shown]
	s_or_b32 exec_lo, exec_lo, s1
	s_delay_alu instid0(SALU_CYCLE_1)
	s_mov_b32 s1, exec_lo
	s_waitcnt lgkmcnt(0)
	buffer_gl0_inv
                                        ; implicit-def: $vgpr2
	v_cmpx_gt_u32_e32 26, v0
; %bb.34:
	v_add_nc_u32_e32 v2, 26, v0
	s_or_b32 s0, s0, exec_lo
                                        ; implicit-def: $vgpr7
; %bb.35:
	s_or_b32 exec_lo, exec_lo, s1
	v_mov_b32_e32 v3, v1
.LBB281_36:
	s_and_saveexec_b32 s1, s0
	s_cbranch_execz .LBB281_38
; %bb.37:
	v_lshlrev_b32_e32 v1, 2, v2
	ds_load_b32 v2, v3
	ds_load_b32 v1, v1
	s_waitcnt lgkmcnt(0)
	v_add_f32_e32 v7, v2, v1
.LBB281_38:
	s_or_b32 exec_lo, exec_lo, s1
	s_delay_alu instid0(SALU_CYCLE_1)
	s_mov_b32 s0, exec_lo
	v_cmpx_gt_u32_e32 26, v0
	s_cbranch_execz .LBB281_42
; %bb.39:
	v_cmp_eq_f32_e64 s1, s8, 0
	v_mul_f32_e32 v1, s12, v7
	s_mov_b32 s3, 0
	s_mul_i32 s0, s11, 0x68
	s_mul_i32 s2, s10, 0x68
	s_and_b32 vcc_lo, exec_lo, s1
	s_mul_hi_u32 s1, s10, 0x68
	s_cbranch_vccz .LBB281_43
; %bb.40:
	v_lshlrev_b32_e32 v2, 2, v0
	s_add_i32 s7, s1, s0
	s_add_u32 s6, s4, s2
	s_addc_u32 s7, s5, s7
	global_store_b32 v2, v1, s[6:7]
	s_and_not1_b32 vcc_lo, exec_lo, s3
	s_cbranch_vccnz .LBB281_42
.LBB281_41:
	v_lshlrev_b32_e32 v0, 2, v0
	s_add_i32 s1, s1, s0
	s_add_u32 s0, s4, s2
	s_addc_u32 s1, s5, s1
	global_load_b32 v2, v0, s[0:1]
	s_waitcnt vmcnt(0)
	v_fmac_f32_e32 v1, s8, v2
	global_store_b32 v0, v1, s[0:1]
.LBB281_42:
	s_nop 0
	s_sendmsg sendmsg(MSG_DEALLOC_VGPRS)
	s_endpgm
.LBB281_43:
	s_branch .LBB281_41
	.section	.rodata,"a",@progbits
	.p2align	6, 0x0
	.amdhsa_kernel _ZN9rocsparseL20bsrxmvn_17_32_kernelILj26EfllaafEEvT2_20rocsparse_direction_NS_24const_host_device_scalarIT0_EES1_PKS1_PKT1_SA_S7_PKT3_PKT4_S5_PT5_21rocsparse_index_base_b
		.amdhsa_group_segment_fixed_size 2704
		.amdhsa_private_segment_fixed_size 0
		.amdhsa_kernarg_size 104
		.amdhsa_user_sgpr_count 15
		.amdhsa_user_sgpr_dispatch_ptr 0
		.amdhsa_user_sgpr_queue_ptr 0
		.amdhsa_user_sgpr_kernarg_segment_ptr 1
		.amdhsa_user_sgpr_dispatch_id 0
		.amdhsa_user_sgpr_private_segment_size 0
		.amdhsa_wavefront_size32 1
		.amdhsa_uses_dynamic_stack 0
		.amdhsa_enable_private_segment 0
		.amdhsa_system_sgpr_workgroup_id_x 1
		.amdhsa_system_sgpr_workgroup_id_y 0
		.amdhsa_system_sgpr_workgroup_id_z 0
		.amdhsa_system_sgpr_workgroup_info 0
		.amdhsa_system_vgpr_workitem_id 0
		.amdhsa_next_free_vgpr 15
		.amdhsa_next_free_sgpr 24
		.amdhsa_reserve_vcc 1
		.amdhsa_float_round_mode_32 0
		.amdhsa_float_round_mode_16_64 0
		.amdhsa_float_denorm_mode_32 3
		.amdhsa_float_denorm_mode_16_64 3
		.amdhsa_dx10_clamp 1
		.amdhsa_ieee_mode 1
		.amdhsa_fp16_overflow 0
		.amdhsa_workgroup_processor_mode 1
		.amdhsa_memory_ordered 1
		.amdhsa_forward_progress 0
		.amdhsa_shared_vgpr_count 0
		.amdhsa_exception_fp_ieee_invalid_op 0
		.amdhsa_exception_fp_denorm_src 0
		.amdhsa_exception_fp_ieee_div_zero 0
		.amdhsa_exception_fp_ieee_overflow 0
		.amdhsa_exception_fp_ieee_underflow 0
		.amdhsa_exception_fp_ieee_inexact 0
		.amdhsa_exception_int_div_zero 0
	.end_amdhsa_kernel
	.section	.text._ZN9rocsparseL20bsrxmvn_17_32_kernelILj26EfllaafEEvT2_20rocsparse_direction_NS_24const_host_device_scalarIT0_EES1_PKS1_PKT1_SA_S7_PKT3_PKT4_S5_PT5_21rocsparse_index_base_b,"axG",@progbits,_ZN9rocsparseL20bsrxmvn_17_32_kernelILj26EfllaafEEvT2_20rocsparse_direction_NS_24const_host_device_scalarIT0_EES1_PKS1_PKT1_SA_S7_PKT3_PKT4_S5_PT5_21rocsparse_index_base_b,comdat
.Lfunc_end281:
	.size	_ZN9rocsparseL20bsrxmvn_17_32_kernelILj26EfllaafEEvT2_20rocsparse_direction_NS_24const_host_device_scalarIT0_EES1_PKS1_PKT1_SA_S7_PKT3_PKT4_S5_PT5_21rocsparse_index_base_b, .Lfunc_end281-_ZN9rocsparseL20bsrxmvn_17_32_kernelILj26EfllaafEEvT2_20rocsparse_direction_NS_24const_host_device_scalarIT0_EES1_PKS1_PKT1_SA_S7_PKT3_PKT4_S5_PT5_21rocsparse_index_base_b
                                        ; -- End function
	.section	.AMDGPU.csdata,"",@progbits
; Kernel info:
; codeLenInByte = 1612
; NumSgprs: 26
; NumVgprs: 15
; ScratchSize: 0
; MemoryBound: 0
; FloatMode: 240
; IeeeMode: 1
; LDSByteSize: 2704 bytes/workgroup (compile time only)
; SGPRBlocks: 3
; VGPRBlocks: 1
; NumSGPRsForWavesPerEU: 26
; NumVGPRsForWavesPerEU: 15
; Occupancy: 11
; WaveLimiterHint : 1
; COMPUTE_PGM_RSRC2:SCRATCH_EN: 0
; COMPUTE_PGM_RSRC2:USER_SGPR: 15
; COMPUTE_PGM_RSRC2:TRAP_HANDLER: 0
; COMPUTE_PGM_RSRC2:TGID_X_EN: 1
; COMPUTE_PGM_RSRC2:TGID_Y_EN: 0
; COMPUTE_PGM_RSRC2:TGID_Z_EN: 0
; COMPUTE_PGM_RSRC2:TIDIG_COMP_CNT: 0
	.section	.text._ZN9rocsparseL20bsrxmvn_17_32_kernelILj27EfllaafEEvT2_20rocsparse_direction_NS_24const_host_device_scalarIT0_EES1_PKS1_PKT1_SA_S7_PKT3_PKT4_S5_PT5_21rocsparse_index_base_b,"axG",@progbits,_ZN9rocsparseL20bsrxmvn_17_32_kernelILj27EfllaafEEvT2_20rocsparse_direction_NS_24const_host_device_scalarIT0_EES1_PKS1_PKT1_SA_S7_PKT3_PKT4_S5_PT5_21rocsparse_index_base_b,comdat
	.globl	_ZN9rocsparseL20bsrxmvn_17_32_kernelILj27EfllaafEEvT2_20rocsparse_direction_NS_24const_host_device_scalarIT0_EES1_PKS1_PKT1_SA_S7_PKT3_PKT4_S5_PT5_21rocsparse_index_base_b ; -- Begin function _ZN9rocsparseL20bsrxmvn_17_32_kernelILj27EfllaafEEvT2_20rocsparse_direction_NS_24const_host_device_scalarIT0_EES1_PKS1_PKT1_SA_S7_PKT3_PKT4_S5_PT5_21rocsparse_index_base_b
	.p2align	8
	.type	_ZN9rocsparseL20bsrxmvn_17_32_kernelILj27EfllaafEEvT2_20rocsparse_direction_NS_24const_host_device_scalarIT0_EES1_PKS1_PKT1_SA_S7_PKT3_PKT4_S5_PT5_21rocsparse_index_base_b,@function
_ZN9rocsparseL20bsrxmvn_17_32_kernelILj27EfllaafEEvT2_20rocsparse_direction_NS_24const_host_device_scalarIT0_EES1_PKS1_PKT1_SA_S7_PKT3_PKT4_S5_PT5_21rocsparse_index_base_b: ; @_ZN9rocsparseL20bsrxmvn_17_32_kernelILj27EfllaafEEvT2_20rocsparse_direction_NS_24const_host_device_scalarIT0_EES1_PKS1_PKT1_SA_S7_PKT3_PKT4_S5_PT5_21rocsparse_index_base_b
; %bb.0:
	s_mov_b32 s10, s15
	s_clause 0x2
	s_load_b64 s[14:15], s[0:1], 0x60
	s_load_b64 s[12:13], s[0:1], 0x10
	s_load_b64 s[8:9], s[0:1], 0x50
	s_waitcnt lgkmcnt(0)
	s_bitcmp1_b32 s15, 0
	s_cselect_b32 s2, -1, 0
	s_delay_alu instid0(SALU_CYCLE_1)
	s_and_b32 vcc_lo, exec_lo, s2
	s_xor_b32 s2, s2, -1
	s_cbranch_vccnz .LBB282_2
; %bb.1:
	s_load_b32 s12, s[12:13], 0x0
.LBB282_2:
	s_and_not1_b32 vcc_lo, exec_lo, s2
	s_cbranch_vccnz .LBB282_4
; %bb.3:
	s_load_b32 s8, s[8:9], 0x0
.LBB282_4:
	s_waitcnt lgkmcnt(0)
	v_cmp_neq_f32_e64 s2, s12, 0
	v_cmp_neq_f32_e64 s3, s8, 1.0
	s_mov_b32 s11, 0
	s_delay_alu instid0(VALU_DEP_1) | instskip(NEXT) | instid1(SALU_CYCLE_1)
	s_or_b32 s2, s2, s3
	s_and_not1_b32 vcc_lo, exec_lo, s2
	s_cbranch_vccnz .LBB282_42
; %bb.5:
	s_clause 0x1
	s_load_b128 s[4:7], s[0:1], 0x20
	s_load_b64 s[16:17], s[0:1], 0x30
	s_waitcnt lgkmcnt(0)
	s_cmp_eq_u64 s[4:5], 0
	s_cbranch_scc1 .LBB282_7
; %bb.6:
	s_lshl_b64 s[2:3], s[10:11], 3
	s_delay_alu instid0(SALU_CYCLE_1)
	s_add_u32 s2, s4, s2
	s_addc_u32 s3, s5, s3
	s_load_b64 s[2:3], s[2:3], 0x0
	s_waitcnt lgkmcnt(0)
	s_sub_u32 s10, s2, s14
	s_subb_u32 s11, s3, 0
.LBB282_7:
	s_load_b32 s3, s[0:1], 0x8
	v_mul_u32_u24_e32 v1, 0x97c, v0
	v_mov_b32_e32 v7, 0
	s_delay_alu instid0(VALU_DEP_2) | instskip(NEXT) | instid1(VALU_DEP_1)
	v_lshrrev_b32_e32 v1, 16, v1
	v_mul_lo_u16 v2, v1, 27
	s_delay_alu instid0(VALU_DEP_1)
	v_sub_nc_u16 v8, v0, v2
	s_waitcnt lgkmcnt(0)
	s_cmp_eq_u32 s3, 1
	s_cselect_b32 s2, -1, 0
	s_cmp_lg_u32 s3, 1
	s_cselect_b32 s3, -1, 0
	s_lshl_b64 s[4:5], s[10:11], 3
	s_delay_alu instid0(SALU_CYCLE_1)
	s_add_u32 s6, s6, s4
	s_addc_u32 s7, s7, s5
	s_add_u32 s9, s6, 8
	s_addc_u32 s13, s7, 0
	;; [unrolled: 2-line block ×3, first 2 shown]
	s_cmp_eq_u64 s[16:17], 0
	s_cselect_b32 s5, s13, s5
	s_cselect_b32 s4, s9, s4
	s_load_b64 s[16:17], s[6:7], 0x0
	s_load_b64 s[6:7], s[4:5], 0x0
	;; [unrolled: 1-line block ×3, first 2 shown]
	s_waitcnt lgkmcnt(0)
	v_cmp_ge_i64_e64 s9, s[16:17], s[6:7]
	s_delay_alu instid0(VALU_DEP_1)
	s_and_b32 vcc_lo, exec_lo, s9
	s_cbranch_vccnz .LBB282_12
; %bb.8:
	s_clause 0x1
	s_load_b64 s[18:19], s[0:1], 0x48
	s_load_b128 s[20:23], s[0:1], 0x38
	v_and_b32_e32 v1, 0xffff, v1
	v_cmp_gt_u32_e32 vcc_lo, 0x2d9, v0
	v_and_b32_e32 v3, 0xffff, v8
	s_sub_u32 s0, s6, s14
	s_subb_u32 s1, s7, 0
	v_subrev_nc_u32_e32 v2, 27, v1
	s_sub_u32 s6, s16, s14
	s_subb_u32 s7, s17, 0
	s_mul_i32 s13, s6, 0x2d9
	v_mov_b32_e32 v7, 0
	v_cndmask_b32_e32 v1, v2, v1, vcc_lo
	v_cmp_lt_u32_e32 vcc_lo, 0x2d8, v0
	s_delay_alu instid0(VALU_DEP_2) | instskip(SKIP_3) | instid1(VALU_DEP_2)
	v_cndmask_b32_e64 v1, v3, v1, s2
	v_cndmask_b32_e64 v9, 0, 1, vcc_lo
	s_mul_i32 s2, s7, 0x2d9
	s_waitcnt lgkmcnt(0)
	v_add_co_u32 v1, s9, s18, v1
	s_delay_alu instid0(VALU_DEP_1) | instskip(SKIP_1) | instid1(VALU_DEP_1)
	v_add_co_ci_u32_e64 v2, null, s19, 0, s9
	v_add_co_u32 v3, s9, s16, v9
	v_add_co_ci_u32_e64 v4, null, s17, 0, s9
	s_mul_hi_u32 s9, s6, 0x2d9
	s_delay_alu instid0(VALU_DEP_2) | instskip(NEXT) | instid1(VALU_DEP_2)
	v_sub_co_u32 v3, vcc_lo, v3, s14
	v_subrev_co_ci_u32_e32 v4, vcc_lo, 0, v4, vcc_lo
	s_add_i32 s9, s9, s2
	s_add_u32 s2, s22, s13
	s_addc_u32 s9, s23, s9
	s_delay_alu instid0(VALU_DEP_1) | instskip(SKIP_1) | instid1(VALU_DEP_1)
	v_lshlrev_b64 v[5:6], 3, v[3:4]
	v_add_co_u32 v3, s2, s2, v0
	v_add_co_ci_u32_e64 v4, null, s9, 0, s2
	s_delay_alu instid0(VALU_DEP_3) | instskip(NEXT) | instid1(VALU_DEP_4)
	v_add_co_u32 v5, vcc_lo, s20, v5
	v_add_co_ci_u32_e32 v6, vcc_lo, s21, v6, vcc_lo
	s_set_inst_prefetch_distance 0x1
	s_branch .LBB282_10
	.p2align	6
.LBB282_9:                              ;   in Loop: Header=BB282_10 Depth=1
	s_or_b32 exec_lo, exec_lo, s2
	s_add_u32 s6, s6, 1
	s_addc_u32 s7, s7, 0
	v_add_co_u32 v5, vcc_lo, v5, 8
	v_cmp_lt_i64_e64 s2, s[6:7], s[0:1]
	v_add_co_ci_u32_e32 v6, vcc_lo, 0, v6, vcc_lo
	s_delay_alu instid0(VALU_DEP_2)
	s_and_b32 vcc_lo, exec_lo, s2
	s_cbranch_vccz .LBB282_12
.LBB282_10:                             ; =>This Inner Loop Header: Depth=1
	v_add_co_u32 v10, s2, v9, s6
	s_delay_alu instid0(VALU_DEP_1) | instskip(SKIP_1) | instid1(VALU_DEP_1)
	v_add_co_ci_u32_e64 v11, null, 0, s7, s2
	s_mov_b32 s2, exec_lo
	v_cmpx_gt_i64_e64 s[0:1], v[10:11]
	s_cbranch_execz .LBB282_9
; %bb.11:                               ;   in Loop: Header=BB282_10 Depth=1
	global_load_b64 v[10:11], v[5:6], off
	s_waitcnt vmcnt(0)
	v_sub_co_u32 v12, vcc_lo, v10, s14
	v_subrev_co_ci_u32_e32 v14, vcc_lo, 0, v11, vcc_lo
	s_delay_alu instid0(VALU_DEP_2) | instskip(NEXT) | instid1(VALU_DEP_1)
	v_mad_u64_u32 v[10:11], null, v12, 27, v[1:2]
	v_mad_u64_u32 v[12:13], null, v14, 27, v[11:12]
	s_delay_alu instid0(VALU_DEP_1)
	v_mov_b32_e32 v11, v12
	global_load_i8 v12, v[3:4], off
	global_load_i8 v10, v[10:11], off
	v_add_co_u32 v3, vcc_lo, 0x2d9, v3
	v_add_co_ci_u32_e32 v4, vcc_lo, 0, v4, vcc_lo
	s_waitcnt vmcnt(1)
	v_cvt_f32_i32_e32 v11, v12
	s_waitcnt vmcnt(0)
	v_cvt_f32_i32_e32 v10, v10
	s_delay_alu instid0(VALU_DEP_1)
	v_fmac_f32_e32 v7, v11, v10
	s_branch .LBB282_9
.LBB282_12:
	s_set_inst_prefetch_distance 0x2
	v_lshlrev_b32_e32 v1, 2, v0
	s_and_b32 vcc_lo, exec_lo, s3
	ds_store_b32 v1, v7
	s_waitcnt lgkmcnt(0)
	s_barrier
	buffer_gl0_inv
	s_cbranch_vccz .LBB282_24
; %bb.13:
	s_mov_b32 s0, exec_lo
	v_cmpx_gt_u16_e32 11, v8
	s_cbranch_execz .LBB282_15
; %bb.14:
	ds_load_2addr_b32 v[2:3], v1 offset1:16
	s_waitcnt lgkmcnt(0)
	v_add_f32_e32 v2, v3, v2
	ds_store_b32 v1, v2
.LBB282_15:
	s_or_b32 exec_lo, exec_lo, s0
	s_delay_alu instid0(SALU_CYCLE_1)
	s_mov_b32 s0, exec_lo
	s_waitcnt lgkmcnt(0)
	s_barrier
	buffer_gl0_inv
	v_cmpx_gt_u16_e32 8, v8
	s_cbranch_execz .LBB282_17
; %bb.16:
	ds_load_2addr_b32 v[2:3], v1 offset1:8
	s_waitcnt lgkmcnt(0)
	v_add_f32_e32 v2, v3, v2
	ds_store_b32 v1, v2
.LBB282_17:
	s_or_b32 exec_lo, exec_lo, s0
	s_delay_alu instid0(SALU_CYCLE_1)
	s_mov_b32 s0, exec_lo
	s_waitcnt lgkmcnt(0)
	s_barrier
	buffer_gl0_inv
	;; [unrolled: 14-line block ×3, first 2 shown]
	v_cmpx_gt_u16_e32 2, v8
	s_cbranch_execz .LBB282_21
; %bb.20:
	ds_load_2addr_b32 v[2:3], v1 offset1:2
	s_waitcnt lgkmcnt(0)
	v_add_f32_e32 v2, v3, v2
	ds_store_b32 v1, v2
.LBB282_21:
	s_or_b32 exec_lo, exec_lo, s0
	s_mov_b32 s1, 0
	s_mov_b32 s0, 0
	s_mov_b32 s2, exec_lo
	s_waitcnt lgkmcnt(0)
	s_barrier
	buffer_gl0_inv
                                        ; implicit-def: $vgpr2
                                        ; implicit-def: $vgpr3
	v_cmpx_gt_u32_e32 27, v0
	s_xor_b32 s2, exec_lo, s2
; %bb.22:
	v_mad_u32_u24 v2, v0, 27, 1
	v_mad_u32_u24 v3, 0x68, v0, v1
	s_mov_b32 s0, exec_lo
; %bb.23:
	s_or_b32 exec_lo, exec_lo, s2
	s_delay_alu instid0(SALU_CYCLE_1)
	s_and_b32 vcc_lo, exec_lo, s1
	s_cbranch_vccnz .LBB282_25
	s_branch .LBB282_36
.LBB282_24:
	s_mov_b32 s0, 0
                                        ; implicit-def: $vgpr2
                                        ; implicit-def: $vgpr3
	s_cbranch_execz .LBB282_36
.LBB282_25:
	s_mov_b32 s1, exec_lo
	v_cmpx_gt_u32_e32 0x129, v0
	s_cbranch_execz .LBB282_27
; %bb.26:
	ds_load_b32 v2, v1 offset:1728
	ds_load_b32 v3, v1
	s_waitcnt lgkmcnt(0)
	v_add_f32_e32 v2, v2, v3
	ds_store_b32 v1, v2
.LBB282_27:
	s_or_b32 exec_lo, exec_lo, s1
	s_delay_alu instid0(SALU_CYCLE_1)
	s_mov_b32 s1, exec_lo
	s_waitcnt lgkmcnt(0)
	s_barrier
	buffer_gl0_inv
	v_cmpx_gt_u32_e32 0xd8, v0
	s_cbranch_execz .LBB282_29
; %bb.28:
	ds_load_2addr_b32 v[2:3], v1 offset1:216
	s_waitcnt lgkmcnt(0)
	v_add_f32_e32 v2, v3, v2
	ds_store_b32 v1, v2
.LBB282_29:
	s_or_b32 exec_lo, exec_lo, s1
	s_delay_alu instid0(SALU_CYCLE_1)
	s_mov_b32 s1, exec_lo
	s_waitcnt lgkmcnt(0)
	s_barrier
	buffer_gl0_inv
	v_cmpx_gt_u32_e32 0x6c, v0
	s_cbranch_execz .LBB282_31
; %bb.30:
	ds_load_2addr_b32 v[2:3], v1 offset1:108
	s_waitcnt lgkmcnt(0)
	v_add_f32_e32 v2, v3, v2
	ds_store_b32 v1, v2
.LBB282_31:
	;; [unrolled: 14-line block ×3, first 2 shown]
	s_or_b32 exec_lo, exec_lo, s1
	s_delay_alu instid0(SALU_CYCLE_1)
	s_mov_b32 s1, exec_lo
	s_waitcnt lgkmcnt(0)
	buffer_gl0_inv
                                        ; implicit-def: $vgpr2
	v_cmpx_gt_u32_e32 27, v0
; %bb.34:
	v_add_nc_u32_e32 v2, 27, v0
	s_or_b32 s0, s0, exec_lo
                                        ; implicit-def: $vgpr7
; %bb.35:
	s_or_b32 exec_lo, exec_lo, s1
	v_mov_b32_e32 v3, v1
.LBB282_36:
	s_and_saveexec_b32 s1, s0
	s_cbranch_execz .LBB282_38
; %bb.37:
	v_lshlrev_b32_e32 v1, 2, v2
	ds_load_b32 v2, v3
	ds_load_b32 v1, v1
	s_waitcnt lgkmcnt(0)
	v_add_f32_e32 v7, v2, v1
.LBB282_38:
	s_or_b32 exec_lo, exec_lo, s1
	s_delay_alu instid0(SALU_CYCLE_1)
	s_mov_b32 s0, exec_lo
	v_cmpx_gt_u32_e32 27, v0
	s_cbranch_execz .LBB282_42
; %bb.39:
	v_cmp_eq_f32_e64 s1, s8, 0
	v_mul_f32_e32 v1, s12, v7
	s_mov_b32 s3, 0
	s_mul_i32 s0, s11, 0x6c
	s_mul_i32 s2, s10, 0x6c
	s_and_b32 vcc_lo, exec_lo, s1
	s_mul_hi_u32 s1, s10, 0x6c
	s_cbranch_vccz .LBB282_43
; %bb.40:
	v_lshlrev_b32_e32 v2, 2, v0
	s_add_i32 s7, s1, s0
	s_add_u32 s6, s4, s2
	s_addc_u32 s7, s5, s7
	global_store_b32 v2, v1, s[6:7]
	s_and_not1_b32 vcc_lo, exec_lo, s3
	s_cbranch_vccnz .LBB282_42
.LBB282_41:
	v_lshlrev_b32_e32 v0, 2, v0
	s_add_i32 s1, s1, s0
	s_add_u32 s0, s4, s2
	s_addc_u32 s1, s5, s1
	global_load_b32 v2, v0, s[0:1]
	s_waitcnt vmcnt(0)
	v_fmac_f32_e32 v1, s8, v2
	global_store_b32 v0, v1, s[0:1]
.LBB282_42:
	s_nop 0
	s_sendmsg sendmsg(MSG_DEALLOC_VGPRS)
	s_endpgm
.LBB282_43:
	s_branch .LBB282_41
	.section	.rodata,"a",@progbits
	.p2align	6, 0x0
	.amdhsa_kernel _ZN9rocsparseL20bsrxmvn_17_32_kernelILj27EfllaafEEvT2_20rocsparse_direction_NS_24const_host_device_scalarIT0_EES1_PKS1_PKT1_SA_S7_PKT3_PKT4_S5_PT5_21rocsparse_index_base_b
		.amdhsa_group_segment_fixed_size 2916
		.amdhsa_private_segment_fixed_size 0
		.amdhsa_kernarg_size 104
		.amdhsa_user_sgpr_count 15
		.amdhsa_user_sgpr_dispatch_ptr 0
		.amdhsa_user_sgpr_queue_ptr 0
		.amdhsa_user_sgpr_kernarg_segment_ptr 1
		.amdhsa_user_sgpr_dispatch_id 0
		.amdhsa_user_sgpr_private_segment_size 0
		.amdhsa_wavefront_size32 1
		.amdhsa_uses_dynamic_stack 0
		.amdhsa_enable_private_segment 0
		.amdhsa_system_sgpr_workgroup_id_x 1
		.amdhsa_system_sgpr_workgroup_id_y 0
		.amdhsa_system_sgpr_workgroup_id_z 0
		.amdhsa_system_sgpr_workgroup_info 0
		.amdhsa_system_vgpr_workitem_id 0
		.amdhsa_next_free_vgpr 15
		.amdhsa_next_free_sgpr 24
		.amdhsa_reserve_vcc 1
		.amdhsa_float_round_mode_32 0
		.amdhsa_float_round_mode_16_64 0
		.amdhsa_float_denorm_mode_32 3
		.amdhsa_float_denorm_mode_16_64 3
		.amdhsa_dx10_clamp 1
		.amdhsa_ieee_mode 1
		.amdhsa_fp16_overflow 0
		.amdhsa_workgroup_processor_mode 1
		.amdhsa_memory_ordered 1
		.amdhsa_forward_progress 0
		.amdhsa_shared_vgpr_count 0
		.amdhsa_exception_fp_ieee_invalid_op 0
		.amdhsa_exception_fp_denorm_src 0
		.amdhsa_exception_fp_ieee_div_zero 0
		.amdhsa_exception_fp_ieee_overflow 0
		.amdhsa_exception_fp_ieee_underflow 0
		.amdhsa_exception_fp_ieee_inexact 0
		.amdhsa_exception_int_div_zero 0
	.end_amdhsa_kernel
	.section	.text._ZN9rocsparseL20bsrxmvn_17_32_kernelILj27EfllaafEEvT2_20rocsparse_direction_NS_24const_host_device_scalarIT0_EES1_PKS1_PKT1_SA_S7_PKT3_PKT4_S5_PT5_21rocsparse_index_base_b,"axG",@progbits,_ZN9rocsparseL20bsrxmvn_17_32_kernelILj27EfllaafEEvT2_20rocsparse_direction_NS_24const_host_device_scalarIT0_EES1_PKS1_PKT1_SA_S7_PKT3_PKT4_S5_PT5_21rocsparse_index_base_b,comdat
.Lfunc_end282:
	.size	_ZN9rocsparseL20bsrxmvn_17_32_kernelILj27EfllaafEEvT2_20rocsparse_direction_NS_24const_host_device_scalarIT0_EES1_PKS1_PKT1_SA_S7_PKT3_PKT4_S5_PT5_21rocsparse_index_base_b, .Lfunc_end282-_ZN9rocsparseL20bsrxmvn_17_32_kernelILj27EfllaafEEvT2_20rocsparse_direction_NS_24const_host_device_scalarIT0_EES1_PKS1_PKT1_SA_S7_PKT3_PKT4_S5_PT5_21rocsparse_index_base_b
                                        ; -- End function
	.section	.AMDGPU.csdata,"",@progbits
; Kernel info:
; codeLenInByte = 1608
; NumSgprs: 26
; NumVgprs: 15
; ScratchSize: 0
; MemoryBound: 0
; FloatMode: 240
; IeeeMode: 1
; LDSByteSize: 2916 bytes/workgroup (compile time only)
; SGPRBlocks: 3
; VGPRBlocks: 1
; NumSGPRsForWavesPerEU: 26
; NumVGPRsForWavesPerEU: 15
; Occupancy: 12
; WaveLimiterHint : 1
; COMPUTE_PGM_RSRC2:SCRATCH_EN: 0
; COMPUTE_PGM_RSRC2:USER_SGPR: 15
; COMPUTE_PGM_RSRC2:TRAP_HANDLER: 0
; COMPUTE_PGM_RSRC2:TGID_X_EN: 1
; COMPUTE_PGM_RSRC2:TGID_Y_EN: 0
; COMPUTE_PGM_RSRC2:TGID_Z_EN: 0
; COMPUTE_PGM_RSRC2:TIDIG_COMP_CNT: 0
	.section	.text._ZN9rocsparseL20bsrxmvn_17_32_kernelILj28EfllaafEEvT2_20rocsparse_direction_NS_24const_host_device_scalarIT0_EES1_PKS1_PKT1_SA_S7_PKT3_PKT4_S5_PT5_21rocsparse_index_base_b,"axG",@progbits,_ZN9rocsparseL20bsrxmvn_17_32_kernelILj28EfllaafEEvT2_20rocsparse_direction_NS_24const_host_device_scalarIT0_EES1_PKS1_PKT1_SA_S7_PKT3_PKT4_S5_PT5_21rocsparse_index_base_b,comdat
	.globl	_ZN9rocsparseL20bsrxmvn_17_32_kernelILj28EfllaafEEvT2_20rocsparse_direction_NS_24const_host_device_scalarIT0_EES1_PKS1_PKT1_SA_S7_PKT3_PKT4_S5_PT5_21rocsparse_index_base_b ; -- Begin function _ZN9rocsparseL20bsrxmvn_17_32_kernelILj28EfllaafEEvT2_20rocsparse_direction_NS_24const_host_device_scalarIT0_EES1_PKS1_PKT1_SA_S7_PKT3_PKT4_S5_PT5_21rocsparse_index_base_b
	.p2align	8
	.type	_ZN9rocsparseL20bsrxmvn_17_32_kernelILj28EfllaafEEvT2_20rocsparse_direction_NS_24const_host_device_scalarIT0_EES1_PKS1_PKT1_SA_S7_PKT3_PKT4_S5_PT5_21rocsparse_index_base_b,@function
_ZN9rocsparseL20bsrxmvn_17_32_kernelILj28EfllaafEEvT2_20rocsparse_direction_NS_24const_host_device_scalarIT0_EES1_PKS1_PKT1_SA_S7_PKT3_PKT4_S5_PT5_21rocsparse_index_base_b: ; @_ZN9rocsparseL20bsrxmvn_17_32_kernelILj28EfllaafEEvT2_20rocsparse_direction_NS_24const_host_device_scalarIT0_EES1_PKS1_PKT1_SA_S7_PKT3_PKT4_S5_PT5_21rocsparse_index_base_b
; %bb.0:
	s_mov_b32 s10, s15
	s_clause 0x2
	s_load_b64 s[14:15], s[0:1], 0x60
	s_load_b64 s[12:13], s[0:1], 0x10
	;; [unrolled: 1-line block ×3, first 2 shown]
	s_waitcnt lgkmcnt(0)
	s_bitcmp1_b32 s15, 0
	s_cselect_b32 s2, -1, 0
	s_delay_alu instid0(SALU_CYCLE_1)
	s_and_b32 vcc_lo, exec_lo, s2
	s_xor_b32 s2, s2, -1
	s_cbranch_vccnz .LBB283_2
; %bb.1:
	s_load_b32 s12, s[12:13], 0x0
.LBB283_2:
	s_and_not1_b32 vcc_lo, exec_lo, s2
	s_cbranch_vccnz .LBB283_4
; %bb.3:
	s_load_b32 s8, s[8:9], 0x0
.LBB283_4:
	s_waitcnt lgkmcnt(0)
	v_cmp_neq_f32_e64 s2, s12, 0
	v_cmp_neq_f32_e64 s3, s8, 1.0
	s_mov_b32 s11, 0
	s_delay_alu instid0(VALU_DEP_1) | instskip(NEXT) | instid1(SALU_CYCLE_1)
	s_or_b32 s2, s2, s3
	s_and_not1_b32 vcc_lo, exec_lo, s2
	s_cbranch_vccnz .LBB283_42
; %bb.5:
	s_clause 0x1
	s_load_b128 s[4:7], s[0:1], 0x20
	s_load_b64 s[16:17], s[0:1], 0x30
	s_waitcnt lgkmcnt(0)
	s_cmp_eq_u64 s[4:5], 0
	s_cbranch_scc1 .LBB283_7
; %bb.6:
	s_lshl_b64 s[2:3], s[10:11], 3
	s_delay_alu instid0(SALU_CYCLE_1)
	s_add_u32 s2, s4, s2
	s_addc_u32 s3, s5, s3
	s_load_b64 s[2:3], s[2:3], 0x0
	s_waitcnt lgkmcnt(0)
	s_sub_u32 s10, s2, s14
	s_subb_u32 s11, s3, 0
.LBB283_7:
	s_load_b32 s3, s[0:1], 0x8
	v_mul_u32_u24_e32 v1, 0x925, v0
	v_mov_b32_e32 v7, 0
	s_delay_alu instid0(VALU_DEP_2) | instskip(NEXT) | instid1(VALU_DEP_1)
	v_lshrrev_b32_e32 v1, 16, v1
	v_mul_lo_u16 v2, v1, 28
	s_delay_alu instid0(VALU_DEP_1)
	v_sub_nc_u16 v8, v0, v2
	s_waitcnt lgkmcnt(0)
	s_cmp_eq_u32 s3, 1
	s_cselect_b32 s2, -1, 0
	s_cmp_lg_u32 s3, 1
	s_cselect_b32 s3, -1, 0
	s_lshl_b64 s[4:5], s[10:11], 3
	s_delay_alu instid0(SALU_CYCLE_1)
	s_add_u32 s6, s6, s4
	s_addc_u32 s7, s7, s5
	s_add_u32 s9, s6, 8
	s_addc_u32 s13, s7, 0
	;; [unrolled: 2-line block ×3, first 2 shown]
	s_cmp_eq_u64 s[16:17], 0
	s_cselect_b32 s5, s13, s5
	s_cselect_b32 s4, s9, s4
	s_load_b64 s[16:17], s[6:7], 0x0
	s_load_b64 s[6:7], s[4:5], 0x0
	;; [unrolled: 1-line block ×3, first 2 shown]
	s_waitcnt lgkmcnt(0)
	v_cmp_ge_i64_e64 s9, s[16:17], s[6:7]
	s_delay_alu instid0(VALU_DEP_1)
	s_and_b32 vcc_lo, exec_lo, s9
	s_cbranch_vccnz .LBB283_12
; %bb.8:
	s_clause 0x1
	s_load_b64 s[18:19], s[0:1], 0x48
	s_load_b128 s[20:23], s[0:1], 0x38
	v_and_b32_e32 v1, 0xffff, v1
	v_cmp_gt_u32_e32 vcc_lo, 0x310, v0
	v_and_b32_e32 v3, 0xffff, v8
	s_sub_u32 s0, s6, s14
	s_subb_u32 s1, s7, 0
	v_subrev_nc_u32_e32 v2, 28, v1
	s_sub_u32 s6, s16, s14
	s_subb_u32 s7, s17, 0
	s_mul_i32 s13, s6, 0x310
	v_mov_b32_e32 v7, 0
	v_cndmask_b32_e32 v1, v2, v1, vcc_lo
	v_cmp_lt_u32_e32 vcc_lo, 0x30f, v0
	s_delay_alu instid0(VALU_DEP_2) | instskip(SKIP_3) | instid1(VALU_DEP_2)
	v_cndmask_b32_e64 v1, v3, v1, s2
	v_cndmask_b32_e64 v9, 0, 1, vcc_lo
	s_mul_i32 s2, s7, 0x310
	s_waitcnt lgkmcnt(0)
	v_add_co_u32 v1, s9, s18, v1
	s_delay_alu instid0(VALU_DEP_1) | instskip(SKIP_1) | instid1(VALU_DEP_1)
	v_add_co_ci_u32_e64 v2, null, s19, 0, s9
	v_add_co_u32 v3, s9, s16, v9
	v_add_co_ci_u32_e64 v4, null, s17, 0, s9
	s_mul_hi_u32 s9, s6, 0x310
	s_delay_alu instid0(VALU_DEP_2) | instskip(NEXT) | instid1(VALU_DEP_2)
	v_sub_co_u32 v3, vcc_lo, v3, s14
	v_subrev_co_ci_u32_e32 v4, vcc_lo, 0, v4, vcc_lo
	s_add_i32 s9, s9, s2
	s_add_u32 s2, s22, s13
	s_addc_u32 s9, s23, s9
	s_delay_alu instid0(VALU_DEP_1) | instskip(SKIP_1) | instid1(VALU_DEP_1)
	v_lshlrev_b64 v[5:6], 3, v[3:4]
	v_add_co_u32 v3, s2, s2, v0
	v_add_co_ci_u32_e64 v4, null, s9, 0, s2
	s_delay_alu instid0(VALU_DEP_3) | instskip(NEXT) | instid1(VALU_DEP_4)
	v_add_co_u32 v5, vcc_lo, s20, v5
	v_add_co_ci_u32_e32 v6, vcc_lo, s21, v6, vcc_lo
	s_set_inst_prefetch_distance 0x1
	s_branch .LBB283_10
	.p2align	6
.LBB283_9:                              ;   in Loop: Header=BB283_10 Depth=1
	s_or_b32 exec_lo, exec_lo, s2
	s_add_u32 s6, s6, 1
	s_addc_u32 s7, s7, 0
	v_add_co_u32 v5, vcc_lo, v5, 8
	v_cmp_lt_i64_e64 s2, s[6:7], s[0:1]
	v_add_co_ci_u32_e32 v6, vcc_lo, 0, v6, vcc_lo
	s_delay_alu instid0(VALU_DEP_2)
	s_and_b32 vcc_lo, exec_lo, s2
	s_cbranch_vccz .LBB283_12
.LBB283_10:                             ; =>This Inner Loop Header: Depth=1
	v_add_co_u32 v10, s2, v9, s6
	s_delay_alu instid0(VALU_DEP_1) | instskip(SKIP_1) | instid1(VALU_DEP_1)
	v_add_co_ci_u32_e64 v11, null, 0, s7, s2
	s_mov_b32 s2, exec_lo
	v_cmpx_gt_i64_e64 s[0:1], v[10:11]
	s_cbranch_execz .LBB283_9
; %bb.11:                               ;   in Loop: Header=BB283_10 Depth=1
	global_load_b64 v[10:11], v[5:6], off
	s_waitcnt vmcnt(0)
	v_sub_co_u32 v12, vcc_lo, v10, s14
	v_subrev_co_ci_u32_e32 v14, vcc_lo, 0, v11, vcc_lo
	s_delay_alu instid0(VALU_DEP_2) | instskip(NEXT) | instid1(VALU_DEP_1)
	v_mad_u64_u32 v[10:11], null, v12, 28, v[1:2]
	v_mad_u64_u32 v[12:13], null, v14, 28, v[11:12]
	s_delay_alu instid0(VALU_DEP_1)
	v_mov_b32_e32 v11, v12
	global_load_i8 v12, v[3:4], off
	global_load_i8 v10, v[10:11], off
	v_add_co_u32 v3, vcc_lo, 0x310, v3
	v_add_co_ci_u32_e32 v4, vcc_lo, 0, v4, vcc_lo
	s_waitcnt vmcnt(1)
	v_cvt_f32_i32_e32 v11, v12
	s_waitcnt vmcnt(0)
	v_cvt_f32_i32_e32 v10, v10
	s_delay_alu instid0(VALU_DEP_1)
	v_fmac_f32_e32 v7, v11, v10
	s_branch .LBB283_9
.LBB283_12:
	s_set_inst_prefetch_distance 0x2
	v_lshlrev_b32_e32 v1, 2, v0
	s_and_b32 vcc_lo, exec_lo, s3
	ds_store_b32 v1, v7
	s_waitcnt lgkmcnt(0)
	s_barrier
	buffer_gl0_inv
	s_cbranch_vccz .LBB283_24
; %bb.13:
	s_mov_b32 s0, exec_lo
	v_cmpx_gt_u16_e32 12, v8
	s_cbranch_execz .LBB283_15
; %bb.14:
	ds_load_2addr_b32 v[2:3], v1 offset1:16
	s_waitcnt lgkmcnt(0)
	v_add_f32_e32 v2, v3, v2
	ds_store_b32 v1, v2
.LBB283_15:
	s_or_b32 exec_lo, exec_lo, s0
	s_delay_alu instid0(SALU_CYCLE_1)
	s_mov_b32 s0, exec_lo
	s_waitcnt lgkmcnt(0)
	s_barrier
	buffer_gl0_inv
	v_cmpx_gt_u16_e32 8, v8
	s_cbranch_execz .LBB283_17
; %bb.16:
	ds_load_2addr_b32 v[2:3], v1 offset1:8
	s_waitcnt lgkmcnt(0)
	v_add_f32_e32 v2, v3, v2
	ds_store_b32 v1, v2
.LBB283_17:
	s_or_b32 exec_lo, exec_lo, s0
	s_delay_alu instid0(SALU_CYCLE_1)
	s_mov_b32 s0, exec_lo
	s_waitcnt lgkmcnt(0)
	s_barrier
	buffer_gl0_inv
	;; [unrolled: 14-line block ×3, first 2 shown]
	v_cmpx_gt_u16_e32 2, v8
	s_cbranch_execz .LBB283_21
; %bb.20:
	ds_load_2addr_b32 v[2:3], v1 offset1:2
	s_waitcnt lgkmcnt(0)
	v_add_f32_e32 v2, v3, v2
	ds_store_b32 v1, v2
.LBB283_21:
	s_or_b32 exec_lo, exec_lo, s0
	s_mov_b32 s1, 0
	s_mov_b32 s0, 0
	s_mov_b32 s2, exec_lo
	s_waitcnt lgkmcnt(0)
	s_barrier
	buffer_gl0_inv
                                        ; implicit-def: $vgpr2
                                        ; implicit-def: $vgpr3
	v_cmpx_gt_u32_e32 28, v0
	s_xor_b32 s2, exec_lo, s2
; %bb.22:
	v_mul_u32_u24_e32 v2, 28, v0
	v_mad_u32_u24 v3, 0x6c, v0, v1
	s_mov_b32 s0, exec_lo
	s_delay_alu instid0(VALU_DEP_2)
	v_or_b32_e32 v2, 1, v2
; %bb.23:
	s_or_b32 exec_lo, exec_lo, s2
	s_delay_alu instid0(SALU_CYCLE_1)
	s_and_b32 vcc_lo, exec_lo, s1
	s_cbranch_vccnz .LBB283_25
	s_branch .LBB283_36
.LBB283_24:
	s_mov_b32 s0, 0
                                        ; implicit-def: $vgpr2
                                        ; implicit-def: $vgpr3
	s_cbranch_execz .LBB283_36
.LBB283_25:
	s_mov_b32 s1, exec_lo
	v_cmpx_gt_u32_e32 0x150, v0
	s_cbranch_execz .LBB283_27
; %bb.26:
	ds_load_2addr_stride64_b32 v[2:3], v1 offset1:7
	s_waitcnt lgkmcnt(0)
	v_add_f32_e32 v2, v3, v2
	ds_store_b32 v1, v2
.LBB283_27:
	s_or_b32 exec_lo, exec_lo, s1
	s_delay_alu instid0(SALU_CYCLE_1)
	s_mov_b32 s1, exec_lo
	s_waitcnt lgkmcnt(0)
	s_barrier
	buffer_gl0_inv
	v_cmpx_gt_u32_e32 0xe0, v0
	s_cbranch_execz .LBB283_29
; %bb.28:
	ds_load_2addr_b32 v[2:3], v1 offset1:224
	s_waitcnt lgkmcnt(0)
	v_add_f32_e32 v2, v3, v2
	ds_store_b32 v1, v2
.LBB283_29:
	s_or_b32 exec_lo, exec_lo, s1
	s_delay_alu instid0(SALU_CYCLE_1)
	s_mov_b32 s1, exec_lo
	s_waitcnt lgkmcnt(0)
	s_barrier
	buffer_gl0_inv
	v_cmpx_gt_u32_e32 0x70, v0
	s_cbranch_execz .LBB283_31
; %bb.30:
	ds_load_2addr_b32 v[2:3], v1 offset1:112
	s_waitcnt lgkmcnt(0)
	v_add_f32_e32 v2, v3, v2
	ds_store_b32 v1, v2
.LBB283_31:
	;; [unrolled: 14-line block ×3, first 2 shown]
	s_or_b32 exec_lo, exec_lo, s1
	s_delay_alu instid0(SALU_CYCLE_1)
	s_mov_b32 s1, exec_lo
	s_waitcnt lgkmcnt(0)
	buffer_gl0_inv
                                        ; implicit-def: $vgpr2
	v_cmpx_gt_u32_e32 28, v0
; %bb.34:
	v_add_nc_u32_e32 v2, 28, v0
	s_or_b32 s0, s0, exec_lo
                                        ; implicit-def: $vgpr7
; %bb.35:
	s_or_b32 exec_lo, exec_lo, s1
	v_mov_b32_e32 v3, v1
.LBB283_36:
	s_and_saveexec_b32 s1, s0
	s_cbranch_execz .LBB283_38
; %bb.37:
	v_lshlrev_b32_e32 v1, 2, v2
	ds_load_b32 v2, v3
	ds_load_b32 v1, v1
	s_waitcnt lgkmcnt(0)
	v_add_f32_e32 v7, v2, v1
.LBB283_38:
	s_or_b32 exec_lo, exec_lo, s1
	s_delay_alu instid0(SALU_CYCLE_1)
	s_mov_b32 s0, exec_lo
	v_cmpx_gt_u32_e32 28, v0
	s_cbranch_execz .LBB283_42
; %bb.39:
	v_cmp_eq_f32_e64 s1, s8, 0
	v_mul_f32_e32 v1, s12, v7
	s_mov_b32 s3, 0
	s_mul_i32 s0, s11, 0x70
	s_mul_i32 s2, s10, 0x70
	s_and_b32 vcc_lo, exec_lo, s1
	s_mul_hi_u32 s1, s10, 0x70
	s_cbranch_vccz .LBB283_43
; %bb.40:
	v_lshlrev_b32_e32 v2, 2, v0
	s_add_i32 s7, s1, s0
	s_add_u32 s6, s4, s2
	s_addc_u32 s7, s5, s7
	global_store_b32 v2, v1, s[6:7]
	s_and_not1_b32 vcc_lo, exec_lo, s3
	s_cbranch_vccnz .LBB283_42
.LBB283_41:
	v_lshlrev_b32_e32 v0, 2, v0
	s_add_i32 s1, s1, s0
	s_add_u32 s0, s4, s2
	s_addc_u32 s1, s5, s1
	global_load_b32 v2, v0, s[0:1]
	s_waitcnt vmcnt(0)
	v_fmac_f32_e32 v1, s8, v2
	global_store_b32 v0, v1, s[0:1]
.LBB283_42:
	s_nop 0
	s_sendmsg sendmsg(MSG_DEALLOC_VGPRS)
	s_endpgm
.LBB283_43:
	s_branch .LBB283_41
	.section	.rodata,"a",@progbits
	.p2align	6, 0x0
	.amdhsa_kernel _ZN9rocsparseL20bsrxmvn_17_32_kernelILj28EfllaafEEvT2_20rocsparse_direction_NS_24const_host_device_scalarIT0_EES1_PKS1_PKT1_SA_S7_PKT3_PKT4_S5_PT5_21rocsparse_index_base_b
		.amdhsa_group_segment_fixed_size 3136
		.amdhsa_private_segment_fixed_size 0
		.amdhsa_kernarg_size 104
		.amdhsa_user_sgpr_count 15
		.amdhsa_user_sgpr_dispatch_ptr 0
		.amdhsa_user_sgpr_queue_ptr 0
		.amdhsa_user_sgpr_kernarg_segment_ptr 1
		.amdhsa_user_sgpr_dispatch_id 0
		.amdhsa_user_sgpr_private_segment_size 0
		.amdhsa_wavefront_size32 1
		.amdhsa_uses_dynamic_stack 0
		.amdhsa_enable_private_segment 0
		.amdhsa_system_sgpr_workgroup_id_x 1
		.amdhsa_system_sgpr_workgroup_id_y 0
		.amdhsa_system_sgpr_workgroup_id_z 0
		.amdhsa_system_sgpr_workgroup_info 0
		.amdhsa_system_vgpr_workitem_id 0
		.amdhsa_next_free_vgpr 15
		.amdhsa_next_free_sgpr 24
		.amdhsa_reserve_vcc 1
		.amdhsa_float_round_mode_32 0
		.amdhsa_float_round_mode_16_64 0
		.amdhsa_float_denorm_mode_32 3
		.amdhsa_float_denorm_mode_16_64 3
		.amdhsa_dx10_clamp 1
		.amdhsa_ieee_mode 1
		.amdhsa_fp16_overflow 0
		.amdhsa_workgroup_processor_mode 1
		.amdhsa_memory_ordered 1
		.amdhsa_forward_progress 0
		.amdhsa_shared_vgpr_count 0
		.amdhsa_exception_fp_ieee_invalid_op 0
		.amdhsa_exception_fp_denorm_src 0
		.amdhsa_exception_fp_ieee_div_zero 0
		.amdhsa_exception_fp_ieee_overflow 0
		.amdhsa_exception_fp_ieee_underflow 0
		.amdhsa_exception_fp_ieee_inexact 0
		.amdhsa_exception_int_div_zero 0
	.end_amdhsa_kernel
	.section	.text._ZN9rocsparseL20bsrxmvn_17_32_kernelILj28EfllaafEEvT2_20rocsparse_direction_NS_24const_host_device_scalarIT0_EES1_PKS1_PKT1_SA_S7_PKT3_PKT4_S5_PT5_21rocsparse_index_base_b,"axG",@progbits,_ZN9rocsparseL20bsrxmvn_17_32_kernelILj28EfllaafEEvT2_20rocsparse_direction_NS_24const_host_device_scalarIT0_EES1_PKS1_PKT1_SA_S7_PKT3_PKT4_S5_PT5_21rocsparse_index_base_b,comdat
.Lfunc_end283:
	.size	_ZN9rocsparseL20bsrxmvn_17_32_kernelILj28EfllaafEEvT2_20rocsparse_direction_NS_24const_host_device_scalarIT0_EES1_PKS1_PKT1_SA_S7_PKT3_PKT4_S5_PT5_21rocsparse_index_base_b, .Lfunc_end283-_ZN9rocsparseL20bsrxmvn_17_32_kernelILj28EfllaafEEvT2_20rocsparse_direction_NS_24const_host_device_scalarIT0_EES1_PKS1_PKT1_SA_S7_PKT3_PKT4_S5_PT5_21rocsparse_index_base_b
                                        ; -- End function
	.section	.AMDGPU.csdata,"",@progbits
; Kernel info:
; codeLenInByte = 1604
; NumSgprs: 26
; NumVgprs: 15
; ScratchSize: 0
; MemoryBound: 0
; FloatMode: 240
; IeeeMode: 1
; LDSByteSize: 3136 bytes/workgroup (compile time only)
; SGPRBlocks: 3
; VGPRBlocks: 1
; NumSGPRsForWavesPerEU: 26
; NumVGPRsForWavesPerEU: 15
; Occupancy: 13
; WaveLimiterHint : 1
; COMPUTE_PGM_RSRC2:SCRATCH_EN: 0
; COMPUTE_PGM_RSRC2:USER_SGPR: 15
; COMPUTE_PGM_RSRC2:TRAP_HANDLER: 0
; COMPUTE_PGM_RSRC2:TGID_X_EN: 1
; COMPUTE_PGM_RSRC2:TGID_Y_EN: 0
; COMPUTE_PGM_RSRC2:TGID_Z_EN: 0
; COMPUTE_PGM_RSRC2:TIDIG_COMP_CNT: 0
	.section	.text._ZN9rocsparseL20bsrxmvn_17_32_kernelILj29EfllaafEEvT2_20rocsparse_direction_NS_24const_host_device_scalarIT0_EES1_PKS1_PKT1_SA_S7_PKT3_PKT4_S5_PT5_21rocsparse_index_base_b,"axG",@progbits,_ZN9rocsparseL20bsrxmvn_17_32_kernelILj29EfllaafEEvT2_20rocsparse_direction_NS_24const_host_device_scalarIT0_EES1_PKS1_PKT1_SA_S7_PKT3_PKT4_S5_PT5_21rocsparse_index_base_b,comdat
	.globl	_ZN9rocsparseL20bsrxmvn_17_32_kernelILj29EfllaafEEvT2_20rocsparse_direction_NS_24const_host_device_scalarIT0_EES1_PKS1_PKT1_SA_S7_PKT3_PKT4_S5_PT5_21rocsparse_index_base_b ; -- Begin function _ZN9rocsparseL20bsrxmvn_17_32_kernelILj29EfllaafEEvT2_20rocsparse_direction_NS_24const_host_device_scalarIT0_EES1_PKS1_PKT1_SA_S7_PKT3_PKT4_S5_PT5_21rocsparse_index_base_b
	.p2align	8
	.type	_ZN9rocsparseL20bsrxmvn_17_32_kernelILj29EfllaafEEvT2_20rocsparse_direction_NS_24const_host_device_scalarIT0_EES1_PKS1_PKT1_SA_S7_PKT3_PKT4_S5_PT5_21rocsparse_index_base_b,@function
_ZN9rocsparseL20bsrxmvn_17_32_kernelILj29EfllaafEEvT2_20rocsparse_direction_NS_24const_host_device_scalarIT0_EES1_PKS1_PKT1_SA_S7_PKT3_PKT4_S5_PT5_21rocsparse_index_base_b: ; @_ZN9rocsparseL20bsrxmvn_17_32_kernelILj29EfllaafEEvT2_20rocsparse_direction_NS_24const_host_device_scalarIT0_EES1_PKS1_PKT1_SA_S7_PKT3_PKT4_S5_PT5_21rocsparse_index_base_b
; %bb.0:
	s_mov_b32 s10, s15
	s_clause 0x2
	s_load_b64 s[14:15], s[0:1], 0x60
	s_load_b64 s[12:13], s[0:1], 0x10
	;; [unrolled: 1-line block ×3, first 2 shown]
	s_waitcnt lgkmcnt(0)
	s_bitcmp1_b32 s15, 0
	s_cselect_b32 s2, -1, 0
	s_delay_alu instid0(SALU_CYCLE_1)
	s_and_b32 vcc_lo, exec_lo, s2
	s_xor_b32 s2, s2, -1
	s_cbranch_vccnz .LBB284_2
; %bb.1:
	s_load_b32 s12, s[12:13], 0x0
.LBB284_2:
	s_and_not1_b32 vcc_lo, exec_lo, s2
	s_cbranch_vccnz .LBB284_4
; %bb.3:
	s_load_b32 s8, s[8:9], 0x0
.LBB284_4:
	s_waitcnt lgkmcnt(0)
	v_cmp_neq_f32_e64 s2, s12, 0
	v_cmp_neq_f32_e64 s3, s8, 1.0
	s_mov_b32 s11, 0
	s_delay_alu instid0(VALU_DEP_1) | instskip(NEXT) | instid1(SALU_CYCLE_1)
	s_or_b32 s2, s2, s3
	s_and_not1_b32 vcc_lo, exec_lo, s2
	s_cbranch_vccnz .LBB284_42
; %bb.5:
	s_clause 0x1
	s_load_b128 s[4:7], s[0:1], 0x20
	s_load_b64 s[16:17], s[0:1], 0x30
	s_waitcnt lgkmcnt(0)
	s_cmp_eq_u64 s[4:5], 0
	s_cbranch_scc1 .LBB284_7
; %bb.6:
	s_lshl_b64 s[2:3], s[10:11], 3
	s_delay_alu instid0(SALU_CYCLE_1)
	s_add_u32 s2, s4, s2
	s_addc_u32 s3, s5, s3
	s_load_b64 s[2:3], s[2:3], 0x0
	s_waitcnt lgkmcnt(0)
	s_sub_u32 s10, s2, s14
	s_subb_u32 s11, s3, 0
.LBB284_7:
	s_load_b32 s3, s[0:1], 0x8
	v_mul_u32_u24_e32 v1, 0x8d4, v0
	v_mov_b32_e32 v7, 0
	s_delay_alu instid0(VALU_DEP_2) | instskip(NEXT) | instid1(VALU_DEP_1)
	v_lshrrev_b32_e32 v1, 16, v1
	v_mul_lo_u16 v2, v1, 29
	s_delay_alu instid0(VALU_DEP_1)
	v_sub_nc_u16 v8, v0, v2
	s_waitcnt lgkmcnt(0)
	s_cmp_eq_u32 s3, 1
	s_cselect_b32 s2, -1, 0
	s_cmp_lg_u32 s3, 1
	s_cselect_b32 s3, -1, 0
	s_lshl_b64 s[4:5], s[10:11], 3
	s_delay_alu instid0(SALU_CYCLE_1)
	s_add_u32 s6, s6, s4
	s_addc_u32 s7, s7, s5
	s_add_u32 s9, s6, 8
	s_addc_u32 s13, s7, 0
	;; [unrolled: 2-line block ×3, first 2 shown]
	s_cmp_eq_u64 s[16:17], 0
	s_cselect_b32 s5, s13, s5
	s_cselect_b32 s4, s9, s4
	s_load_b64 s[16:17], s[6:7], 0x0
	s_load_b64 s[6:7], s[4:5], 0x0
	;; [unrolled: 1-line block ×3, first 2 shown]
	s_waitcnt lgkmcnt(0)
	v_cmp_ge_i64_e64 s9, s[16:17], s[6:7]
	s_delay_alu instid0(VALU_DEP_1)
	s_and_b32 vcc_lo, exec_lo, s9
	s_cbranch_vccnz .LBB284_12
; %bb.8:
	s_clause 0x1
	s_load_b64 s[18:19], s[0:1], 0x48
	s_load_b128 s[20:23], s[0:1], 0x38
	v_and_b32_e32 v1, 0xffff, v1
	v_cmp_gt_u32_e32 vcc_lo, 0x349, v0
	v_and_b32_e32 v3, 0xffff, v8
	s_sub_u32 s0, s6, s14
	s_subb_u32 s1, s7, 0
	v_subrev_nc_u32_e32 v2, 29, v1
	s_sub_u32 s6, s16, s14
	s_subb_u32 s7, s17, 0
	s_mul_i32 s13, s6, 0x349
	v_mov_b32_e32 v7, 0
	v_cndmask_b32_e32 v1, v2, v1, vcc_lo
	v_cmp_lt_u32_e32 vcc_lo, 0x348, v0
	s_delay_alu instid0(VALU_DEP_2) | instskip(SKIP_3) | instid1(VALU_DEP_2)
	v_cndmask_b32_e64 v1, v3, v1, s2
	v_cndmask_b32_e64 v9, 0, 1, vcc_lo
	s_mul_i32 s2, s7, 0x349
	s_waitcnt lgkmcnt(0)
	v_add_co_u32 v1, s9, s18, v1
	s_delay_alu instid0(VALU_DEP_1) | instskip(SKIP_1) | instid1(VALU_DEP_1)
	v_add_co_ci_u32_e64 v2, null, s19, 0, s9
	v_add_co_u32 v3, s9, s16, v9
	v_add_co_ci_u32_e64 v4, null, s17, 0, s9
	s_mul_hi_u32 s9, s6, 0x349
	s_delay_alu instid0(VALU_DEP_2) | instskip(NEXT) | instid1(VALU_DEP_2)
	v_sub_co_u32 v3, vcc_lo, v3, s14
	v_subrev_co_ci_u32_e32 v4, vcc_lo, 0, v4, vcc_lo
	s_add_i32 s9, s9, s2
	s_add_u32 s2, s22, s13
	s_addc_u32 s9, s23, s9
	s_delay_alu instid0(VALU_DEP_1) | instskip(SKIP_1) | instid1(VALU_DEP_1)
	v_lshlrev_b64 v[5:6], 3, v[3:4]
	v_add_co_u32 v3, s2, s2, v0
	v_add_co_ci_u32_e64 v4, null, s9, 0, s2
	s_delay_alu instid0(VALU_DEP_3) | instskip(NEXT) | instid1(VALU_DEP_4)
	v_add_co_u32 v5, vcc_lo, s20, v5
	v_add_co_ci_u32_e32 v6, vcc_lo, s21, v6, vcc_lo
	s_set_inst_prefetch_distance 0x1
	s_branch .LBB284_10
	.p2align	6
.LBB284_9:                              ;   in Loop: Header=BB284_10 Depth=1
	s_or_b32 exec_lo, exec_lo, s2
	s_add_u32 s6, s6, 1
	s_addc_u32 s7, s7, 0
	v_add_co_u32 v5, vcc_lo, v5, 8
	v_cmp_lt_i64_e64 s2, s[6:7], s[0:1]
	v_add_co_ci_u32_e32 v6, vcc_lo, 0, v6, vcc_lo
	s_delay_alu instid0(VALU_DEP_2)
	s_and_b32 vcc_lo, exec_lo, s2
	s_cbranch_vccz .LBB284_12
.LBB284_10:                             ; =>This Inner Loop Header: Depth=1
	v_add_co_u32 v10, s2, v9, s6
	s_delay_alu instid0(VALU_DEP_1) | instskip(SKIP_1) | instid1(VALU_DEP_1)
	v_add_co_ci_u32_e64 v11, null, 0, s7, s2
	s_mov_b32 s2, exec_lo
	v_cmpx_gt_i64_e64 s[0:1], v[10:11]
	s_cbranch_execz .LBB284_9
; %bb.11:                               ;   in Loop: Header=BB284_10 Depth=1
	global_load_b64 v[10:11], v[5:6], off
	s_waitcnt vmcnt(0)
	v_sub_co_u32 v12, vcc_lo, v10, s14
	v_subrev_co_ci_u32_e32 v14, vcc_lo, 0, v11, vcc_lo
	s_delay_alu instid0(VALU_DEP_2) | instskip(NEXT) | instid1(VALU_DEP_1)
	v_mad_u64_u32 v[10:11], null, v12, 29, v[1:2]
	v_mad_u64_u32 v[12:13], null, v14, 29, v[11:12]
	s_delay_alu instid0(VALU_DEP_1)
	v_mov_b32_e32 v11, v12
	global_load_i8 v12, v[3:4], off
	global_load_i8 v10, v[10:11], off
	v_add_co_u32 v3, vcc_lo, 0x349, v3
	v_add_co_ci_u32_e32 v4, vcc_lo, 0, v4, vcc_lo
	s_waitcnt vmcnt(1)
	v_cvt_f32_i32_e32 v11, v12
	s_waitcnt vmcnt(0)
	v_cvt_f32_i32_e32 v10, v10
	s_delay_alu instid0(VALU_DEP_1)
	v_fmac_f32_e32 v7, v11, v10
	s_branch .LBB284_9
.LBB284_12:
	s_set_inst_prefetch_distance 0x2
	v_lshlrev_b32_e32 v1, 2, v0
	s_and_b32 vcc_lo, exec_lo, s3
	ds_store_b32 v1, v7
	s_waitcnt lgkmcnt(0)
	s_barrier
	buffer_gl0_inv
	s_cbranch_vccz .LBB284_24
; %bb.13:
	s_mov_b32 s0, exec_lo
	v_cmpx_gt_u16_e32 13, v8
	s_cbranch_execz .LBB284_15
; %bb.14:
	ds_load_2addr_b32 v[2:3], v1 offset1:16
	s_waitcnt lgkmcnt(0)
	v_add_f32_e32 v2, v3, v2
	ds_store_b32 v1, v2
.LBB284_15:
	s_or_b32 exec_lo, exec_lo, s0
	s_delay_alu instid0(SALU_CYCLE_1)
	s_mov_b32 s0, exec_lo
	s_waitcnt lgkmcnt(0)
	s_barrier
	buffer_gl0_inv
	v_cmpx_gt_u16_e32 8, v8
	s_cbranch_execz .LBB284_17
; %bb.16:
	ds_load_2addr_b32 v[2:3], v1 offset1:8
	s_waitcnt lgkmcnt(0)
	v_add_f32_e32 v2, v3, v2
	ds_store_b32 v1, v2
.LBB284_17:
	s_or_b32 exec_lo, exec_lo, s0
	s_delay_alu instid0(SALU_CYCLE_1)
	s_mov_b32 s0, exec_lo
	s_waitcnt lgkmcnt(0)
	s_barrier
	buffer_gl0_inv
	;; [unrolled: 14-line block ×3, first 2 shown]
	v_cmpx_gt_u16_e32 2, v8
	s_cbranch_execz .LBB284_21
; %bb.20:
	ds_load_2addr_b32 v[2:3], v1 offset1:2
	s_waitcnt lgkmcnt(0)
	v_add_f32_e32 v2, v3, v2
	ds_store_b32 v1, v2
.LBB284_21:
	s_or_b32 exec_lo, exec_lo, s0
	s_mov_b32 s1, 0
	s_mov_b32 s0, 0
	s_mov_b32 s2, exec_lo
	s_waitcnt lgkmcnt(0)
	s_barrier
	buffer_gl0_inv
                                        ; implicit-def: $vgpr2
                                        ; implicit-def: $vgpr3
	v_cmpx_gt_u32_e32 29, v0
	s_xor_b32 s2, exec_lo, s2
; %bb.22:
	v_mad_u32_u24 v2, v0, 29, 1
	v_mad_u32_u24 v3, 0x70, v0, v1
	s_mov_b32 s0, exec_lo
; %bb.23:
	s_or_b32 exec_lo, exec_lo, s2
	s_delay_alu instid0(SALU_CYCLE_1)
	s_and_b32 vcc_lo, exec_lo, s1
	s_cbranch_vccnz .LBB284_25
	s_branch .LBB284_36
.LBB284_24:
	s_mov_b32 s0, 0
                                        ; implicit-def: $vgpr2
                                        ; implicit-def: $vgpr3
	s_cbranch_execz .LBB284_36
.LBB284_25:
	s_mov_b32 s1, exec_lo
	v_cmpx_gt_u32_e32 0x179, v0
	s_cbranch_execz .LBB284_27
; %bb.26:
	ds_load_b32 v2, v1 offset:1856
	ds_load_b32 v3, v1
	s_waitcnt lgkmcnt(0)
	v_add_f32_e32 v2, v2, v3
	ds_store_b32 v1, v2
.LBB284_27:
	s_or_b32 exec_lo, exec_lo, s1
	s_delay_alu instid0(SALU_CYCLE_1)
	s_mov_b32 s1, exec_lo
	s_waitcnt lgkmcnt(0)
	s_barrier
	buffer_gl0_inv
	v_cmpx_gt_u32_e32 0xe8, v0
	s_cbranch_execz .LBB284_29
; %bb.28:
	ds_load_2addr_b32 v[2:3], v1 offset1:232
	s_waitcnt lgkmcnt(0)
	v_add_f32_e32 v2, v3, v2
	ds_store_b32 v1, v2
.LBB284_29:
	s_or_b32 exec_lo, exec_lo, s1
	s_delay_alu instid0(SALU_CYCLE_1)
	s_mov_b32 s1, exec_lo
	s_waitcnt lgkmcnt(0)
	s_barrier
	buffer_gl0_inv
	v_cmpx_gt_u32_e32 0x74, v0
	s_cbranch_execz .LBB284_31
; %bb.30:
	ds_load_2addr_b32 v[2:3], v1 offset1:116
	s_waitcnt lgkmcnt(0)
	v_add_f32_e32 v2, v3, v2
	ds_store_b32 v1, v2
.LBB284_31:
	;; [unrolled: 14-line block ×3, first 2 shown]
	s_or_b32 exec_lo, exec_lo, s1
	s_delay_alu instid0(SALU_CYCLE_1)
	s_mov_b32 s1, exec_lo
	s_waitcnt lgkmcnt(0)
	buffer_gl0_inv
                                        ; implicit-def: $vgpr2
	v_cmpx_gt_u32_e32 29, v0
; %bb.34:
	v_add_nc_u32_e32 v2, 29, v0
	s_or_b32 s0, s0, exec_lo
                                        ; implicit-def: $vgpr7
; %bb.35:
	s_or_b32 exec_lo, exec_lo, s1
	v_mov_b32_e32 v3, v1
.LBB284_36:
	s_and_saveexec_b32 s1, s0
	s_cbranch_execz .LBB284_38
; %bb.37:
	v_lshlrev_b32_e32 v1, 2, v2
	ds_load_b32 v2, v3
	ds_load_b32 v1, v1
	s_waitcnt lgkmcnt(0)
	v_add_f32_e32 v7, v2, v1
.LBB284_38:
	s_or_b32 exec_lo, exec_lo, s1
	s_delay_alu instid0(SALU_CYCLE_1)
	s_mov_b32 s0, exec_lo
	v_cmpx_gt_u32_e32 29, v0
	s_cbranch_execz .LBB284_42
; %bb.39:
	v_cmp_eq_f32_e64 s1, s8, 0
	v_mul_f32_e32 v1, s12, v7
	s_mov_b32 s3, 0
	s_mul_i32 s0, s11, 0x74
	s_mul_i32 s2, s10, 0x74
	s_and_b32 vcc_lo, exec_lo, s1
	s_mul_hi_u32 s1, s10, 0x74
	s_cbranch_vccz .LBB284_43
; %bb.40:
	v_lshlrev_b32_e32 v2, 2, v0
	s_add_i32 s7, s1, s0
	s_add_u32 s6, s4, s2
	s_addc_u32 s7, s5, s7
	global_store_b32 v2, v1, s[6:7]
	s_and_not1_b32 vcc_lo, exec_lo, s3
	s_cbranch_vccnz .LBB284_42
.LBB284_41:
	v_lshlrev_b32_e32 v0, 2, v0
	s_add_i32 s1, s1, s0
	s_add_u32 s0, s4, s2
	s_addc_u32 s1, s5, s1
	global_load_b32 v2, v0, s[0:1]
	s_waitcnt vmcnt(0)
	v_fmac_f32_e32 v1, s8, v2
	global_store_b32 v0, v1, s[0:1]
.LBB284_42:
	s_nop 0
	s_sendmsg sendmsg(MSG_DEALLOC_VGPRS)
	s_endpgm
.LBB284_43:
	s_branch .LBB284_41
	.section	.rodata,"a",@progbits
	.p2align	6, 0x0
	.amdhsa_kernel _ZN9rocsparseL20bsrxmvn_17_32_kernelILj29EfllaafEEvT2_20rocsparse_direction_NS_24const_host_device_scalarIT0_EES1_PKS1_PKT1_SA_S7_PKT3_PKT4_S5_PT5_21rocsparse_index_base_b
		.amdhsa_group_segment_fixed_size 3364
		.amdhsa_private_segment_fixed_size 0
		.amdhsa_kernarg_size 104
		.amdhsa_user_sgpr_count 15
		.amdhsa_user_sgpr_dispatch_ptr 0
		.amdhsa_user_sgpr_queue_ptr 0
		.amdhsa_user_sgpr_kernarg_segment_ptr 1
		.amdhsa_user_sgpr_dispatch_id 0
		.amdhsa_user_sgpr_private_segment_size 0
		.amdhsa_wavefront_size32 1
		.amdhsa_uses_dynamic_stack 0
		.amdhsa_enable_private_segment 0
		.amdhsa_system_sgpr_workgroup_id_x 1
		.amdhsa_system_sgpr_workgroup_id_y 0
		.amdhsa_system_sgpr_workgroup_id_z 0
		.amdhsa_system_sgpr_workgroup_info 0
		.amdhsa_system_vgpr_workitem_id 0
		.amdhsa_next_free_vgpr 15
		.amdhsa_next_free_sgpr 24
		.amdhsa_reserve_vcc 1
		.amdhsa_float_round_mode_32 0
		.amdhsa_float_round_mode_16_64 0
		.amdhsa_float_denorm_mode_32 3
		.amdhsa_float_denorm_mode_16_64 3
		.amdhsa_dx10_clamp 1
		.amdhsa_ieee_mode 1
		.amdhsa_fp16_overflow 0
		.amdhsa_workgroup_processor_mode 1
		.amdhsa_memory_ordered 1
		.amdhsa_forward_progress 0
		.amdhsa_shared_vgpr_count 0
		.amdhsa_exception_fp_ieee_invalid_op 0
		.amdhsa_exception_fp_denorm_src 0
		.amdhsa_exception_fp_ieee_div_zero 0
		.amdhsa_exception_fp_ieee_overflow 0
		.amdhsa_exception_fp_ieee_underflow 0
		.amdhsa_exception_fp_ieee_inexact 0
		.amdhsa_exception_int_div_zero 0
	.end_amdhsa_kernel
	.section	.text._ZN9rocsparseL20bsrxmvn_17_32_kernelILj29EfllaafEEvT2_20rocsparse_direction_NS_24const_host_device_scalarIT0_EES1_PKS1_PKT1_SA_S7_PKT3_PKT4_S5_PT5_21rocsparse_index_base_b,"axG",@progbits,_ZN9rocsparseL20bsrxmvn_17_32_kernelILj29EfllaafEEvT2_20rocsparse_direction_NS_24const_host_device_scalarIT0_EES1_PKS1_PKT1_SA_S7_PKT3_PKT4_S5_PT5_21rocsparse_index_base_b,comdat
.Lfunc_end284:
	.size	_ZN9rocsparseL20bsrxmvn_17_32_kernelILj29EfllaafEEvT2_20rocsparse_direction_NS_24const_host_device_scalarIT0_EES1_PKS1_PKT1_SA_S7_PKT3_PKT4_S5_PT5_21rocsparse_index_base_b, .Lfunc_end284-_ZN9rocsparseL20bsrxmvn_17_32_kernelILj29EfllaafEEvT2_20rocsparse_direction_NS_24const_host_device_scalarIT0_EES1_PKS1_PKT1_SA_S7_PKT3_PKT4_S5_PT5_21rocsparse_index_base_b
                                        ; -- End function
	.section	.AMDGPU.csdata,"",@progbits
; Kernel info:
; codeLenInByte = 1608
; NumSgprs: 26
; NumVgprs: 15
; ScratchSize: 0
; MemoryBound: 0
; FloatMode: 240
; IeeeMode: 1
; LDSByteSize: 3364 bytes/workgroup (compile time only)
; SGPRBlocks: 3
; VGPRBlocks: 1
; NumSGPRsForWavesPerEU: 26
; NumVGPRsForWavesPerEU: 15
; Occupancy: 14
; WaveLimiterHint : 1
; COMPUTE_PGM_RSRC2:SCRATCH_EN: 0
; COMPUTE_PGM_RSRC2:USER_SGPR: 15
; COMPUTE_PGM_RSRC2:TRAP_HANDLER: 0
; COMPUTE_PGM_RSRC2:TGID_X_EN: 1
; COMPUTE_PGM_RSRC2:TGID_Y_EN: 0
; COMPUTE_PGM_RSRC2:TGID_Z_EN: 0
; COMPUTE_PGM_RSRC2:TIDIG_COMP_CNT: 0
	.section	.text._ZN9rocsparseL20bsrxmvn_17_32_kernelILj30EfllaafEEvT2_20rocsparse_direction_NS_24const_host_device_scalarIT0_EES1_PKS1_PKT1_SA_S7_PKT3_PKT4_S5_PT5_21rocsparse_index_base_b,"axG",@progbits,_ZN9rocsparseL20bsrxmvn_17_32_kernelILj30EfllaafEEvT2_20rocsparse_direction_NS_24const_host_device_scalarIT0_EES1_PKS1_PKT1_SA_S7_PKT3_PKT4_S5_PT5_21rocsparse_index_base_b,comdat
	.globl	_ZN9rocsparseL20bsrxmvn_17_32_kernelILj30EfllaafEEvT2_20rocsparse_direction_NS_24const_host_device_scalarIT0_EES1_PKS1_PKT1_SA_S7_PKT3_PKT4_S5_PT5_21rocsparse_index_base_b ; -- Begin function _ZN9rocsparseL20bsrxmvn_17_32_kernelILj30EfllaafEEvT2_20rocsparse_direction_NS_24const_host_device_scalarIT0_EES1_PKS1_PKT1_SA_S7_PKT3_PKT4_S5_PT5_21rocsparse_index_base_b
	.p2align	8
	.type	_ZN9rocsparseL20bsrxmvn_17_32_kernelILj30EfllaafEEvT2_20rocsparse_direction_NS_24const_host_device_scalarIT0_EES1_PKS1_PKT1_SA_S7_PKT3_PKT4_S5_PT5_21rocsparse_index_base_b,@function
_ZN9rocsparseL20bsrxmvn_17_32_kernelILj30EfllaafEEvT2_20rocsparse_direction_NS_24const_host_device_scalarIT0_EES1_PKS1_PKT1_SA_S7_PKT3_PKT4_S5_PT5_21rocsparse_index_base_b: ; @_ZN9rocsparseL20bsrxmvn_17_32_kernelILj30EfllaafEEvT2_20rocsparse_direction_NS_24const_host_device_scalarIT0_EES1_PKS1_PKT1_SA_S7_PKT3_PKT4_S5_PT5_21rocsparse_index_base_b
; %bb.0:
	s_mov_b32 s10, s15
	s_clause 0x2
	s_load_b64 s[14:15], s[0:1], 0x60
	s_load_b64 s[12:13], s[0:1], 0x10
	;; [unrolled: 1-line block ×3, first 2 shown]
	s_waitcnt lgkmcnt(0)
	s_bitcmp1_b32 s15, 0
	s_cselect_b32 s2, -1, 0
	s_delay_alu instid0(SALU_CYCLE_1)
	s_and_b32 vcc_lo, exec_lo, s2
	s_xor_b32 s2, s2, -1
	s_cbranch_vccnz .LBB285_2
; %bb.1:
	s_load_b32 s12, s[12:13], 0x0
.LBB285_2:
	s_and_not1_b32 vcc_lo, exec_lo, s2
	s_cbranch_vccnz .LBB285_4
; %bb.3:
	s_load_b32 s8, s[8:9], 0x0
.LBB285_4:
	s_waitcnt lgkmcnt(0)
	v_cmp_neq_f32_e64 s2, s12, 0
	v_cmp_neq_f32_e64 s3, s8, 1.0
	s_mov_b32 s11, 0
	s_delay_alu instid0(VALU_DEP_1) | instskip(NEXT) | instid1(SALU_CYCLE_1)
	s_or_b32 s2, s2, s3
	s_and_not1_b32 vcc_lo, exec_lo, s2
	s_cbranch_vccnz .LBB285_42
; %bb.5:
	s_clause 0x1
	s_load_b128 s[4:7], s[0:1], 0x20
	s_load_b64 s[16:17], s[0:1], 0x30
	s_waitcnt lgkmcnt(0)
	s_cmp_eq_u64 s[4:5], 0
	s_cbranch_scc1 .LBB285_7
; %bb.6:
	s_lshl_b64 s[2:3], s[10:11], 3
	s_delay_alu instid0(SALU_CYCLE_1)
	s_add_u32 s2, s4, s2
	s_addc_u32 s3, s5, s3
	s_load_b64 s[2:3], s[2:3], 0x0
	s_waitcnt lgkmcnt(0)
	s_sub_u32 s10, s2, s14
	s_subb_u32 s11, s3, 0
.LBB285_7:
	s_load_b32 s3, s[0:1], 0x8
	v_mul_u32_u24_e32 v1, 0x889, v0
	v_mov_b32_e32 v7, 0
	s_delay_alu instid0(VALU_DEP_2) | instskip(NEXT) | instid1(VALU_DEP_1)
	v_lshrrev_b32_e32 v1, 16, v1
	v_mul_lo_u16 v2, v1, 30
	s_delay_alu instid0(VALU_DEP_1)
	v_sub_nc_u16 v8, v0, v2
	s_waitcnt lgkmcnt(0)
	s_cmp_eq_u32 s3, 1
	s_cselect_b32 s2, -1, 0
	s_cmp_lg_u32 s3, 1
	s_cselect_b32 s3, -1, 0
	s_lshl_b64 s[4:5], s[10:11], 3
	s_delay_alu instid0(SALU_CYCLE_1)
	s_add_u32 s6, s6, s4
	s_addc_u32 s7, s7, s5
	s_add_u32 s9, s6, 8
	s_addc_u32 s13, s7, 0
	;; [unrolled: 2-line block ×3, first 2 shown]
	s_cmp_eq_u64 s[16:17], 0
	s_cselect_b32 s5, s13, s5
	s_cselect_b32 s4, s9, s4
	s_load_b64 s[16:17], s[6:7], 0x0
	s_load_b64 s[6:7], s[4:5], 0x0
	s_load_b64 s[4:5], s[0:1], 0x58
	s_waitcnt lgkmcnt(0)
	v_cmp_ge_i64_e64 s9, s[16:17], s[6:7]
	s_delay_alu instid0(VALU_DEP_1)
	s_and_b32 vcc_lo, exec_lo, s9
	s_cbranch_vccnz .LBB285_12
; %bb.8:
	s_clause 0x1
	s_load_b64 s[18:19], s[0:1], 0x48
	s_load_b128 s[20:23], s[0:1], 0x38
	v_and_b32_e32 v1, 0xffff, v1
	v_cmp_gt_u32_e32 vcc_lo, 0x384, v0
	v_and_b32_e32 v3, 0xffff, v8
	s_sub_u32 s0, s6, s14
	s_subb_u32 s1, s7, 0
	v_subrev_nc_u32_e32 v2, 30, v1
	s_sub_u32 s6, s16, s14
	s_subb_u32 s7, s17, 0
	s_mul_i32 s13, s6, 0x384
	v_mov_b32_e32 v7, 0
	v_cndmask_b32_e32 v1, v2, v1, vcc_lo
	v_cmp_lt_u32_e32 vcc_lo, 0x383, v0
	s_delay_alu instid0(VALU_DEP_2) | instskip(SKIP_3) | instid1(VALU_DEP_2)
	v_cndmask_b32_e64 v1, v3, v1, s2
	v_cndmask_b32_e64 v9, 0, 1, vcc_lo
	s_mul_i32 s2, s7, 0x384
	s_waitcnt lgkmcnt(0)
	v_add_co_u32 v1, s9, s18, v1
	s_delay_alu instid0(VALU_DEP_1) | instskip(SKIP_1) | instid1(VALU_DEP_1)
	v_add_co_ci_u32_e64 v2, null, s19, 0, s9
	v_add_co_u32 v3, s9, s16, v9
	v_add_co_ci_u32_e64 v4, null, s17, 0, s9
	s_mul_hi_u32 s9, s6, 0x384
	s_delay_alu instid0(VALU_DEP_2) | instskip(NEXT) | instid1(VALU_DEP_2)
	v_sub_co_u32 v3, vcc_lo, v3, s14
	v_subrev_co_ci_u32_e32 v4, vcc_lo, 0, v4, vcc_lo
	s_add_i32 s9, s9, s2
	s_add_u32 s2, s22, s13
	s_addc_u32 s9, s23, s9
	s_delay_alu instid0(VALU_DEP_1) | instskip(SKIP_1) | instid1(VALU_DEP_1)
	v_lshlrev_b64 v[5:6], 3, v[3:4]
	v_add_co_u32 v3, s2, s2, v0
	v_add_co_ci_u32_e64 v4, null, s9, 0, s2
	s_delay_alu instid0(VALU_DEP_3) | instskip(NEXT) | instid1(VALU_DEP_4)
	v_add_co_u32 v5, vcc_lo, s20, v5
	v_add_co_ci_u32_e32 v6, vcc_lo, s21, v6, vcc_lo
	s_set_inst_prefetch_distance 0x1
	s_branch .LBB285_10
	.p2align	6
.LBB285_9:                              ;   in Loop: Header=BB285_10 Depth=1
	s_or_b32 exec_lo, exec_lo, s2
	s_add_u32 s6, s6, 1
	s_addc_u32 s7, s7, 0
	v_add_co_u32 v5, vcc_lo, v5, 8
	v_cmp_lt_i64_e64 s2, s[6:7], s[0:1]
	v_add_co_ci_u32_e32 v6, vcc_lo, 0, v6, vcc_lo
	s_delay_alu instid0(VALU_DEP_2)
	s_and_b32 vcc_lo, exec_lo, s2
	s_cbranch_vccz .LBB285_12
.LBB285_10:                             ; =>This Inner Loop Header: Depth=1
	v_add_co_u32 v10, s2, v9, s6
	s_delay_alu instid0(VALU_DEP_1) | instskip(SKIP_1) | instid1(VALU_DEP_1)
	v_add_co_ci_u32_e64 v11, null, 0, s7, s2
	s_mov_b32 s2, exec_lo
	v_cmpx_gt_i64_e64 s[0:1], v[10:11]
	s_cbranch_execz .LBB285_9
; %bb.11:                               ;   in Loop: Header=BB285_10 Depth=1
	global_load_b64 v[10:11], v[5:6], off
	s_waitcnt vmcnt(0)
	v_sub_co_u32 v12, vcc_lo, v10, s14
	v_subrev_co_ci_u32_e32 v14, vcc_lo, 0, v11, vcc_lo
	s_delay_alu instid0(VALU_DEP_2) | instskip(NEXT) | instid1(VALU_DEP_1)
	v_mad_u64_u32 v[10:11], null, v12, 30, v[1:2]
	v_mad_u64_u32 v[12:13], null, v14, 30, v[11:12]
	s_delay_alu instid0(VALU_DEP_1)
	v_mov_b32_e32 v11, v12
	global_load_i8 v12, v[3:4], off
	global_load_i8 v10, v[10:11], off
	v_add_co_u32 v3, vcc_lo, 0x384, v3
	v_add_co_ci_u32_e32 v4, vcc_lo, 0, v4, vcc_lo
	s_waitcnt vmcnt(1)
	v_cvt_f32_i32_e32 v11, v12
	s_waitcnt vmcnt(0)
	v_cvt_f32_i32_e32 v10, v10
	s_delay_alu instid0(VALU_DEP_1)
	v_fmac_f32_e32 v7, v11, v10
	s_branch .LBB285_9
.LBB285_12:
	s_set_inst_prefetch_distance 0x2
	v_lshlrev_b32_e32 v1, 2, v0
	s_and_b32 vcc_lo, exec_lo, s3
	ds_store_b32 v1, v7
	s_waitcnt lgkmcnt(0)
	s_barrier
	buffer_gl0_inv
	s_cbranch_vccz .LBB285_24
; %bb.13:
	s_mov_b32 s0, exec_lo
	v_cmpx_gt_u16_e32 14, v8
	s_cbranch_execz .LBB285_15
; %bb.14:
	ds_load_2addr_b32 v[2:3], v1 offset1:16
	s_waitcnt lgkmcnt(0)
	v_add_f32_e32 v2, v3, v2
	ds_store_b32 v1, v2
.LBB285_15:
	s_or_b32 exec_lo, exec_lo, s0
	s_delay_alu instid0(SALU_CYCLE_1)
	s_mov_b32 s0, exec_lo
	s_waitcnt lgkmcnt(0)
	s_barrier
	buffer_gl0_inv
	v_cmpx_gt_u16_e32 8, v8
	s_cbranch_execz .LBB285_17
; %bb.16:
	ds_load_2addr_b32 v[2:3], v1 offset1:8
	s_waitcnt lgkmcnt(0)
	v_add_f32_e32 v2, v3, v2
	ds_store_b32 v1, v2
.LBB285_17:
	s_or_b32 exec_lo, exec_lo, s0
	s_delay_alu instid0(SALU_CYCLE_1)
	s_mov_b32 s0, exec_lo
	s_waitcnt lgkmcnt(0)
	s_barrier
	buffer_gl0_inv
	v_cmpx_gt_u16_e32 4, v8
	s_cbranch_execz .LBB285_19
; %bb.18:
	ds_load_2addr_b32 v[2:3], v1 offset1:4
	s_waitcnt lgkmcnt(0)
	v_add_f32_e32 v2, v3, v2
	ds_store_b32 v1, v2
.LBB285_19:
	s_or_b32 exec_lo, exec_lo, s0
	s_delay_alu instid0(SALU_CYCLE_1)
	s_mov_b32 s0, exec_lo
	s_waitcnt lgkmcnt(0)
	s_barrier
	buffer_gl0_inv
	v_cmpx_gt_u16_e32 2, v8
	s_cbranch_execz .LBB285_21
; %bb.20:
	ds_load_2addr_b32 v[2:3], v1 offset1:2
	s_waitcnt lgkmcnt(0)
	v_add_f32_e32 v2, v3, v2
	ds_store_b32 v1, v2
.LBB285_21:
	s_or_b32 exec_lo, exec_lo, s0
	s_mov_b32 s1, 0
	s_mov_b32 s0, 0
	s_mov_b32 s2, exec_lo
	s_waitcnt lgkmcnt(0)
	s_barrier
	buffer_gl0_inv
                                        ; implicit-def: $vgpr2
                                        ; implicit-def: $vgpr3
	v_cmpx_gt_u32_e32 30, v0
	s_xor_b32 s2, exec_lo, s2
; %bb.22:
	v_mul_u32_u24_e32 v2, 30, v0
	v_mad_u32_u24 v3, 0x74, v0, v1
	s_mov_b32 s0, exec_lo
	s_delay_alu instid0(VALU_DEP_2)
	v_or_b32_e32 v2, 1, v2
; %bb.23:
	s_or_b32 exec_lo, exec_lo, s2
	s_delay_alu instid0(SALU_CYCLE_1)
	s_and_b32 vcc_lo, exec_lo, s1
	s_cbranch_vccnz .LBB285_25
	s_branch .LBB285_36
.LBB285_24:
	s_mov_b32 s0, 0
                                        ; implicit-def: $vgpr2
                                        ; implicit-def: $vgpr3
	s_cbranch_execz .LBB285_36
.LBB285_25:
	s_mov_b32 s1, exec_lo
	v_cmpx_gt_u32_e32 0x1a4, v0
	s_cbranch_execz .LBB285_27
; %bb.26:
	ds_load_b32 v2, v1 offset:1920
	ds_load_b32 v3, v1
	s_waitcnt lgkmcnt(0)
	v_add_f32_e32 v2, v2, v3
	ds_store_b32 v1, v2
.LBB285_27:
	s_or_b32 exec_lo, exec_lo, s1
	s_delay_alu instid0(SALU_CYCLE_1)
	s_mov_b32 s1, exec_lo
	s_waitcnt lgkmcnt(0)
	s_barrier
	buffer_gl0_inv
	v_cmpx_gt_u32_e32 0xf0, v0
	s_cbranch_execz .LBB285_29
; %bb.28:
	ds_load_2addr_b32 v[2:3], v1 offset1:240
	s_waitcnt lgkmcnt(0)
	v_add_f32_e32 v2, v3, v2
	ds_store_b32 v1, v2
.LBB285_29:
	s_or_b32 exec_lo, exec_lo, s1
	s_delay_alu instid0(SALU_CYCLE_1)
	s_mov_b32 s1, exec_lo
	s_waitcnt lgkmcnt(0)
	s_barrier
	buffer_gl0_inv
	v_cmpx_gt_u32_e32 0x78, v0
	s_cbranch_execz .LBB285_31
; %bb.30:
	ds_load_2addr_b32 v[2:3], v1 offset1:120
	s_waitcnt lgkmcnt(0)
	v_add_f32_e32 v2, v3, v2
	ds_store_b32 v1, v2
.LBB285_31:
	;; [unrolled: 14-line block ×3, first 2 shown]
	s_or_b32 exec_lo, exec_lo, s1
	s_delay_alu instid0(SALU_CYCLE_1)
	s_mov_b32 s1, exec_lo
	s_waitcnt lgkmcnt(0)
	buffer_gl0_inv
                                        ; implicit-def: $vgpr2
	v_cmpx_gt_u32_e32 30, v0
; %bb.34:
	v_add_nc_u32_e32 v2, 30, v0
	s_or_b32 s0, s0, exec_lo
                                        ; implicit-def: $vgpr7
; %bb.35:
	s_or_b32 exec_lo, exec_lo, s1
	v_mov_b32_e32 v3, v1
.LBB285_36:
	s_and_saveexec_b32 s1, s0
	s_cbranch_execz .LBB285_38
; %bb.37:
	v_lshlrev_b32_e32 v1, 2, v2
	ds_load_b32 v2, v3
	ds_load_b32 v1, v1
	s_waitcnt lgkmcnt(0)
	v_add_f32_e32 v7, v2, v1
.LBB285_38:
	s_or_b32 exec_lo, exec_lo, s1
	s_delay_alu instid0(SALU_CYCLE_1)
	s_mov_b32 s0, exec_lo
	v_cmpx_gt_u32_e32 30, v0
	s_cbranch_execz .LBB285_42
; %bb.39:
	v_cmp_eq_f32_e64 s1, s8, 0
	v_mul_f32_e32 v1, s12, v7
	s_mov_b32 s3, 0
	s_mul_i32 s0, s11, 0x78
	s_mul_i32 s2, s10, 0x78
	s_and_b32 vcc_lo, exec_lo, s1
	s_mul_hi_u32 s1, s10, 0x78
	s_cbranch_vccz .LBB285_43
; %bb.40:
	v_lshlrev_b32_e32 v2, 2, v0
	s_add_i32 s7, s1, s0
	s_add_u32 s6, s4, s2
	s_addc_u32 s7, s5, s7
	global_store_b32 v2, v1, s[6:7]
	s_and_not1_b32 vcc_lo, exec_lo, s3
	s_cbranch_vccnz .LBB285_42
.LBB285_41:
	v_lshlrev_b32_e32 v0, 2, v0
	s_add_i32 s1, s1, s0
	s_add_u32 s0, s4, s2
	s_addc_u32 s1, s5, s1
	global_load_b32 v2, v0, s[0:1]
	s_waitcnt vmcnt(0)
	v_fmac_f32_e32 v1, s8, v2
	global_store_b32 v0, v1, s[0:1]
.LBB285_42:
	s_nop 0
	s_sendmsg sendmsg(MSG_DEALLOC_VGPRS)
	s_endpgm
.LBB285_43:
	s_branch .LBB285_41
	.section	.rodata,"a",@progbits
	.p2align	6, 0x0
	.amdhsa_kernel _ZN9rocsparseL20bsrxmvn_17_32_kernelILj30EfllaafEEvT2_20rocsparse_direction_NS_24const_host_device_scalarIT0_EES1_PKS1_PKT1_SA_S7_PKT3_PKT4_S5_PT5_21rocsparse_index_base_b
		.amdhsa_group_segment_fixed_size 3600
		.amdhsa_private_segment_fixed_size 0
		.amdhsa_kernarg_size 104
		.amdhsa_user_sgpr_count 15
		.amdhsa_user_sgpr_dispatch_ptr 0
		.amdhsa_user_sgpr_queue_ptr 0
		.amdhsa_user_sgpr_kernarg_segment_ptr 1
		.amdhsa_user_sgpr_dispatch_id 0
		.amdhsa_user_sgpr_private_segment_size 0
		.amdhsa_wavefront_size32 1
		.amdhsa_uses_dynamic_stack 0
		.amdhsa_enable_private_segment 0
		.amdhsa_system_sgpr_workgroup_id_x 1
		.amdhsa_system_sgpr_workgroup_id_y 0
		.amdhsa_system_sgpr_workgroup_id_z 0
		.amdhsa_system_sgpr_workgroup_info 0
		.amdhsa_system_vgpr_workitem_id 0
		.amdhsa_next_free_vgpr 15
		.amdhsa_next_free_sgpr 24
		.amdhsa_reserve_vcc 1
		.amdhsa_float_round_mode_32 0
		.amdhsa_float_round_mode_16_64 0
		.amdhsa_float_denorm_mode_32 3
		.amdhsa_float_denorm_mode_16_64 3
		.amdhsa_dx10_clamp 1
		.amdhsa_ieee_mode 1
		.amdhsa_fp16_overflow 0
		.amdhsa_workgroup_processor_mode 1
		.amdhsa_memory_ordered 1
		.amdhsa_forward_progress 0
		.amdhsa_shared_vgpr_count 0
		.amdhsa_exception_fp_ieee_invalid_op 0
		.amdhsa_exception_fp_denorm_src 0
		.amdhsa_exception_fp_ieee_div_zero 0
		.amdhsa_exception_fp_ieee_overflow 0
		.amdhsa_exception_fp_ieee_underflow 0
		.amdhsa_exception_fp_ieee_inexact 0
		.amdhsa_exception_int_div_zero 0
	.end_amdhsa_kernel
	.section	.text._ZN9rocsparseL20bsrxmvn_17_32_kernelILj30EfllaafEEvT2_20rocsparse_direction_NS_24const_host_device_scalarIT0_EES1_PKS1_PKT1_SA_S7_PKT3_PKT4_S5_PT5_21rocsparse_index_base_b,"axG",@progbits,_ZN9rocsparseL20bsrxmvn_17_32_kernelILj30EfllaafEEvT2_20rocsparse_direction_NS_24const_host_device_scalarIT0_EES1_PKS1_PKT1_SA_S7_PKT3_PKT4_S5_PT5_21rocsparse_index_base_b,comdat
.Lfunc_end285:
	.size	_ZN9rocsparseL20bsrxmvn_17_32_kernelILj30EfllaafEEvT2_20rocsparse_direction_NS_24const_host_device_scalarIT0_EES1_PKS1_PKT1_SA_S7_PKT3_PKT4_S5_PT5_21rocsparse_index_base_b, .Lfunc_end285-_ZN9rocsparseL20bsrxmvn_17_32_kernelILj30EfllaafEEvT2_20rocsparse_direction_NS_24const_host_device_scalarIT0_EES1_PKS1_PKT1_SA_S7_PKT3_PKT4_S5_PT5_21rocsparse_index_base_b
                                        ; -- End function
	.section	.AMDGPU.csdata,"",@progbits
; Kernel info:
; codeLenInByte = 1612
; NumSgprs: 26
; NumVgprs: 15
; ScratchSize: 0
; MemoryBound: 0
; FloatMode: 240
; IeeeMode: 1
; LDSByteSize: 3600 bytes/workgroup (compile time only)
; SGPRBlocks: 3
; VGPRBlocks: 1
; NumSGPRsForWavesPerEU: 26
; NumVGPRsForWavesPerEU: 15
; Occupancy: 15
; WaveLimiterHint : 1
; COMPUTE_PGM_RSRC2:SCRATCH_EN: 0
; COMPUTE_PGM_RSRC2:USER_SGPR: 15
; COMPUTE_PGM_RSRC2:TRAP_HANDLER: 0
; COMPUTE_PGM_RSRC2:TGID_X_EN: 1
; COMPUTE_PGM_RSRC2:TGID_Y_EN: 0
; COMPUTE_PGM_RSRC2:TGID_Z_EN: 0
; COMPUTE_PGM_RSRC2:TIDIG_COMP_CNT: 0
	.section	.text._ZN9rocsparseL20bsrxmvn_17_32_kernelILj31EfllaafEEvT2_20rocsparse_direction_NS_24const_host_device_scalarIT0_EES1_PKS1_PKT1_SA_S7_PKT3_PKT4_S5_PT5_21rocsparse_index_base_b,"axG",@progbits,_ZN9rocsparseL20bsrxmvn_17_32_kernelILj31EfllaafEEvT2_20rocsparse_direction_NS_24const_host_device_scalarIT0_EES1_PKS1_PKT1_SA_S7_PKT3_PKT4_S5_PT5_21rocsparse_index_base_b,comdat
	.globl	_ZN9rocsparseL20bsrxmvn_17_32_kernelILj31EfllaafEEvT2_20rocsparse_direction_NS_24const_host_device_scalarIT0_EES1_PKS1_PKT1_SA_S7_PKT3_PKT4_S5_PT5_21rocsparse_index_base_b ; -- Begin function _ZN9rocsparseL20bsrxmvn_17_32_kernelILj31EfllaafEEvT2_20rocsparse_direction_NS_24const_host_device_scalarIT0_EES1_PKS1_PKT1_SA_S7_PKT3_PKT4_S5_PT5_21rocsparse_index_base_b
	.p2align	8
	.type	_ZN9rocsparseL20bsrxmvn_17_32_kernelILj31EfllaafEEvT2_20rocsparse_direction_NS_24const_host_device_scalarIT0_EES1_PKS1_PKT1_SA_S7_PKT3_PKT4_S5_PT5_21rocsparse_index_base_b,@function
_ZN9rocsparseL20bsrxmvn_17_32_kernelILj31EfllaafEEvT2_20rocsparse_direction_NS_24const_host_device_scalarIT0_EES1_PKS1_PKT1_SA_S7_PKT3_PKT4_S5_PT5_21rocsparse_index_base_b: ; @_ZN9rocsparseL20bsrxmvn_17_32_kernelILj31EfllaafEEvT2_20rocsparse_direction_NS_24const_host_device_scalarIT0_EES1_PKS1_PKT1_SA_S7_PKT3_PKT4_S5_PT5_21rocsparse_index_base_b
; %bb.0:
	s_mov_b32 s10, s15
	s_clause 0x2
	s_load_b64 s[14:15], s[0:1], 0x60
	s_load_b64 s[12:13], s[0:1], 0x10
	;; [unrolled: 1-line block ×3, first 2 shown]
	s_waitcnt lgkmcnt(0)
	s_bitcmp1_b32 s15, 0
	s_cselect_b32 s2, -1, 0
	s_delay_alu instid0(SALU_CYCLE_1)
	s_and_b32 vcc_lo, exec_lo, s2
	s_xor_b32 s2, s2, -1
	s_cbranch_vccnz .LBB286_2
; %bb.1:
	s_load_b32 s12, s[12:13], 0x0
.LBB286_2:
	s_and_not1_b32 vcc_lo, exec_lo, s2
	s_cbranch_vccnz .LBB286_4
; %bb.3:
	s_load_b32 s8, s[8:9], 0x0
.LBB286_4:
	s_waitcnt lgkmcnt(0)
	v_cmp_neq_f32_e64 s2, s12, 0
	v_cmp_neq_f32_e64 s3, s8, 1.0
	s_mov_b32 s11, 0
	s_delay_alu instid0(VALU_DEP_1) | instskip(NEXT) | instid1(SALU_CYCLE_1)
	s_or_b32 s2, s2, s3
	s_and_not1_b32 vcc_lo, exec_lo, s2
	s_cbranch_vccnz .LBB286_42
; %bb.5:
	s_clause 0x1
	s_load_b128 s[4:7], s[0:1], 0x20
	s_load_b64 s[16:17], s[0:1], 0x30
	s_waitcnt lgkmcnt(0)
	s_cmp_eq_u64 s[4:5], 0
	s_cbranch_scc1 .LBB286_7
; %bb.6:
	s_lshl_b64 s[2:3], s[10:11], 3
	s_delay_alu instid0(SALU_CYCLE_1)
	s_add_u32 s2, s4, s2
	s_addc_u32 s3, s5, s3
	s_load_b64 s[2:3], s[2:3], 0x0
	s_waitcnt lgkmcnt(0)
	s_sub_u32 s10, s2, s14
	s_subb_u32 s11, s3, 0
.LBB286_7:
	s_load_b32 s3, s[0:1], 0x8
	v_mul_u32_u24_e32 v1, 0x843, v0
	v_mov_b32_e32 v7, 0
	s_delay_alu instid0(VALU_DEP_2) | instskip(NEXT) | instid1(VALU_DEP_1)
	v_lshrrev_b32_e32 v1, 16, v1
	v_mul_lo_u16 v2, v1, 31
	s_delay_alu instid0(VALU_DEP_1)
	v_sub_nc_u16 v8, v0, v2
	s_waitcnt lgkmcnt(0)
	s_cmp_eq_u32 s3, 1
	s_cselect_b32 s2, -1, 0
	s_cmp_lg_u32 s3, 1
	s_cselect_b32 s3, -1, 0
	s_lshl_b64 s[4:5], s[10:11], 3
	s_delay_alu instid0(SALU_CYCLE_1)
	s_add_u32 s6, s6, s4
	s_addc_u32 s7, s7, s5
	s_add_u32 s9, s6, 8
	s_addc_u32 s13, s7, 0
	;; [unrolled: 2-line block ×3, first 2 shown]
	s_cmp_eq_u64 s[16:17], 0
	s_cselect_b32 s5, s13, s5
	s_cselect_b32 s4, s9, s4
	s_load_b64 s[16:17], s[6:7], 0x0
	s_load_b64 s[6:7], s[4:5], 0x0
	s_load_b64 s[4:5], s[0:1], 0x58
	s_waitcnt lgkmcnt(0)
	v_cmp_ge_i64_e64 s9, s[16:17], s[6:7]
	s_delay_alu instid0(VALU_DEP_1)
	s_and_b32 vcc_lo, exec_lo, s9
	s_cbranch_vccnz .LBB286_12
; %bb.8:
	s_clause 0x1
	s_load_b64 s[18:19], s[0:1], 0x48
	s_load_b128 s[20:23], s[0:1], 0x38
	v_and_b32_e32 v1, 0xffff, v1
	v_cmp_gt_u32_e32 vcc_lo, 0x3c1, v0
	v_and_b32_e32 v3, 0xffff, v8
	s_sub_u32 s0, s6, s14
	s_subb_u32 s1, s7, 0
	v_subrev_nc_u32_e32 v2, 31, v1
	s_sub_u32 s6, s16, s14
	s_subb_u32 s7, s17, 0
	s_mul_i32 s13, s6, 0x3c1
	v_mov_b32_e32 v7, 0
	v_cndmask_b32_e32 v1, v2, v1, vcc_lo
	v_cmp_lt_u32_e32 vcc_lo, 0x3c0, v0
	s_delay_alu instid0(VALU_DEP_2) | instskip(SKIP_3) | instid1(VALU_DEP_2)
	v_cndmask_b32_e64 v1, v3, v1, s2
	v_cndmask_b32_e64 v9, 0, 1, vcc_lo
	s_mul_i32 s2, s7, 0x3c1
	s_waitcnt lgkmcnt(0)
	v_add_co_u32 v1, s9, s18, v1
	s_delay_alu instid0(VALU_DEP_1) | instskip(SKIP_1) | instid1(VALU_DEP_1)
	v_add_co_ci_u32_e64 v2, null, s19, 0, s9
	v_add_co_u32 v3, s9, s16, v9
	v_add_co_ci_u32_e64 v4, null, s17, 0, s9
	s_mul_hi_u32 s9, s6, 0x3c1
	s_delay_alu instid0(VALU_DEP_2) | instskip(NEXT) | instid1(VALU_DEP_2)
	v_sub_co_u32 v3, vcc_lo, v3, s14
	v_subrev_co_ci_u32_e32 v4, vcc_lo, 0, v4, vcc_lo
	s_add_i32 s9, s9, s2
	s_add_u32 s2, s22, s13
	s_addc_u32 s9, s23, s9
	s_delay_alu instid0(VALU_DEP_1) | instskip(SKIP_1) | instid1(VALU_DEP_1)
	v_lshlrev_b64 v[5:6], 3, v[3:4]
	v_add_co_u32 v3, s2, s2, v0
	v_add_co_ci_u32_e64 v4, null, s9, 0, s2
	s_delay_alu instid0(VALU_DEP_3) | instskip(NEXT) | instid1(VALU_DEP_4)
	v_add_co_u32 v5, vcc_lo, s20, v5
	v_add_co_ci_u32_e32 v6, vcc_lo, s21, v6, vcc_lo
	s_set_inst_prefetch_distance 0x1
	s_branch .LBB286_10
	.p2align	6
.LBB286_9:                              ;   in Loop: Header=BB286_10 Depth=1
	s_or_b32 exec_lo, exec_lo, s2
	s_add_u32 s6, s6, 1
	s_addc_u32 s7, s7, 0
	v_add_co_u32 v5, vcc_lo, v5, 8
	v_cmp_lt_i64_e64 s2, s[6:7], s[0:1]
	v_add_co_ci_u32_e32 v6, vcc_lo, 0, v6, vcc_lo
	s_delay_alu instid0(VALU_DEP_2)
	s_and_b32 vcc_lo, exec_lo, s2
	s_cbranch_vccz .LBB286_12
.LBB286_10:                             ; =>This Inner Loop Header: Depth=1
	v_add_co_u32 v10, s2, v9, s6
	s_delay_alu instid0(VALU_DEP_1) | instskip(SKIP_1) | instid1(VALU_DEP_1)
	v_add_co_ci_u32_e64 v11, null, 0, s7, s2
	s_mov_b32 s2, exec_lo
	v_cmpx_gt_i64_e64 s[0:1], v[10:11]
	s_cbranch_execz .LBB286_9
; %bb.11:                               ;   in Loop: Header=BB286_10 Depth=1
	global_load_b64 v[10:11], v[5:6], off
	s_waitcnt vmcnt(0)
	v_sub_co_u32 v12, vcc_lo, v10, s14
	v_subrev_co_ci_u32_e32 v14, vcc_lo, 0, v11, vcc_lo
	s_delay_alu instid0(VALU_DEP_2) | instskip(NEXT) | instid1(VALU_DEP_1)
	v_mad_u64_u32 v[10:11], null, v12, 31, v[1:2]
	v_mad_u64_u32 v[12:13], null, v14, 31, v[11:12]
	s_delay_alu instid0(VALU_DEP_1)
	v_mov_b32_e32 v11, v12
	global_load_i8 v12, v[3:4], off
	global_load_i8 v10, v[10:11], off
	v_add_co_u32 v3, vcc_lo, 0x3c1, v3
	v_add_co_ci_u32_e32 v4, vcc_lo, 0, v4, vcc_lo
	s_waitcnt vmcnt(1)
	v_cvt_f32_i32_e32 v11, v12
	s_waitcnt vmcnt(0)
	v_cvt_f32_i32_e32 v10, v10
	s_delay_alu instid0(VALU_DEP_1)
	v_fmac_f32_e32 v7, v11, v10
	s_branch .LBB286_9
.LBB286_12:
	s_set_inst_prefetch_distance 0x2
	v_lshlrev_b32_e32 v1, 2, v0
	s_and_b32 vcc_lo, exec_lo, s3
	ds_store_b32 v1, v7
	s_waitcnt lgkmcnt(0)
	s_barrier
	buffer_gl0_inv
	s_cbranch_vccz .LBB286_24
; %bb.13:
	s_mov_b32 s0, exec_lo
	v_cmpx_gt_u16_e32 15, v8
	s_cbranch_execz .LBB286_15
; %bb.14:
	ds_load_2addr_b32 v[2:3], v1 offset1:16
	s_waitcnt lgkmcnt(0)
	v_add_f32_e32 v2, v3, v2
	ds_store_b32 v1, v2
.LBB286_15:
	s_or_b32 exec_lo, exec_lo, s0
	s_delay_alu instid0(SALU_CYCLE_1)
	s_mov_b32 s0, exec_lo
	s_waitcnt lgkmcnt(0)
	s_barrier
	buffer_gl0_inv
	v_cmpx_gt_u16_e32 8, v8
	s_cbranch_execz .LBB286_17
; %bb.16:
	ds_load_2addr_b32 v[2:3], v1 offset1:8
	s_waitcnt lgkmcnt(0)
	v_add_f32_e32 v2, v3, v2
	ds_store_b32 v1, v2
.LBB286_17:
	s_or_b32 exec_lo, exec_lo, s0
	s_delay_alu instid0(SALU_CYCLE_1)
	s_mov_b32 s0, exec_lo
	s_waitcnt lgkmcnt(0)
	s_barrier
	buffer_gl0_inv
	;; [unrolled: 14-line block ×3, first 2 shown]
	v_cmpx_gt_u16_e32 2, v8
	s_cbranch_execz .LBB286_21
; %bb.20:
	ds_load_2addr_b32 v[2:3], v1 offset1:2
	s_waitcnt lgkmcnt(0)
	v_add_f32_e32 v2, v3, v2
	ds_store_b32 v1, v2
.LBB286_21:
	s_or_b32 exec_lo, exec_lo, s0
	s_mov_b32 s1, 0
	s_mov_b32 s0, 0
	s_mov_b32 s2, exec_lo
	s_waitcnt lgkmcnt(0)
	s_barrier
	buffer_gl0_inv
                                        ; implicit-def: $vgpr2
                                        ; implicit-def: $vgpr3
	v_cmpx_gt_u32_e32 31, v0
	s_xor_b32 s2, exec_lo, s2
; %bb.22:
	v_mad_u32_u24 v2, v0, 31, 1
	v_mad_u32_u24 v3, 0x78, v0, v1
	s_mov_b32 s0, exec_lo
; %bb.23:
	s_or_b32 exec_lo, exec_lo, s2
	s_delay_alu instid0(SALU_CYCLE_1)
	s_and_b32 vcc_lo, exec_lo, s1
	s_cbranch_vccnz .LBB286_25
	s_branch .LBB286_36
.LBB286_24:
	s_mov_b32 s0, 0
                                        ; implicit-def: $vgpr2
                                        ; implicit-def: $vgpr3
	s_cbranch_execz .LBB286_36
.LBB286_25:
	s_mov_b32 s1, exec_lo
	v_cmpx_gt_u32_e32 0x1d1, v0
	s_cbranch_execz .LBB286_27
; %bb.26:
	ds_load_b32 v2, v1 offset:1984
	ds_load_b32 v3, v1
	s_waitcnt lgkmcnt(0)
	v_add_f32_e32 v2, v2, v3
	ds_store_b32 v1, v2
.LBB286_27:
	s_or_b32 exec_lo, exec_lo, s1
	s_delay_alu instid0(SALU_CYCLE_1)
	s_mov_b32 s1, exec_lo
	s_waitcnt lgkmcnt(0)
	s_barrier
	buffer_gl0_inv
	v_cmpx_gt_u32_e32 0xf8, v0
	s_cbranch_execz .LBB286_29
; %bb.28:
	ds_load_2addr_b32 v[2:3], v1 offset1:248
	s_waitcnt lgkmcnt(0)
	v_add_f32_e32 v2, v3, v2
	ds_store_b32 v1, v2
.LBB286_29:
	s_or_b32 exec_lo, exec_lo, s1
	s_delay_alu instid0(SALU_CYCLE_1)
	s_mov_b32 s1, exec_lo
	s_waitcnt lgkmcnt(0)
	s_barrier
	buffer_gl0_inv
	v_cmpx_gt_u32_e32 0x7c, v0
	s_cbranch_execz .LBB286_31
; %bb.30:
	ds_load_2addr_b32 v[2:3], v1 offset1:124
	s_waitcnt lgkmcnt(0)
	v_add_f32_e32 v2, v3, v2
	ds_store_b32 v1, v2
.LBB286_31:
	;; [unrolled: 14-line block ×3, first 2 shown]
	s_or_b32 exec_lo, exec_lo, s1
	s_delay_alu instid0(SALU_CYCLE_1)
	s_mov_b32 s1, exec_lo
	s_waitcnt lgkmcnt(0)
	buffer_gl0_inv
                                        ; implicit-def: $vgpr2
	v_cmpx_gt_u32_e32 31, v0
; %bb.34:
	v_add_nc_u32_e32 v2, 31, v0
	s_or_b32 s0, s0, exec_lo
                                        ; implicit-def: $vgpr7
; %bb.35:
	s_or_b32 exec_lo, exec_lo, s1
	v_mov_b32_e32 v3, v1
.LBB286_36:
	s_and_saveexec_b32 s1, s0
	s_cbranch_execz .LBB286_38
; %bb.37:
	v_lshlrev_b32_e32 v1, 2, v2
	ds_load_b32 v2, v3
	ds_load_b32 v1, v1
	s_waitcnt lgkmcnt(0)
	v_add_f32_e32 v7, v2, v1
.LBB286_38:
	s_or_b32 exec_lo, exec_lo, s1
	s_delay_alu instid0(SALU_CYCLE_1)
	s_mov_b32 s0, exec_lo
	v_cmpx_gt_u32_e32 31, v0
	s_cbranch_execz .LBB286_42
; %bb.39:
	v_cmp_eq_f32_e64 s1, s8, 0
	v_mul_f32_e32 v1, s12, v7
	s_mov_b32 s3, 0
	s_mul_i32 s0, s11, 0x7c
	s_mul_i32 s2, s10, 0x7c
	s_and_b32 vcc_lo, exec_lo, s1
	s_mul_hi_u32 s1, s10, 0x7c
	s_cbranch_vccz .LBB286_43
; %bb.40:
	v_lshlrev_b32_e32 v2, 2, v0
	s_add_i32 s7, s1, s0
	s_add_u32 s6, s4, s2
	s_addc_u32 s7, s5, s7
	global_store_b32 v2, v1, s[6:7]
	s_and_not1_b32 vcc_lo, exec_lo, s3
	s_cbranch_vccnz .LBB286_42
.LBB286_41:
	v_lshlrev_b32_e32 v0, 2, v0
	s_add_i32 s1, s1, s0
	s_add_u32 s0, s4, s2
	s_addc_u32 s1, s5, s1
	global_load_b32 v2, v0, s[0:1]
	s_waitcnt vmcnt(0)
	v_fmac_f32_e32 v1, s8, v2
	global_store_b32 v0, v1, s[0:1]
.LBB286_42:
	s_nop 0
	s_sendmsg sendmsg(MSG_DEALLOC_VGPRS)
	s_endpgm
.LBB286_43:
	s_branch .LBB286_41
	.section	.rodata,"a",@progbits
	.p2align	6, 0x0
	.amdhsa_kernel _ZN9rocsparseL20bsrxmvn_17_32_kernelILj31EfllaafEEvT2_20rocsparse_direction_NS_24const_host_device_scalarIT0_EES1_PKS1_PKT1_SA_S7_PKT3_PKT4_S5_PT5_21rocsparse_index_base_b
		.amdhsa_group_segment_fixed_size 3844
		.amdhsa_private_segment_fixed_size 0
		.amdhsa_kernarg_size 104
		.amdhsa_user_sgpr_count 15
		.amdhsa_user_sgpr_dispatch_ptr 0
		.amdhsa_user_sgpr_queue_ptr 0
		.amdhsa_user_sgpr_kernarg_segment_ptr 1
		.amdhsa_user_sgpr_dispatch_id 0
		.amdhsa_user_sgpr_private_segment_size 0
		.amdhsa_wavefront_size32 1
		.amdhsa_uses_dynamic_stack 0
		.amdhsa_enable_private_segment 0
		.amdhsa_system_sgpr_workgroup_id_x 1
		.amdhsa_system_sgpr_workgroup_id_y 0
		.amdhsa_system_sgpr_workgroup_id_z 0
		.amdhsa_system_sgpr_workgroup_info 0
		.amdhsa_system_vgpr_workitem_id 0
		.amdhsa_next_free_vgpr 15
		.amdhsa_next_free_sgpr 24
		.amdhsa_reserve_vcc 1
		.amdhsa_float_round_mode_32 0
		.amdhsa_float_round_mode_16_64 0
		.amdhsa_float_denorm_mode_32 3
		.amdhsa_float_denorm_mode_16_64 3
		.amdhsa_dx10_clamp 1
		.amdhsa_ieee_mode 1
		.amdhsa_fp16_overflow 0
		.amdhsa_workgroup_processor_mode 1
		.amdhsa_memory_ordered 1
		.amdhsa_forward_progress 0
		.amdhsa_shared_vgpr_count 0
		.amdhsa_exception_fp_ieee_invalid_op 0
		.amdhsa_exception_fp_denorm_src 0
		.amdhsa_exception_fp_ieee_div_zero 0
		.amdhsa_exception_fp_ieee_overflow 0
		.amdhsa_exception_fp_ieee_underflow 0
		.amdhsa_exception_fp_ieee_inexact 0
		.amdhsa_exception_int_div_zero 0
	.end_amdhsa_kernel
	.section	.text._ZN9rocsparseL20bsrxmvn_17_32_kernelILj31EfllaafEEvT2_20rocsparse_direction_NS_24const_host_device_scalarIT0_EES1_PKS1_PKT1_SA_S7_PKT3_PKT4_S5_PT5_21rocsparse_index_base_b,"axG",@progbits,_ZN9rocsparseL20bsrxmvn_17_32_kernelILj31EfllaafEEvT2_20rocsparse_direction_NS_24const_host_device_scalarIT0_EES1_PKS1_PKT1_SA_S7_PKT3_PKT4_S5_PT5_21rocsparse_index_base_b,comdat
.Lfunc_end286:
	.size	_ZN9rocsparseL20bsrxmvn_17_32_kernelILj31EfllaafEEvT2_20rocsparse_direction_NS_24const_host_device_scalarIT0_EES1_PKS1_PKT1_SA_S7_PKT3_PKT4_S5_PT5_21rocsparse_index_base_b, .Lfunc_end286-_ZN9rocsparseL20bsrxmvn_17_32_kernelILj31EfllaafEEvT2_20rocsparse_direction_NS_24const_host_device_scalarIT0_EES1_PKS1_PKT1_SA_S7_PKT3_PKT4_S5_PT5_21rocsparse_index_base_b
                                        ; -- End function
	.section	.AMDGPU.csdata,"",@progbits
; Kernel info:
; codeLenInByte = 1608
; NumSgprs: 26
; NumVgprs: 15
; ScratchSize: 0
; MemoryBound: 0
; FloatMode: 240
; IeeeMode: 1
; LDSByteSize: 3844 bytes/workgroup (compile time only)
; SGPRBlocks: 3
; VGPRBlocks: 1
; NumSGPRsForWavesPerEU: 26
; NumVGPRsForWavesPerEU: 15
; Occupancy: 16
; WaveLimiterHint : 1
; COMPUTE_PGM_RSRC2:SCRATCH_EN: 0
; COMPUTE_PGM_RSRC2:USER_SGPR: 15
; COMPUTE_PGM_RSRC2:TRAP_HANDLER: 0
; COMPUTE_PGM_RSRC2:TGID_X_EN: 1
; COMPUTE_PGM_RSRC2:TGID_Y_EN: 0
; COMPUTE_PGM_RSRC2:TGID_Z_EN: 0
; COMPUTE_PGM_RSRC2:TIDIG_COMP_CNT: 0
	.section	.text._ZN9rocsparseL20bsrxmvn_17_32_kernelILj32EfllaafEEvT2_20rocsparse_direction_NS_24const_host_device_scalarIT0_EES1_PKS1_PKT1_SA_S7_PKT3_PKT4_S5_PT5_21rocsparse_index_base_b,"axG",@progbits,_ZN9rocsparseL20bsrxmvn_17_32_kernelILj32EfllaafEEvT2_20rocsparse_direction_NS_24const_host_device_scalarIT0_EES1_PKS1_PKT1_SA_S7_PKT3_PKT4_S5_PT5_21rocsparse_index_base_b,comdat
	.globl	_ZN9rocsparseL20bsrxmvn_17_32_kernelILj32EfllaafEEvT2_20rocsparse_direction_NS_24const_host_device_scalarIT0_EES1_PKS1_PKT1_SA_S7_PKT3_PKT4_S5_PT5_21rocsparse_index_base_b ; -- Begin function _ZN9rocsparseL20bsrxmvn_17_32_kernelILj32EfllaafEEvT2_20rocsparse_direction_NS_24const_host_device_scalarIT0_EES1_PKS1_PKT1_SA_S7_PKT3_PKT4_S5_PT5_21rocsparse_index_base_b
	.p2align	8
	.type	_ZN9rocsparseL20bsrxmvn_17_32_kernelILj32EfllaafEEvT2_20rocsparse_direction_NS_24const_host_device_scalarIT0_EES1_PKS1_PKT1_SA_S7_PKT3_PKT4_S5_PT5_21rocsparse_index_base_b,@function
_ZN9rocsparseL20bsrxmvn_17_32_kernelILj32EfllaafEEvT2_20rocsparse_direction_NS_24const_host_device_scalarIT0_EES1_PKS1_PKT1_SA_S7_PKT3_PKT4_S5_PT5_21rocsparse_index_base_b: ; @_ZN9rocsparseL20bsrxmvn_17_32_kernelILj32EfllaafEEvT2_20rocsparse_direction_NS_24const_host_device_scalarIT0_EES1_PKS1_PKT1_SA_S7_PKT3_PKT4_S5_PT5_21rocsparse_index_base_b
; %bb.0:
	s_mov_b32 s10, s15
	s_clause 0x2
	s_load_b64 s[14:15], s[0:1], 0x60
	s_load_b64 s[12:13], s[0:1], 0x10
	;; [unrolled: 1-line block ×3, first 2 shown]
	s_waitcnt lgkmcnt(0)
	s_bitcmp1_b32 s15, 0
	s_cselect_b32 s2, -1, 0
	s_delay_alu instid0(SALU_CYCLE_1)
	s_and_b32 vcc_lo, exec_lo, s2
	s_xor_b32 s2, s2, -1
	s_cbranch_vccnz .LBB287_2
; %bb.1:
	s_load_b32 s12, s[12:13], 0x0
.LBB287_2:
	s_and_not1_b32 vcc_lo, exec_lo, s2
	s_cbranch_vccnz .LBB287_4
; %bb.3:
	s_load_b32 s8, s[8:9], 0x0
.LBB287_4:
	s_waitcnt lgkmcnt(0)
	v_cmp_neq_f32_e64 s2, s12, 0
	v_cmp_neq_f32_e64 s3, s8, 1.0
	s_mov_b32 s11, 0
	s_delay_alu instid0(VALU_DEP_1) | instskip(NEXT) | instid1(SALU_CYCLE_1)
	s_or_b32 s2, s2, s3
	s_and_not1_b32 vcc_lo, exec_lo, s2
	s_cbranch_vccnz .LBB287_40
; %bb.5:
	s_clause 0x1
	s_load_b128 s[4:7], s[0:1], 0x20
	s_load_b64 s[16:17], s[0:1], 0x30
	s_mov_b32 s15, s11
	s_waitcnt lgkmcnt(0)
	s_cmp_eq_u64 s[4:5], 0
	s_cbranch_scc1 .LBB287_7
; %bb.6:
	s_lshl_b64 s[2:3], s[10:11], 3
	s_delay_alu instid0(SALU_CYCLE_1)
	s_add_u32 s2, s4, s2
	s_addc_u32 s3, s5, s3
	s_load_b64 s[2:3], s[2:3], 0x0
	s_waitcnt lgkmcnt(0)
	s_sub_u32 s10, s2, s14
	s_subb_u32 s11, s3, 0
.LBB287_7:
	s_load_b32 s3, s[0:1], 0x8
	v_dual_mov_b32 v3, 0 :: v_dual_and_b32 v4, 31, v0
	s_waitcnt lgkmcnt(0)
	s_cmp_eq_u32 s3, 1
	s_cselect_b32 s2, -1, 0
	s_cmp_lg_u32 s3, 1
	s_cselect_b32 s9, -1, 0
	s_lshl_b64 s[4:5], s[10:11], 3
	s_delay_alu instid0(SALU_CYCLE_1)
	s_add_u32 s6, s6, s4
	s_addc_u32 s7, s7, s5
	s_add_u32 s3, s6, 8
	s_addc_u32 s13, s7, 0
	;; [unrolled: 2-line block ×3, first 2 shown]
	s_cmp_eq_u64 s[16:17], 0
	s_cselect_b32 s5, s13, s5
	s_cselect_b32 s4, s3, s4
	s_load_b64 s[16:17], s[6:7], 0x0
	s_load_b64 s[6:7], s[4:5], 0x0
	;; [unrolled: 1-line block ×3, first 2 shown]
	s_waitcnt lgkmcnt(0)
	v_cmp_ge_i64_e64 s3, s[16:17], s[6:7]
	s_delay_alu instid0(VALU_DEP_1)
	s_and_b32 vcc_lo, exec_lo, s3
	s_cbranch_vccnz .LBB287_10
; %bb.8:
	s_clause 0x1
	s_load_b64 s[18:19], s[0:1], 0x48
	s_load_b128 s[20:23], s[0:1], 0x38
	v_lshrrev_b32_e32 v1, 5, v0
	s_sub_u32 s0, s6, s14
	s_subb_u32 s1, s7, 0
	s_sub_u32 s6, s16, s14
	s_subb_u32 s7, s17, 0
	v_cndmask_b32_e64 v1, v4, v1, s2
	s_lshl_b64 s[2:3], s[6:7], 10
	s_lshl_b64 s[16:17], s[16:17], 3
	v_or_b32_e32 v2, s2, v0
	v_mov_b32_e32 v7, s3
	s_lshl_b64 s[24:25], s[14:15], 3
	v_mov_b32_e32 v3, 0
	s_waitcnt lgkmcnt(0)
	v_add_co_u32 v5, s2, s18, v1
	v_add_co_u32 v1, vcc_lo, s22, v2
	v_add_co_ci_u32_e64 v6, null, s19, 0, s2
	v_add_co_ci_u32_e32 v2, vcc_lo, s23, v7, vcc_lo
	s_sub_u32 s2, s16, s24
	s_subb_u32 s3, s17, s25
	s_add_u32 s2, s20, s2
	s_addc_u32 s3, s21, s3
	.p2align	6
.LBB287_9:                              ; =>This Inner Loop Header: Depth=1
	s_load_b64 s[16:17], s[2:3], 0x0
	s_waitcnt lgkmcnt(0)
	s_sub_u32 s16, s16, s14
	s_subb_u32 s17, s17, 0
	s_delay_alu instid0(SALU_CYCLE_1)
	s_lshl_b64 s[16:17], s[16:17], 5
	s_add_u32 s6, s6, 1
	v_add_co_u32 v7, vcc_lo, v5, s16
	v_add_co_ci_u32_e32 v8, vcc_lo, s17, v6, vcc_lo
	s_addc_u32 s7, s7, 0
	s_add_u32 s2, s2, 8
	global_load_i8 v9, v[1:2], off
	global_load_i8 v7, v[7:8], off
	v_cmp_lt_i64_e64 s13, s[6:7], s[0:1]
	v_add_co_u32 v1, vcc_lo, 0x400, v1
	v_add_co_ci_u32_e32 v2, vcc_lo, 0, v2, vcc_lo
	s_addc_u32 s3, s3, 0
	s_delay_alu instid0(VALU_DEP_3) | instskip(SKIP_4) | instid1(VALU_DEP_1)
	s_and_b32 vcc_lo, exec_lo, s13
	s_waitcnt vmcnt(1)
	v_cvt_f32_i32_e32 v8, v9
	s_waitcnt vmcnt(0)
	v_cvt_f32_i32_e32 v7, v7
	v_fmac_f32_e32 v3, v8, v7
	s_cbranch_vccnz .LBB287_9
.LBB287_10:
	v_lshlrev_b32_e32 v1, 2, v0
	s_and_b32 vcc_lo, exec_lo, s9
	ds_store_b32 v1, v3
	s_waitcnt lgkmcnt(0)
	s_barrier
	buffer_gl0_inv
	s_cbranch_vccz .LBB287_22
; %bb.11:
	s_mov_b32 s0, exec_lo
	v_cmpx_gt_u32_e32 16, v4
	s_cbranch_execz .LBB287_13
; %bb.12:
	ds_load_2addr_b32 v[5:6], v1 offset1:16
	s_waitcnt lgkmcnt(0)
	v_add_f32_e32 v2, v6, v5
	ds_store_b32 v1, v2
.LBB287_13:
	s_or_b32 exec_lo, exec_lo, s0
	s_delay_alu instid0(SALU_CYCLE_1)
	s_mov_b32 s0, exec_lo
	s_waitcnt lgkmcnt(0)
	s_barrier
	buffer_gl0_inv
	v_cmpx_gt_u32_e32 8, v4
	s_cbranch_execz .LBB287_15
; %bb.14:
	ds_load_2addr_b32 v[5:6], v1 offset1:8
	s_waitcnt lgkmcnt(0)
	v_add_f32_e32 v2, v6, v5
	ds_store_b32 v1, v2
.LBB287_15:
	s_or_b32 exec_lo, exec_lo, s0
	s_delay_alu instid0(SALU_CYCLE_1)
	s_mov_b32 s0, exec_lo
	s_waitcnt lgkmcnt(0)
	s_barrier
	buffer_gl0_inv
	;; [unrolled: 14-line block ×3, first 2 shown]
	v_cmpx_gt_u32_e32 2, v4
	s_cbranch_execz .LBB287_19
; %bb.18:
	ds_load_2addr_b32 v[4:5], v1 offset1:2
	s_waitcnt lgkmcnt(0)
	v_add_f32_e32 v2, v5, v4
	ds_store_b32 v1, v2
.LBB287_19:
	s_or_b32 exec_lo, exec_lo, s0
	s_mov_b32 s1, 0
	s_mov_b32 s0, 0
	s_mov_b32 s2, exec_lo
	s_waitcnt lgkmcnt(0)
	s_barrier
	buffer_gl0_inv
                                        ; implicit-def: $vgpr2
                                        ; implicit-def: $vgpr4
	v_cmpx_gt_u32_e32 32, v0
	s_xor_b32 s2, exec_lo, s2
; %bb.20:
	v_lshl_or_b32 v2, v0, 5, 1
	v_mad_u32_u24 v4, 0x7c, v0, v1
	s_mov_b32 s0, exec_lo
; %bb.21:
	s_or_b32 exec_lo, exec_lo, s2
	s_delay_alu instid0(SALU_CYCLE_1)
	s_and_b32 vcc_lo, exec_lo, s1
	s_cbranch_vccnz .LBB287_23
	s_branch .LBB287_34
.LBB287_22:
	s_mov_b32 s0, 0
                                        ; implicit-def: $vgpr2
                                        ; implicit-def: $vgpr4
	s_cbranch_execz .LBB287_34
.LBB287_23:
	s_mov_b32 s1, exec_lo
	v_cmpx_gt_u32_e32 0x200, v0
	s_cbranch_execz .LBB287_25
; %bb.24:
	ds_load_2addr_stride64_b32 v[4:5], v1 offset1:8
	s_waitcnt lgkmcnt(0)
	v_add_f32_e32 v2, v5, v4
	ds_store_b32 v1, v2
.LBB287_25:
	s_or_b32 exec_lo, exec_lo, s1
	s_delay_alu instid0(SALU_CYCLE_1)
	s_mov_b32 s1, exec_lo
	s_waitcnt lgkmcnt(0)
	s_barrier
	buffer_gl0_inv
	v_cmpx_gt_u32_e32 0x100, v0
	s_cbranch_execz .LBB287_27
; %bb.26:
	ds_load_2addr_stride64_b32 v[4:5], v1 offset1:4
	s_waitcnt lgkmcnt(0)
	v_add_f32_e32 v2, v5, v4
	ds_store_b32 v1, v2
.LBB287_27:
	s_or_b32 exec_lo, exec_lo, s1
	s_delay_alu instid0(SALU_CYCLE_1)
	s_mov_b32 s1, exec_lo
	s_waitcnt lgkmcnt(0)
	s_barrier
	buffer_gl0_inv
	;; [unrolled: 14-line block ×3, first 2 shown]
	v_cmpx_gt_u32_e32 64, v0
	s_cbranch_execz .LBB287_31
; %bb.30:
	ds_load_2addr_stride64_b32 v[4:5], v1 offset1:1
	s_waitcnt lgkmcnt(0)
	v_add_f32_e32 v2, v5, v4
	ds_store_b32 v1, v2
.LBB287_31:
	s_or_b32 exec_lo, exec_lo, s1
	s_delay_alu instid0(SALU_CYCLE_1)
	s_mov_b32 s1, exec_lo
	s_waitcnt lgkmcnt(0)
	buffer_gl0_inv
                                        ; implicit-def: $vgpr2
	v_cmpx_gt_u32_e32 32, v0
; %bb.32:
	v_or_b32_e32 v2, 32, v0
	s_or_b32 s0, s0, exec_lo
                                        ; implicit-def: $vgpr3
; %bb.33:
	s_or_b32 exec_lo, exec_lo, s1
	v_mov_b32_e32 v4, v1
.LBB287_34:
	s_and_saveexec_b32 s1, s0
	s_cbranch_execz .LBB287_36
; %bb.35:
	v_lshlrev_b32_e32 v1, 2, v2
	ds_load_b32 v2, v4
	ds_load_b32 v1, v1
	s_waitcnt lgkmcnt(0)
	v_add_f32_e32 v3, v2, v1
.LBB287_36:
	s_or_b32 exec_lo, exec_lo, s1
	s_delay_alu instid0(SALU_CYCLE_1)
	s_mov_b32 s0, exec_lo
	v_cmpx_gt_u32_e32 32, v0
	s_cbranch_execz .LBB287_40
; %bb.37:
	v_cmp_eq_f32_e64 s0, s8, 0
	v_mul_f32_e32 v1, s12, v3
	s_delay_alu instid0(VALU_DEP_2)
	s_and_b32 vcc_lo, exec_lo, s0
	s_mov_b32 s0, 0
	s_cbranch_vccz .LBB287_41
; %bb.38:
	s_lshl_b64 s[2:3], s[10:11], 7
	v_lshlrev_b32_e32 v2, 2, v0
	s_add_u32 s2, s4, s2
	s_addc_u32 s3, s5, s3
	global_store_b32 v2, v1, s[2:3]
	s_and_not1_b32 vcc_lo, exec_lo, s0
	s_cbranch_vccnz .LBB287_40
.LBB287_39:
	s_lshl_b64 s[0:1], s[10:11], 7
	v_lshlrev_b32_e32 v0, 2, v0
	s_add_u32 s0, s4, s0
	s_addc_u32 s1, s5, s1
	global_load_b32 v2, v0, s[0:1]
	s_waitcnt vmcnt(0)
	v_fmac_f32_e32 v1, s8, v2
	global_store_b32 v0, v1, s[0:1]
.LBB287_40:
	s_nop 0
	s_sendmsg sendmsg(MSG_DEALLOC_VGPRS)
	s_endpgm
.LBB287_41:
	s_branch .LBB287_39
	.section	.rodata,"a",@progbits
	.p2align	6, 0x0
	.amdhsa_kernel _ZN9rocsparseL20bsrxmvn_17_32_kernelILj32EfllaafEEvT2_20rocsparse_direction_NS_24const_host_device_scalarIT0_EES1_PKS1_PKT1_SA_S7_PKT3_PKT4_S5_PT5_21rocsparse_index_base_b
		.amdhsa_group_segment_fixed_size 4096
		.amdhsa_private_segment_fixed_size 0
		.amdhsa_kernarg_size 104
		.amdhsa_user_sgpr_count 15
		.amdhsa_user_sgpr_dispatch_ptr 0
		.amdhsa_user_sgpr_queue_ptr 0
		.amdhsa_user_sgpr_kernarg_segment_ptr 1
		.amdhsa_user_sgpr_dispatch_id 0
		.amdhsa_user_sgpr_private_segment_size 0
		.amdhsa_wavefront_size32 1
		.amdhsa_uses_dynamic_stack 0
		.amdhsa_enable_private_segment 0
		.amdhsa_system_sgpr_workgroup_id_x 1
		.amdhsa_system_sgpr_workgroup_id_y 0
		.amdhsa_system_sgpr_workgroup_id_z 0
		.amdhsa_system_sgpr_workgroup_info 0
		.amdhsa_system_vgpr_workitem_id 0
		.amdhsa_next_free_vgpr 10
		.amdhsa_next_free_sgpr 26
		.amdhsa_reserve_vcc 1
		.amdhsa_float_round_mode_32 0
		.amdhsa_float_round_mode_16_64 0
		.amdhsa_float_denorm_mode_32 3
		.amdhsa_float_denorm_mode_16_64 3
		.amdhsa_dx10_clamp 1
		.amdhsa_ieee_mode 1
		.amdhsa_fp16_overflow 0
		.amdhsa_workgroup_processor_mode 1
		.amdhsa_memory_ordered 1
		.amdhsa_forward_progress 0
		.amdhsa_shared_vgpr_count 0
		.amdhsa_exception_fp_ieee_invalid_op 0
		.amdhsa_exception_fp_denorm_src 0
		.amdhsa_exception_fp_ieee_div_zero 0
		.amdhsa_exception_fp_ieee_overflow 0
		.amdhsa_exception_fp_ieee_underflow 0
		.amdhsa_exception_fp_ieee_inexact 0
		.amdhsa_exception_int_div_zero 0
	.end_amdhsa_kernel
	.section	.text._ZN9rocsparseL20bsrxmvn_17_32_kernelILj32EfllaafEEvT2_20rocsparse_direction_NS_24const_host_device_scalarIT0_EES1_PKS1_PKT1_SA_S7_PKT3_PKT4_S5_PT5_21rocsparse_index_base_b,"axG",@progbits,_ZN9rocsparseL20bsrxmvn_17_32_kernelILj32EfllaafEEvT2_20rocsparse_direction_NS_24const_host_device_scalarIT0_EES1_PKS1_PKT1_SA_S7_PKT3_PKT4_S5_PT5_21rocsparse_index_base_b,comdat
.Lfunc_end287:
	.size	_ZN9rocsparseL20bsrxmvn_17_32_kernelILj32EfllaafEEvT2_20rocsparse_direction_NS_24const_host_device_scalarIT0_EES1_PKS1_PKT1_SA_S7_PKT3_PKT4_S5_PT5_21rocsparse_index_base_b, .Lfunc_end287-_ZN9rocsparseL20bsrxmvn_17_32_kernelILj32EfllaafEEvT2_20rocsparse_direction_NS_24const_host_device_scalarIT0_EES1_PKS1_PKT1_SA_S7_PKT3_PKT4_S5_PT5_21rocsparse_index_base_b
                                        ; -- End function
	.section	.AMDGPU.csdata,"",@progbits
; Kernel info:
; codeLenInByte = 1360
; NumSgprs: 28
; NumVgprs: 10
; ScratchSize: 0
; MemoryBound: 0
; FloatMode: 240
; IeeeMode: 1
; LDSByteSize: 4096 bytes/workgroup (compile time only)
; SGPRBlocks: 3
; VGPRBlocks: 1
; NumSGPRsForWavesPerEU: 28
; NumVGPRsForWavesPerEU: 10
; Occupancy: 16
; WaveLimiterHint : 1
; COMPUTE_PGM_RSRC2:SCRATCH_EN: 0
; COMPUTE_PGM_RSRC2:USER_SGPR: 15
; COMPUTE_PGM_RSRC2:TRAP_HANDLER: 0
; COMPUTE_PGM_RSRC2:TGID_X_EN: 1
; COMPUTE_PGM_RSRC2:TGID_Y_EN: 0
; COMPUTE_PGM_RSRC2:TGID_Z_EN: 0
; COMPUTE_PGM_RSRC2:TIDIG_COMP_CNT: 0
	.section	.text._ZN9rocsparseL20bsrxmvn_17_32_kernelILj17EfiiDF16_DF16_fEEvT2_20rocsparse_direction_NS_24const_host_device_scalarIT0_EES1_PKS1_PKT1_SA_S7_PKT3_PKT4_S5_PT5_21rocsparse_index_base_b,"axG",@progbits,_ZN9rocsparseL20bsrxmvn_17_32_kernelILj17EfiiDF16_DF16_fEEvT2_20rocsparse_direction_NS_24const_host_device_scalarIT0_EES1_PKS1_PKT1_SA_S7_PKT3_PKT4_S5_PT5_21rocsparse_index_base_b,comdat
	.globl	_ZN9rocsparseL20bsrxmvn_17_32_kernelILj17EfiiDF16_DF16_fEEvT2_20rocsparse_direction_NS_24const_host_device_scalarIT0_EES1_PKS1_PKT1_SA_S7_PKT3_PKT4_S5_PT5_21rocsparse_index_base_b ; -- Begin function _ZN9rocsparseL20bsrxmvn_17_32_kernelILj17EfiiDF16_DF16_fEEvT2_20rocsparse_direction_NS_24const_host_device_scalarIT0_EES1_PKS1_PKT1_SA_S7_PKT3_PKT4_S5_PT5_21rocsparse_index_base_b
	.p2align	8
	.type	_ZN9rocsparseL20bsrxmvn_17_32_kernelILj17EfiiDF16_DF16_fEEvT2_20rocsparse_direction_NS_24const_host_device_scalarIT0_EES1_PKS1_PKT1_SA_S7_PKT3_PKT4_S5_PT5_21rocsparse_index_base_b,@function
_ZN9rocsparseL20bsrxmvn_17_32_kernelILj17EfiiDF16_DF16_fEEvT2_20rocsparse_direction_NS_24const_host_device_scalarIT0_EES1_PKS1_PKT1_SA_S7_PKT3_PKT4_S5_PT5_21rocsparse_index_base_b: ; @_ZN9rocsparseL20bsrxmvn_17_32_kernelILj17EfiiDF16_DF16_fEEvT2_20rocsparse_direction_NS_24const_host_device_scalarIT0_EES1_PKS1_PKT1_SA_S7_PKT3_PKT4_S5_PT5_21rocsparse_index_base_b
; %bb.0:
	s_mov_b32 s8, s15
	s_clause 0x2
	s_load_b64 s[14:15], s[0:1], 0x58
	s_load_b64 s[10:11], s[0:1], 0x8
	;; [unrolled: 1-line block ×3, first 2 shown]
	s_waitcnt lgkmcnt(0)
	s_bitcmp1_b32 s15, 0
	s_cselect_b32 s4, -1, 0
	s_delay_alu instid0(SALU_CYCLE_1)
	s_and_b32 vcc_lo, exec_lo, s4
	s_xor_b32 s4, s4, -1
	s_cbranch_vccnz .LBB288_2
; %bb.1:
	s_load_b32 s10, s[10:11], 0x0
.LBB288_2:
	s_and_not1_b32 vcc_lo, exec_lo, s4
	s_cbranch_vccnz .LBB288_4
; %bb.3:
	s_load_b32 s2, s[2:3], 0x0
.LBB288_4:
	s_waitcnt lgkmcnt(0)
	v_cmp_neq_f32_e64 s3, s10, 0
	v_cmp_neq_f32_e64 s4, s2, 1.0
	s_delay_alu instid0(VALU_DEP_1) | instskip(NEXT) | instid1(SALU_CYCLE_1)
	s_or_b32 s3, s3, s4
	s_and_not1_b32 vcc_lo, exec_lo, s3
	s_cbranch_vccnz .LBB288_42
; %bb.5:
	s_clause 0x1
	s_load_b128 s[4:7], s[0:1], 0x18
	s_load_b64 s[12:13], s[0:1], 0x28
	s_waitcnt lgkmcnt(0)
	s_cmp_eq_u64 s[4:5], 0
	s_cbranch_scc1 .LBB288_7
; %bb.6:
	s_ashr_i32 s9, s8, 31
	s_delay_alu instid0(SALU_CYCLE_1) | instskip(NEXT) | instid1(SALU_CYCLE_1)
	s_lshl_b64 s[8:9], s[8:9], 2
	s_add_u32 s4, s4, s8
	s_addc_u32 s5, s5, s9
	s_load_b32 s3, s[4:5], 0x0
	s_waitcnt lgkmcnt(0)
	s_sub_i32 s8, s3, s14
.LBB288_7:
	s_load_b32 s3, s[0:1], 0x4
	v_mul_u32_u24_e32 v1, 0xf10, v0
	v_mov_b32_e32 v6, 0
	s_delay_alu instid0(VALU_DEP_2) | instskip(NEXT) | instid1(VALU_DEP_1)
	v_lshrrev_b32_e32 v1, 16, v1
	v_mul_lo_u16 v2, v1, 17
	s_delay_alu instid0(VALU_DEP_1)
	v_sub_nc_u16 v7, v0, v2
	s_waitcnt lgkmcnt(0)
	s_cmp_eq_u32 s3, 1
	s_cselect_b32 vcc_lo, -1, 0
	s_cmp_lg_u32 s3, 1
	s_cselect_b32 s3, -1, 0
	s_ashr_i32 s9, s8, 31
	s_delay_alu instid0(SALU_CYCLE_1) | instskip(NEXT) | instid1(SALU_CYCLE_1)
	s_lshl_b64 s[4:5], s[8:9], 2
	s_add_u32 s6, s6, s4
	s_addc_u32 s7, s7, s5
	s_add_u32 s9, s6, 4
	s_addc_u32 s11, s7, 0
	;; [unrolled: 2-line block ×3, first 2 shown]
	s_cmp_eq_u64 s[12:13], 0
	s_load_b64 s[12:13], s[0:1], 0x50
	s_cselect_b32 s5, s11, s5
	s_cselect_b32 s4, s9, s4
	s_load_b32 s11, s[6:7], 0x0
	s_load_b32 s9, s[4:5], 0x0
	s_waitcnt lgkmcnt(0)
	s_cmp_ge_i32 s11, s9
	s_cbranch_scc1 .LBB288_12
; %bb.8:
	v_mul_lo_u16 v2, v1, 31
	s_clause 0x1
	s_load_b128 s[4:7], s[0:1], 0x30
	s_load_b64 s[0:1], s[0:1], 0x40
	v_and_b32_e32 v5, 0xffff, v0
	s_sub_i32 s11, s11, s14
	v_lshrrev_b16 v2, 9, v2
	v_lshlrev_b32_e32 v4, 1, v0
	s_mul_i32 s16, s11, 0x242
	s_sub_i32 s9, s9, s14
	v_dual_mov_b32 v6, 0 :: v_dual_and_b32 v3, 0xffff, v7
	v_mul_lo_u16 v2, v2, 17
	v_mul_u32_u24_e32 v5, 0xe3, v5
	s_mul_hi_i32 s15, s11, 0x242
	s_delay_alu instid0(VALU_DEP_2) | instskip(NEXT) | instid1(VALU_DEP_1)
	v_sub_nc_u16 v1, v1, v2
	v_and_b32_e32 v8, 0xff, v1
	s_waitcnt lgkmcnt(0)
	s_add_u32 s6, s6, s16
	s_addc_u32 s7, s7, s15
	v_add_co_u32 v1, s6, s6, v4
	s_delay_alu instid0(VALU_DEP_1)
	v_add_co_ci_u32_e64 v2, null, s7, 0, s6
	v_cndmask_b32_e32 v3, v3, v8, vcc_lo
	v_lshrrev_b32_e32 v8, 16, v5
	s_set_inst_prefetch_distance 0x1
	s_branch .LBB288_10
	.p2align	6
.LBB288_9:                              ;   in Loop: Header=BB288_10 Depth=1
	s_or_b32 exec_lo, exec_lo, s6
	s_add_i32 s11, s11, 1
	s_delay_alu instid0(SALU_CYCLE_1)
	s_cmp_lt_i32 s11, s9
	s_cbranch_scc0 .LBB288_12
.LBB288_10:                             ; =>This Inner Loop Header: Depth=1
	s_delay_alu instid0(VALU_DEP_1) | instskip(SKIP_1) | instid1(VALU_DEP_1)
	v_add_nc_u32_e32 v4, s11, v8
	s_mov_b32 s6, exec_lo
	v_cmpx_gt_i32_e64 s9, v4
	s_cbranch_execz .LBB288_9
; %bb.11:                               ;   in Loop: Header=BB288_10 Depth=1
	v_ashrrev_i32_e32 v5, 31, v4
	s_delay_alu instid0(VALU_DEP_1) | instskip(NEXT) | instid1(VALU_DEP_1)
	v_lshlrev_b64 v[4:5], 2, v[4:5]
	v_add_co_u32 v4, vcc_lo, s4, v4
	s_delay_alu instid0(VALU_DEP_2) | instskip(SKIP_3) | instid1(VALU_DEP_1)
	v_add_co_ci_u32_e32 v5, vcc_lo, s5, v5, vcc_lo
	global_load_b32 v4, v[4:5], off
	s_waitcnt vmcnt(0)
	v_subrev_nc_u32_e32 v9, s14, v4
	v_mad_u64_u32 v[4:5], null, v9, 17, v[3:4]
	s_delay_alu instid0(VALU_DEP_1) | instskip(NEXT) | instid1(VALU_DEP_1)
	v_ashrrev_i32_e32 v5, 31, v4
	v_lshlrev_b64 v[4:5], 1, v[4:5]
	s_delay_alu instid0(VALU_DEP_1) | instskip(NEXT) | instid1(VALU_DEP_2)
	v_add_co_u32 v4, vcc_lo, s0, v4
	v_add_co_ci_u32_e32 v5, vcc_lo, s1, v5, vcc_lo
	global_load_u16 v9, v[1:2], off
	global_load_u16 v4, v[4:5], off
	v_add_co_u32 v1, vcc_lo, 0x242, v1
	v_add_co_ci_u32_e32 v2, vcc_lo, 0, v2, vcc_lo
	s_waitcnt vmcnt(0)
	v_fma_mix_f32 v6, v9, v4, v6 op_sel_hi:[1,1,0]
	s_branch .LBB288_9
.LBB288_12:
	s_set_inst_prefetch_distance 0x2
	v_lshlrev_b32_e32 v1, 2, v0
	s_and_b32 vcc_lo, exec_lo, s3
	ds_store_b32 v1, v6
	s_waitcnt lgkmcnt(0)
	s_barrier
	buffer_gl0_inv
	s_cbranch_vccz .LBB288_24
; %bb.13:
	s_mov_b32 s0, exec_lo
	v_cmpx_eq_u16_e32 0, v7
	s_cbranch_execz .LBB288_15
; %bb.14:
	ds_load_2addr_b32 v[2:3], v1 offset1:16
	s_waitcnt lgkmcnt(0)
	v_add_f32_e32 v2, v3, v2
	ds_store_b32 v1, v2
.LBB288_15:
	s_or_b32 exec_lo, exec_lo, s0
	s_delay_alu instid0(SALU_CYCLE_1)
	s_mov_b32 s0, exec_lo
	s_waitcnt lgkmcnt(0)
	s_barrier
	buffer_gl0_inv
	v_cmpx_gt_u16_e32 8, v7
	s_cbranch_execz .LBB288_17
; %bb.16:
	ds_load_2addr_b32 v[2:3], v1 offset1:8
	s_waitcnt lgkmcnt(0)
	v_add_f32_e32 v2, v3, v2
	ds_store_b32 v1, v2
.LBB288_17:
	s_or_b32 exec_lo, exec_lo, s0
	s_delay_alu instid0(SALU_CYCLE_1)
	s_mov_b32 s0, exec_lo
	s_waitcnt lgkmcnt(0)
	s_barrier
	buffer_gl0_inv
	v_cmpx_gt_u16_e32 4, v7
	;; [unrolled: 14-line block ×3, first 2 shown]
	s_cbranch_execz .LBB288_21
; %bb.20:
	ds_load_2addr_b32 v[2:3], v1 offset1:2
	s_waitcnt lgkmcnt(0)
	v_add_f32_e32 v2, v3, v2
	ds_store_b32 v1, v2
.LBB288_21:
	s_or_b32 exec_lo, exec_lo, s0
	s_mov_b32 s0, 0
	s_mov_b32 s1, 0
	s_mov_b32 s3, exec_lo
	s_waitcnt lgkmcnt(0)
	s_barrier
	buffer_gl0_inv
                                        ; implicit-def: $vgpr2
                                        ; implicit-def: $vgpr3
	v_cmpx_gt_u32_e32 17, v0
	s_xor_b32 s3, exec_lo, s3
; %bb.22:
	v_mad_u32_u24 v2, v0, 17, 1
	v_lshl_add_u32 v3, v0, 6, v1
	s_mov_b32 s1, exec_lo
; %bb.23:
	s_or_b32 exec_lo, exec_lo, s3
	s_delay_alu instid0(SALU_CYCLE_1)
	s_and_b32 vcc_lo, exec_lo, s0
	v_cmp_gt_u32_e64 s0, 17, v0
	s_cbranch_vccnz .LBB288_25
	s_branch .LBB288_36
.LBB288_24:
	s_mov_b32 s1, 0
                                        ; implicit-def: $vgpr2
                                        ; implicit-def: $vgpr3
	v_cmp_gt_u32_e64 s0, 17, v0
	s_cbranch_execz .LBB288_36
.LBB288_25:
	s_delay_alu instid0(VALU_DEP_1)
	s_and_saveexec_b32 s3, s0
	s_cbranch_execz .LBB288_27
; %bb.26:
	ds_load_b32 v2, v1 offset:1088
	ds_load_b32 v3, v1
	s_waitcnt lgkmcnt(0)
	v_add_f32_e32 v2, v2, v3
	ds_store_b32 v1, v2
.LBB288_27:
	s_or_b32 exec_lo, exec_lo, s3
	s_delay_alu instid0(SALU_CYCLE_1)
	s_mov_b32 s3, exec_lo
	s_waitcnt lgkmcnt(0)
	s_barrier
	buffer_gl0_inv
	v_cmpx_gt_u32_e32 0x88, v0
	s_cbranch_execz .LBB288_29
; %bb.28:
	ds_load_2addr_b32 v[2:3], v1 offset1:136
	s_waitcnt lgkmcnt(0)
	v_add_f32_e32 v2, v3, v2
	ds_store_b32 v1, v2
.LBB288_29:
	s_or_b32 exec_lo, exec_lo, s3
	s_delay_alu instid0(SALU_CYCLE_1)
	s_mov_b32 s3, exec_lo
	s_waitcnt lgkmcnt(0)
	s_barrier
	buffer_gl0_inv
	v_cmpx_gt_u32_e32 0x44, v0
	s_cbranch_execz .LBB288_31
; %bb.30:
	ds_load_2addr_b32 v[2:3], v1 offset1:68
	s_waitcnt lgkmcnt(0)
	v_add_f32_e32 v2, v3, v2
	ds_store_b32 v1, v2
.LBB288_31:
	;; [unrolled: 14-line block ×3, first 2 shown]
	s_or_b32 exec_lo, exec_lo, s3
	s_waitcnt lgkmcnt(0)
	buffer_gl0_inv
                                        ; implicit-def: $vgpr2
	s_and_saveexec_b32 s3, s0
; %bb.34:
	v_add_nc_u32_e32 v2, 17, v0
	s_or_b32 s1, s1, exec_lo
                                        ; implicit-def: $vgpr6
; %bb.35:
	s_or_b32 exec_lo, exec_lo, s3
	v_mov_b32_e32 v3, v1
.LBB288_36:
	s_and_saveexec_b32 s0, s1
	s_cbranch_execz .LBB288_38
; %bb.37:
	v_lshlrev_b32_e32 v1, 2, v2
	ds_load_b32 v2, v3
	ds_load_b32 v1, v1
	s_waitcnt lgkmcnt(0)
	v_add_f32_e32 v6, v2, v1
.LBB288_38:
	s_or_b32 exec_lo, exec_lo, s0
	s_delay_alu instid0(SALU_CYCLE_1)
	s_mov_b32 s0, exec_lo
	v_cmpx_gt_u32_e32 17, v0
	s_cbranch_execz .LBB288_42
; %bb.39:
	v_cmp_eq_f32_e64 s0, s2, 0
	v_mul_f32_e32 v1, s10, v6
	s_delay_alu instid0(VALU_DEP_2)
	s_and_b32 vcc_lo, exec_lo, s0
	s_mov_b32 s0, 0
	s_cbranch_vccz .LBB288_43
; %bb.40:
	s_delay_alu instid0(VALU_DEP_1) | instskip(SKIP_1) | instid1(VALU_DEP_1)
	v_mad_u64_u32 v[2:3], null, s8, 17, v[0:1]
	v_mov_b32_e32 v3, 0
	v_lshlrev_b64 v[2:3], 2, v[2:3]
	s_delay_alu instid0(VALU_DEP_1) | instskip(NEXT) | instid1(VALU_DEP_2)
	v_add_co_u32 v2, vcc_lo, s12, v2
	v_add_co_ci_u32_e32 v3, vcc_lo, s13, v3, vcc_lo
	global_store_b32 v[2:3], v1, off
	s_and_not1_b32 vcc_lo, exec_lo, s0
	s_cbranch_vccnz .LBB288_42
.LBB288_41:
	v_mad_u64_u32 v[2:3], null, s8, 17, v[0:1]
	v_mov_b32_e32 v3, 0
	s_delay_alu instid0(VALU_DEP_1) | instskip(NEXT) | instid1(VALU_DEP_1)
	v_lshlrev_b64 v[2:3], 2, v[2:3]
	v_add_co_u32 v2, vcc_lo, s12, v2
	s_delay_alu instid0(VALU_DEP_2)
	v_add_co_ci_u32_e32 v3, vcc_lo, s13, v3, vcc_lo
	global_load_b32 v0, v[2:3], off
	s_waitcnt vmcnt(0)
	v_fmac_f32_e32 v1, s2, v0
	global_store_b32 v[2:3], v1, off
.LBB288_42:
	s_nop 0
	s_sendmsg sendmsg(MSG_DEALLOC_VGPRS)
	s_endpgm
.LBB288_43:
	s_branch .LBB288_41
	.section	.rodata,"a",@progbits
	.p2align	6, 0x0
	.amdhsa_kernel _ZN9rocsparseL20bsrxmvn_17_32_kernelILj17EfiiDF16_DF16_fEEvT2_20rocsparse_direction_NS_24const_host_device_scalarIT0_EES1_PKS1_PKT1_SA_S7_PKT3_PKT4_S5_PT5_21rocsparse_index_base_b
		.amdhsa_group_segment_fixed_size 1156
		.amdhsa_private_segment_fixed_size 0
		.amdhsa_kernarg_size 96
		.amdhsa_user_sgpr_count 15
		.amdhsa_user_sgpr_dispatch_ptr 0
		.amdhsa_user_sgpr_queue_ptr 0
		.amdhsa_user_sgpr_kernarg_segment_ptr 1
		.amdhsa_user_sgpr_dispatch_id 0
		.amdhsa_user_sgpr_private_segment_size 0
		.amdhsa_wavefront_size32 1
		.amdhsa_uses_dynamic_stack 0
		.amdhsa_enable_private_segment 0
		.amdhsa_system_sgpr_workgroup_id_x 1
		.amdhsa_system_sgpr_workgroup_id_y 0
		.amdhsa_system_sgpr_workgroup_id_z 0
		.amdhsa_system_sgpr_workgroup_info 0
		.amdhsa_system_vgpr_workitem_id 0
		.amdhsa_next_free_vgpr 10
		.amdhsa_next_free_sgpr 17
		.amdhsa_reserve_vcc 1
		.amdhsa_float_round_mode_32 0
		.amdhsa_float_round_mode_16_64 0
		.amdhsa_float_denorm_mode_32 3
		.amdhsa_float_denorm_mode_16_64 3
		.amdhsa_dx10_clamp 1
		.amdhsa_ieee_mode 1
		.amdhsa_fp16_overflow 0
		.amdhsa_workgroup_processor_mode 1
		.amdhsa_memory_ordered 1
		.amdhsa_forward_progress 0
		.amdhsa_shared_vgpr_count 0
		.amdhsa_exception_fp_ieee_invalid_op 0
		.amdhsa_exception_fp_denorm_src 0
		.amdhsa_exception_fp_ieee_div_zero 0
		.amdhsa_exception_fp_ieee_overflow 0
		.amdhsa_exception_fp_ieee_underflow 0
		.amdhsa_exception_fp_ieee_inexact 0
		.amdhsa_exception_int_div_zero 0
	.end_amdhsa_kernel
	.section	.text._ZN9rocsparseL20bsrxmvn_17_32_kernelILj17EfiiDF16_DF16_fEEvT2_20rocsparse_direction_NS_24const_host_device_scalarIT0_EES1_PKS1_PKT1_SA_S7_PKT3_PKT4_S5_PT5_21rocsparse_index_base_b,"axG",@progbits,_ZN9rocsparseL20bsrxmvn_17_32_kernelILj17EfiiDF16_DF16_fEEvT2_20rocsparse_direction_NS_24const_host_device_scalarIT0_EES1_PKS1_PKT1_SA_S7_PKT3_PKT4_S5_PT5_21rocsparse_index_base_b,comdat
.Lfunc_end288:
	.size	_ZN9rocsparseL20bsrxmvn_17_32_kernelILj17EfiiDF16_DF16_fEEvT2_20rocsparse_direction_NS_24const_host_device_scalarIT0_EES1_PKS1_PKT1_SA_S7_PKT3_PKT4_S5_PT5_21rocsparse_index_base_b, .Lfunc_end288-_ZN9rocsparseL20bsrxmvn_17_32_kernelILj17EfiiDF16_DF16_fEEvT2_20rocsparse_direction_NS_24const_host_device_scalarIT0_EES1_PKS1_PKT1_SA_S7_PKT3_PKT4_S5_PT5_21rocsparse_index_base_b
                                        ; -- End function
	.section	.AMDGPU.csdata,"",@progbits
; Kernel info:
; codeLenInByte = 1536
; NumSgprs: 19
; NumVgprs: 10
; ScratchSize: 0
; MemoryBound: 0
; FloatMode: 240
; IeeeMode: 1
; LDSByteSize: 1156 bytes/workgroup (compile time only)
; SGPRBlocks: 2
; VGPRBlocks: 1
; NumSGPRsForWavesPerEU: 19
; NumVGPRsForWavesPerEU: 10
; Occupancy: 15
; WaveLimiterHint : 1
; COMPUTE_PGM_RSRC2:SCRATCH_EN: 0
; COMPUTE_PGM_RSRC2:USER_SGPR: 15
; COMPUTE_PGM_RSRC2:TRAP_HANDLER: 0
; COMPUTE_PGM_RSRC2:TGID_X_EN: 1
; COMPUTE_PGM_RSRC2:TGID_Y_EN: 0
; COMPUTE_PGM_RSRC2:TGID_Z_EN: 0
; COMPUTE_PGM_RSRC2:TIDIG_COMP_CNT: 0
	.section	.text._ZN9rocsparseL20bsrxmvn_17_32_kernelILj18EfiiDF16_DF16_fEEvT2_20rocsparse_direction_NS_24const_host_device_scalarIT0_EES1_PKS1_PKT1_SA_S7_PKT3_PKT4_S5_PT5_21rocsparse_index_base_b,"axG",@progbits,_ZN9rocsparseL20bsrxmvn_17_32_kernelILj18EfiiDF16_DF16_fEEvT2_20rocsparse_direction_NS_24const_host_device_scalarIT0_EES1_PKS1_PKT1_SA_S7_PKT3_PKT4_S5_PT5_21rocsparse_index_base_b,comdat
	.globl	_ZN9rocsparseL20bsrxmvn_17_32_kernelILj18EfiiDF16_DF16_fEEvT2_20rocsparse_direction_NS_24const_host_device_scalarIT0_EES1_PKS1_PKT1_SA_S7_PKT3_PKT4_S5_PT5_21rocsparse_index_base_b ; -- Begin function _ZN9rocsparseL20bsrxmvn_17_32_kernelILj18EfiiDF16_DF16_fEEvT2_20rocsparse_direction_NS_24const_host_device_scalarIT0_EES1_PKS1_PKT1_SA_S7_PKT3_PKT4_S5_PT5_21rocsparse_index_base_b
	.p2align	8
	.type	_ZN9rocsparseL20bsrxmvn_17_32_kernelILj18EfiiDF16_DF16_fEEvT2_20rocsparse_direction_NS_24const_host_device_scalarIT0_EES1_PKS1_PKT1_SA_S7_PKT3_PKT4_S5_PT5_21rocsparse_index_base_b,@function
_ZN9rocsparseL20bsrxmvn_17_32_kernelILj18EfiiDF16_DF16_fEEvT2_20rocsparse_direction_NS_24const_host_device_scalarIT0_EES1_PKS1_PKT1_SA_S7_PKT3_PKT4_S5_PT5_21rocsparse_index_base_b: ; @_ZN9rocsparseL20bsrxmvn_17_32_kernelILj18EfiiDF16_DF16_fEEvT2_20rocsparse_direction_NS_24const_host_device_scalarIT0_EES1_PKS1_PKT1_SA_S7_PKT3_PKT4_S5_PT5_21rocsparse_index_base_b
; %bb.0:
	s_mov_b32 s8, s15
	s_clause 0x2
	s_load_b64 s[14:15], s[0:1], 0x58
	s_load_b64 s[10:11], s[0:1], 0x8
	;; [unrolled: 1-line block ×3, first 2 shown]
	s_waitcnt lgkmcnt(0)
	s_bitcmp1_b32 s15, 0
	s_cselect_b32 s4, -1, 0
	s_delay_alu instid0(SALU_CYCLE_1)
	s_and_b32 vcc_lo, exec_lo, s4
	s_xor_b32 s4, s4, -1
	s_cbranch_vccnz .LBB289_2
; %bb.1:
	s_load_b32 s10, s[10:11], 0x0
.LBB289_2:
	s_and_not1_b32 vcc_lo, exec_lo, s4
	s_cbranch_vccnz .LBB289_4
; %bb.3:
	s_load_b32 s2, s[2:3], 0x0
.LBB289_4:
	s_waitcnt lgkmcnt(0)
	v_cmp_neq_f32_e64 s3, s10, 0
	v_cmp_neq_f32_e64 s4, s2, 1.0
	s_delay_alu instid0(VALU_DEP_1) | instskip(NEXT) | instid1(SALU_CYCLE_1)
	s_or_b32 s3, s3, s4
	s_and_not1_b32 vcc_lo, exec_lo, s3
	s_cbranch_vccnz .LBB289_42
; %bb.5:
	s_clause 0x1
	s_load_b128 s[4:7], s[0:1], 0x18
	s_load_b64 s[12:13], s[0:1], 0x28
	s_waitcnt lgkmcnt(0)
	s_cmp_eq_u64 s[4:5], 0
	s_cbranch_scc1 .LBB289_7
; %bb.6:
	s_ashr_i32 s9, s8, 31
	s_delay_alu instid0(SALU_CYCLE_1) | instskip(NEXT) | instid1(SALU_CYCLE_1)
	s_lshl_b64 s[8:9], s[8:9], 2
	s_add_u32 s4, s4, s8
	s_addc_u32 s5, s5, s9
	s_load_b32 s3, s[4:5], 0x0
	s_waitcnt lgkmcnt(0)
	s_sub_i32 s8, s3, s14
.LBB289_7:
	s_load_b32 s3, s[0:1], 0x4
	v_mul_u32_u24_e32 v1, 0xe39, v0
	v_mov_b32_e32 v6, 0
	s_delay_alu instid0(VALU_DEP_2) | instskip(NEXT) | instid1(VALU_DEP_1)
	v_lshrrev_b32_e32 v1, 16, v1
	v_mul_lo_u16 v2, v1, 18
	s_delay_alu instid0(VALU_DEP_1)
	v_sub_nc_u16 v7, v0, v2
	s_waitcnt lgkmcnt(0)
	s_cmp_eq_u32 s3, 1
	s_cselect_b32 vcc_lo, -1, 0
	s_cmp_lg_u32 s3, 1
	s_cselect_b32 s3, -1, 0
	s_ashr_i32 s9, s8, 31
	s_delay_alu instid0(SALU_CYCLE_1) | instskip(NEXT) | instid1(SALU_CYCLE_1)
	s_lshl_b64 s[4:5], s[8:9], 2
	s_add_u32 s6, s6, s4
	s_addc_u32 s7, s7, s5
	s_add_u32 s9, s6, 4
	s_addc_u32 s11, s7, 0
	;; [unrolled: 2-line block ×3, first 2 shown]
	s_cmp_eq_u64 s[12:13], 0
	s_load_b64 s[12:13], s[0:1], 0x50
	s_cselect_b32 s5, s11, s5
	s_cselect_b32 s4, s9, s4
	s_load_b32 s11, s[6:7], 0x0
	s_load_b32 s9, s[4:5], 0x0
	s_waitcnt lgkmcnt(0)
	s_cmp_ge_i32 s11, s9
	s_cbranch_scc1 .LBB289_12
; %bb.8:
	v_mul_lo_u16 v2, v1, 15
	s_clause 0x1
	s_load_b128 s[4:7], s[0:1], 0x30
	s_load_b64 s[0:1], s[0:1], 0x40
	v_and_b32_e32 v5, 0xffff, v0
	s_sub_i32 s11, s11, s14
	v_lshrrev_b16 v2, 8, v2
	v_lshlrev_b32_e32 v4, 1, v0
	s_mul_i32 s16, s11, 0x288
	s_sub_i32 s9, s9, s14
	v_dual_mov_b32 v6, 0 :: v_dual_and_b32 v3, 0xffff, v7
	v_mul_lo_u16 v2, v2, 18
	v_mul_u32_u24_e32 v5, 0x195, v5
	s_mul_hi_i32 s15, s11, 0x288
	s_delay_alu instid0(VALU_DEP_2) | instskip(NEXT) | instid1(VALU_DEP_1)
	v_sub_nc_u16 v1, v1, v2
	v_and_b32_e32 v8, 0xff, v1
	s_waitcnt lgkmcnt(0)
	s_add_u32 s6, s6, s16
	s_addc_u32 s7, s7, s15
	v_add_co_u32 v1, s6, s6, v4
	s_delay_alu instid0(VALU_DEP_1)
	v_add_co_ci_u32_e64 v2, null, s7, 0, s6
	v_cndmask_b32_e32 v3, v3, v8, vcc_lo
	v_lshrrev_b32_e32 v8, 17, v5
	s_set_inst_prefetch_distance 0x1
	s_branch .LBB289_10
	.p2align	6
.LBB289_9:                              ;   in Loop: Header=BB289_10 Depth=1
	s_or_b32 exec_lo, exec_lo, s6
	s_add_i32 s11, s11, 1
	s_delay_alu instid0(SALU_CYCLE_1)
	s_cmp_lt_i32 s11, s9
	s_cbranch_scc0 .LBB289_12
.LBB289_10:                             ; =>This Inner Loop Header: Depth=1
	s_delay_alu instid0(VALU_DEP_1) | instskip(SKIP_1) | instid1(VALU_DEP_1)
	v_add_nc_u32_e32 v4, s11, v8
	s_mov_b32 s6, exec_lo
	v_cmpx_gt_i32_e64 s9, v4
	s_cbranch_execz .LBB289_9
; %bb.11:                               ;   in Loop: Header=BB289_10 Depth=1
	v_ashrrev_i32_e32 v5, 31, v4
	s_delay_alu instid0(VALU_DEP_1) | instskip(NEXT) | instid1(VALU_DEP_1)
	v_lshlrev_b64 v[4:5], 2, v[4:5]
	v_add_co_u32 v4, vcc_lo, s4, v4
	s_delay_alu instid0(VALU_DEP_2) | instskip(SKIP_3) | instid1(VALU_DEP_1)
	v_add_co_ci_u32_e32 v5, vcc_lo, s5, v5, vcc_lo
	global_load_b32 v4, v[4:5], off
	s_waitcnt vmcnt(0)
	v_subrev_nc_u32_e32 v9, s14, v4
	v_mad_u64_u32 v[4:5], null, v9, 18, v[3:4]
	s_delay_alu instid0(VALU_DEP_1) | instskip(NEXT) | instid1(VALU_DEP_1)
	v_ashrrev_i32_e32 v5, 31, v4
	v_lshlrev_b64 v[4:5], 1, v[4:5]
	s_delay_alu instid0(VALU_DEP_1) | instskip(NEXT) | instid1(VALU_DEP_2)
	v_add_co_u32 v4, vcc_lo, s0, v4
	v_add_co_ci_u32_e32 v5, vcc_lo, s1, v5, vcc_lo
	global_load_u16 v9, v[1:2], off
	global_load_u16 v4, v[4:5], off
	v_add_co_u32 v1, vcc_lo, 0x288, v1
	v_add_co_ci_u32_e32 v2, vcc_lo, 0, v2, vcc_lo
	s_waitcnt vmcnt(0)
	v_fma_mix_f32 v6, v9, v4, v6 op_sel_hi:[1,1,0]
	s_branch .LBB289_9
.LBB289_12:
	s_set_inst_prefetch_distance 0x2
	v_lshlrev_b32_e32 v1, 2, v0
	s_and_b32 vcc_lo, exec_lo, s3
	ds_store_b32 v1, v6
	s_waitcnt lgkmcnt(0)
	s_barrier
	buffer_gl0_inv
	s_cbranch_vccz .LBB289_24
; %bb.13:
	v_cmp_gt_u16_e32 vcc_lo, 2, v7
	s_and_saveexec_b32 s0, vcc_lo
	s_cbranch_execz .LBB289_15
; %bb.14:
	ds_load_2addr_b32 v[2:3], v1 offset1:16
	s_waitcnt lgkmcnt(0)
	v_add_f32_e32 v2, v3, v2
	ds_store_b32 v1, v2
.LBB289_15:
	s_or_b32 exec_lo, exec_lo, s0
	s_delay_alu instid0(SALU_CYCLE_1)
	s_mov_b32 s1, exec_lo
	s_waitcnt lgkmcnt(0)
	s_barrier
	buffer_gl0_inv
	v_cmpx_gt_u16_e32 8, v7
	s_cbranch_execz .LBB289_17
; %bb.16:
	ds_load_2addr_b32 v[2:3], v1 offset1:8
	s_waitcnt lgkmcnt(0)
	v_add_f32_e32 v2, v3, v2
	ds_store_b32 v1, v2
.LBB289_17:
	s_or_b32 exec_lo, exec_lo, s1
	s_delay_alu instid0(SALU_CYCLE_1)
	s_mov_b32 s1, exec_lo
	s_waitcnt lgkmcnt(0)
	s_barrier
	buffer_gl0_inv
	v_cmpx_gt_u16_e32 4, v7
	s_cbranch_execz .LBB289_19
; %bb.18:
	ds_load_2addr_b32 v[2:3], v1 offset1:4
	s_waitcnt lgkmcnt(0)
	v_add_f32_e32 v2, v3, v2
	ds_store_b32 v1, v2
.LBB289_19:
	s_or_b32 exec_lo, exec_lo, s1
	s_waitcnt lgkmcnt(0)
	s_barrier
	buffer_gl0_inv
	s_and_saveexec_b32 s0, vcc_lo
	s_cbranch_execz .LBB289_21
; %bb.20:
	ds_load_2addr_b32 v[2:3], v1 offset1:2
	s_waitcnt lgkmcnt(0)
	v_add_f32_e32 v2, v3, v2
	ds_store_b32 v1, v2
.LBB289_21:
	s_or_b32 exec_lo, exec_lo, s0
	s_mov_b32 s0, 0
	s_mov_b32 s1, 0
	s_mov_b32 s3, exec_lo
	s_waitcnt lgkmcnt(0)
	s_barrier
	buffer_gl0_inv
                                        ; implicit-def: $vgpr2
                                        ; implicit-def: $vgpr3
	v_cmpx_gt_u32_e32 18, v0
	s_xor_b32 s3, exec_lo, s3
; %bb.22:
	v_mul_u32_u24_e32 v2, 18, v0
	v_mad_u32_u24 v3, 0x44, v0, v1
	s_mov_b32 s1, exec_lo
	s_delay_alu instid0(VALU_DEP_2)
	v_or_b32_e32 v2, 1, v2
; %bb.23:
	s_or_b32 exec_lo, exec_lo, s3
	s_delay_alu instid0(SALU_CYCLE_1)
	s_and_b32 vcc_lo, exec_lo, s0
	s_cbranch_vccnz .LBB289_25
	s_branch .LBB289_36
.LBB289_24:
	s_mov_b32 s1, 0
                                        ; implicit-def: $vgpr2
                                        ; implicit-def: $vgpr3
	s_cbranch_execz .LBB289_36
.LBB289_25:
	v_cmp_gt_u32_e32 vcc_lo, 36, v0
	s_and_saveexec_b32 s0, vcc_lo
	s_cbranch_execz .LBB289_27
; %bb.26:
	ds_load_b32 v2, v1 offset:1152
	ds_load_b32 v3, v1
	s_waitcnt lgkmcnt(0)
	v_add_f32_e32 v2, v2, v3
	ds_store_b32 v1, v2
.LBB289_27:
	s_or_b32 exec_lo, exec_lo, s0
	s_delay_alu instid0(SALU_CYCLE_1)
	s_mov_b32 s3, exec_lo
	s_waitcnt lgkmcnt(0)
	s_barrier
	buffer_gl0_inv
	v_cmpx_gt_u32_e32 0x90, v0
	s_cbranch_execz .LBB289_29
; %bb.28:
	ds_load_2addr_b32 v[2:3], v1 offset1:144
	s_waitcnt lgkmcnt(0)
	v_add_f32_e32 v2, v3, v2
	ds_store_b32 v1, v2
.LBB289_29:
	s_or_b32 exec_lo, exec_lo, s3
	s_delay_alu instid0(SALU_CYCLE_1)
	s_mov_b32 s3, exec_lo
	s_waitcnt lgkmcnt(0)
	s_barrier
	buffer_gl0_inv
	v_cmpx_gt_u32_e32 0x48, v0
	s_cbranch_execz .LBB289_31
; %bb.30:
	ds_load_2addr_b32 v[2:3], v1 offset1:72
	s_waitcnt lgkmcnt(0)
	v_add_f32_e32 v2, v3, v2
	ds_store_b32 v1, v2
.LBB289_31:
	s_or_b32 exec_lo, exec_lo, s3
	s_waitcnt lgkmcnt(0)
	s_barrier
	buffer_gl0_inv
	s_and_saveexec_b32 s0, vcc_lo
	s_cbranch_execz .LBB289_33
; %bb.32:
	ds_load_2addr_b32 v[2:3], v1 offset1:36
	s_waitcnt lgkmcnt(0)
	v_add_f32_e32 v2, v3, v2
	ds_store_b32 v1, v2
.LBB289_33:
	s_or_b32 exec_lo, exec_lo, s0
	s_delay_alu instid0(SALU_CYCLE_1)
	s_mov_b32 s0, exec_lo
	s_waitcnt lgkmcnt(0)
	buffer_gl0_inv
                                        ; implicit-def: $vgpr2
	v_cmpx_gt_u32_e32 18, v0
; %bb.34:
	v_add_nc_u32_e32 v2, 18, v0
	s_or_b32 s1, s1, exec_lo
                                        ; implicit-def: $vgpr6
; %bb.35:
	s_or_b32 exec_lo, exec_lo, s0
	v_mov_b32_e32 v3, v1
.LBB289_36:
	s_and_saveexec_b32 s0, s1
	s_cbranch_execz .LBB289_38
; %bb.37:
	v_lshlrev_b32_e32 v1, 2, v2
	ds_load_b32 v2, v3
	ds_load_b32 v1, v1
	s_waitcnt lgkmcnt(0)
	v_add_f32_e32 v6, v2, v1
.LBB289_38:
	s_or_b32 exec_lo, exec_lo, s0
	s_delay_alu instid0(SALU_CYCLE_1)
	s_mov_b32 s0, exec_lo
	v_cmpx_gt_u32_e32 18, v0
	s_cbranch_execz .LBB289_42
; %bb.39:
	v_cmp_eq_f32_e64 s0, s2, 0
	v_mul_f32_e32 v1, s10, v6
	s_delay_alu instid0(VALU_DEP_2)
	s_and_b32 vcc_lo, exec_lo, s0
	s_mov_b32 s0, 0
	s_cbranch_vccz .LBB289_43
; %bb.40:
	s_delay_alu instid0(VALU_DEP_1) | instskip(SKIP_1) | instid1(VALU_DEP_1)
	v_mad_u64_u32 v[2:3], null, s8, 18, v[0:1]
	v_mov_b32_e32 v3, 0
	v_lshlrev_b64 v[2:3], 2, v[2:3]
	s_delay_alu instid0(VALU_DEP_1) | instskip(NEXT) | instid1(VALU_DEP_2)
	v_add_co_u32 v2, vcc_lo, s12, v2
	v_add_co_ci_u32_e32 v3, vcc_lo, s13, v3, vcc_lo
	global_store_b32 v[2:3], v1, off
	s_and_not1_b32 vcc_lo, exec_lo, s0
	s_cbranch_vccnz .LBB289_42
.LBB289_41:
	v_mad_u64_u32 v[2:3], null, s8, 18, v[0:1]
	v_mov_b32_e32 v3, 0
	s_delay_alu instid0(VALU_DEP_1) | instskip(NEXT) | instid1(VALU_DEP_1)
	v_lshlrev_b64 v[2:3], 2, v[2:3]
	v_add_co_u32 v2, vcc_lo, s12, v2
	s_delay_alu instid0(VALU_DEP_2)
	v_add_co_ci_u32_e32 v3, vcc_lo, s13, v3, vcc_lo
	global_load_b32 v0, v[2:3], off
	s_waitcnt vmcnt(0)
	v_fmac_f32_e32 v1, s2, v0
	global_store_b32 v[2:3], v1, off
.LBB289_42:
	s_nop 0
	s_sendmsg sendmsg(MSG_DEALLOC_VGPRS)
	s_endpgm
.LBB289_43:
	s_branch .LBB289_41
	.section	.rodata,"a",@progbits
	.p2align	6, 0x0
	.amdhsa_kernel _ZN9rocsparseL20bsrxmvn_17_32_kernelILj18EfiiDF16_DF16_fEEvT2_20rocsparse_direction_NS_24const_host_device_scalarIT0_EES1_PKS1_PKT1_SA_S7_PKT3_PKT4_S5_PT5_21rocsparse_index_base_b
		.amdhsa_group_segment_fixed_size 1296
		.amdhsa_private_segment_fixed_size 0
		.amdhsa_kernarg_size 96
		.amdhsa_user_sgpr_count 15
		.amdhsa_user_sgpr_dispatch_ptr 0
		.amdhsa_user_sgpr_queue_ptr 0
		.amdhsa_user_sgpr_kernarg_segment_ptr 1
		.amdhsa_user_sgpr_dispatch_id 0
		.amdhsa_user_sgpr_private_segment_size 0
		.amdhsa_wavefront_size32 1
		.amdhsa_uses_dynamic_stack 0
		.amdhsa_enable_private_segment 0
		.amdhsa_system_sgpr_workgroup_id_x 1
		.amdhsa_system_sgpr_workgroup_id_y 0
		.amdhsa_system_sgpr_workgroup_id_z 0
		.amdhsa_system_sgpr_workgroup_info 0
		.amdhsa_system_vgpr_workitem_id 0
		.amdhsa_next_free_vgpr 10
		.amdhsa_next_free_sgpr 17
		.amdhsa_reserve_vcc 1
		.amdhsa_float_round_mode_32 0
		.amdhsa_float_round_mode_16_64 0
		.amdhsa_float_denorm_mode_32 3
		.amdhsa_float_denorm_mode_16_64 3
		.amdhsa_dx10_clamp 1
		.amdhsa_ieee_mode 1
		.amdhsa_fp16_overflow 0
		.amdhsa_workgroup_processor_mode 1
		.amdhsa_memory_ordered 1
		.amdhsa_forward_progress 0
		.amdhsa_shared_vgpr_count 0
		.amdhsa_exception_fp_ieee_invalid_op 0
		.amdhsa_exception_fp_denorm_src 0
		.amdhsa_exception_fp_ieee_div_zero 0
		.amdhsa_exception_fp_ieee_overflow 0
		.amdhsa_exception_fp_ieee_underflow 0
		.amdhsa_exception_fp_ieee_inexact 0
		.amdhsa_exception_int_div_zero 0
	.end_amdhsa_kernel
	.section	.text._ZN9rocsparseL20bsrxmvn_17_32_kernelILj18EfiiDF16_DF16_fEEvT2_20rocsparse_direction_NS_24const_host_device_scalarIT0_EES1_PKS1_PKT1_SA_S7_PKT3_PKT4_S5_PT5_21rocsparse_index_base_b,"axG",@progbits,_ZN9rocsparseL20bsrxmvn_17_32_kernelILj18EfiiDF16_DF16_fEEvT2_20rocsparse_direction_NS_24const_host_device_scalarIT0_EES1_PKS1_PKT1_SA_S7_PKT3_PKT4_S5_PT5_21rocsparse_index_base_b,comdat
.Lfunc_end289:
	.size	_ZN9rocsparseL20bsrxmvn_17_32_kernelILj18EfiiDF16_DF16_fEEvT2_20rocsparse_direction_NS_24const_host_device_scalarIT0_EES1_PKS1_PKT1_SA_S7_PKT3_PKT4_S5_PT5_21rocsparse_index_base_b, .Lfunc_end289-_ZN9rocsparseL20bsrxmvn_17_32_kernelILj18EfiiDF16_DF16_fEEvT2_20rocsparse_direction_NS_24const_host_device_scalarIT0_EES1_PKS1_PKT1_SA_S7_PKT3_PKT4_S5_PT5_21rocsparse_index_base_b
                                        ; -- End function
	.section	.AMDGPU.csdata,"",@progbits
; Kernel info:
; codeLenInByte = 1520
; NumSgprs: 19
; NumVgprs: 10
; ScratchSize: 0
; MemoryBound: 0
; FloatMode: 240
; IeeeMode: 1
; LDSByteSize: 1296 bytes/workgroup (compile time only)
; SGPRBlocks: 2
; VGPRBlocks: 1
; NumSGPRsForWavesPerEU: 19
; NumVGPRsForWavesPerEU: 10
; Occupancy: 14
; WaveLimiterHint : 1
; COMPUTE_PGM_RSRC2:SCRATCH_EN: 0
; COMPUTE_PGM_RSRC2:USER_SGPR: 15
; COMPUTE_PGM_RSRC2:TRAP_HANDLER: 0
; COMPUTE_PGM_RSRC2:TGID_X_EN: 1
; COMPUTE_PGM_RSRC2:TGID_Y_EN: 0
; COMPUTE_PGM_RSRC2:TGID_Z_EN: 0
; COMPUTE_PGM_RSRC2:TIDIG_COMP_CNT: 0
	.section	.text._ZN9rocsparseL20bsrxmvn_17_32_kernelILj19EfiiDF16_DF16_fEEvT2_20rocsparse_direction_NS_24const_host_device_scalarIT0_EES1_PKS1_PKT1_SA_S7_PKT3_PKT4_S5_PT5_21rocsparse_index_base_b,"axG",@progbits,_ZN9rocsparseL20bsrxmvn_17_32_kernelILj19EfiiDF16_DF16_fEEvT2_20rocsparse_direction_NS_24const_host_device_scalarIT0_EES1_PKS1_PKT1_SA_S7_PKT3_PKT4_S5_PT5_21rocsparse_index_base_b,comdat
	.globl	_ZN9rocsparseL20bsrxmvn_17_32_kernelILj19EfiiDF16_DF16_fEEvT2_20rocsparse_direction_NS_24const_host_device_scalarIT0_EES1_PKS1_PKT1_SA_S7_PKT3_PKT4_S5_PT5_21rocsparse_index_base_b ; -- Begin function _ZN9rocsparseL20bsrxmvn_17_32_kernelILj19EfiiDF16_DF16_fEEvT2_20rocsparse_direction_NS_24const_host_device_scalarIT0_EES1_PKS1_PKT1_SA_S7_PKT3_PKT4_S5_PT5_21rocsparse_index_base_b
	.p2align	8
	.type	_ZN9rocsparseL20bsrxmvn_17_32_kernelILj19EfiiDF16_DF16_fEEvT2_20rocsparse_direction_NS_24const_host_device_scalarIT0_EES1_PKS1_PKT1_SA_S7_PKT3_PKT4_S5_PT5_21rocsparse_index_base_b,@function
_ZN9rocsparseL20bsrxmvn_17_32_kernelILj19EfiiDF16_DF16_fEEvT2_20rocsparse_direction_NS_24const_host_device_scalarIT0_EES1_PKS1_PKT1_SA_S7_PKT3_PKT4_S5_PT5_21rocsparse_index_base_b: ; @_ZN9rocsparseL20bsrxmvn_17_32_kernelILj19EfiiDF16_DF16_fEEvT2_20rocsparse_direction_NS_24const_host_device_scalarIT0_EES1_PKS1_PKT1_SA_S7_PKT3_PKT4_S5_PT5_21rocsparse_index_base_b
; %bb.0:
	s_mov_b32 s8, s15
	s_clause 0x2
	s_load_b64 s[14:15], s[0:1], 0x58
	s_load_b64 s[10:11], s[0:1], 0x8
	;; [unrolled: 1-line block ×3, first 2 shown]
	s_waitcnt lgkmcnt(0)
	s_bitcmp1_b32 s15, 0
	s_cselect_b32 s4, -1, 0
	s_delay_alu instid0(SALU_CYCLE_1)
	s_and_b32 vcc_lo, exec_lo, s4
	s_xor_b32 s4, s4, -1
	s_cbranch_vccnz .LBB290_2
; %bb.1:
	s_load_b32 s10, s[10:11], 0x0
.LBB290_2:
	s_and_not1_b32 vcc_lo, exec_lo, s4
	s_cbranch_vccnz .LBB290_4
; %bb.3:
	s_load_b32 s2, s[2:3], 0x0
.LBB290_4:
	s_waitcnt lgkmcnt(0)
	v_cmp_neq_f32_e64 s3, s10, 0
	v_cmp_neq_f32_e64 s4, s2, 1.0
	s_delay_alu instid0(VALU_DEP_1) | instskip(NEXT) | instid1(SALU_CYCLE_1)
	s_or_b32 s3, s3, s4
	s_and_not1_b32 vcc_lo, exec_lo, s3
	s_cbranch_vccnz .LBB290_42
; %bb.5:
	s_clause 0x1
	s_load_b128 s[4:7], s[0:1], 0x18
	s_load_b64 s[12:13], s[0:1], 0x28
	s_waitcnt lgkmcnt(0)
	s_cmp_eq_u64 s[4:5], 0
	s_cbranch_scc1 .LBB290_7
; %bb.6:
	s_ashr_i32 s9, s8, 31
	s_delay_alu instid0(SALU_CYCLE_1) | instskip(NEXT) | instid1(SALU_CYCLE_1)
	s_lshl_b64 s[8:9], s[8:9], 2
	s_add_u32 s4, s4, s8
	s_addc_u32 s5, s5, s9
	s_load_b32 s3, s[4:5], 0x0
	s_waitcnt lgkmcnt(0)
	s_sub_i32 s8, s3, s14
.LBB290_7:
	s_load_b32 s3, s[0:1], 0x4
	v_mul_u32_u24_e32 v1, 0xd7a, v0
	v_mov_b32_e32 v6, 0
	s_delay_alu instid0(VALU_DEP_2) | instskip(NEXT) | instid1(VALU_DEP_1)
	v_lshrrev_b32_e32 v1, 16, v1
	v_mul_lo_u16 v2, v1, 19
	s_delay_alu instid0(VALU_DEP_1)
	v_sub_nc_u16 v7, v0, v2
	s_waitcnt lgkmcnt(0)
	s_cmp_eq_u32 s3, 1
	s_cselect_b32 vcc_lo, -1, 0
	s_cmp_lg_u32 s3, 1
	s_cselect_b32 s3, -1, 0
	s_ashr_i32 s9, s8, 31
	s_delay_alu instid0(SALU_CYCLE_1) | instskip(NEXT) | instid1(SALU_CYCLE_1)
	s_lshl_b64 s[4:5], s[8:9], 2
	s_add_u32 s6, s6, s4
	s_addc_u32 s7, s7, s5
	s_add_u32 s9, s6, 4
	s_addc_u32 s11, s7, 0
	;; [unrolled: 2-line block ×3, first 2 shown]
	s_cmp_eq_u64 s[12:13], 0
	s_load_b64 s[12:13], s[0:1], 0x50
	s_cselect_b32 s5, s11, s5
	s_cselect_b32 s4, s9, s4
	s_load_b32 s11, s[6:7], 0x0
	s_load_b32 s9, s[4:5], 0x0
	s_waitcnt lgkmcnt(0)
	s_cmp_ge_i32 s11, s9
	s_cbranch_scc1 .LBB290_12
; %bb.8:
	v_mul_lo_u16 v2, v1, 14
	s_clause 0x1
	s_load_b128 s[4:7], s[0:1], 0x30
	s_load_b64 s[0:1], s[0:1], 0x40
	v_and_b32_e32 v5, 0xffff, v0
	s_sub_i32 s11, s11, s14
	v_lshrrev_b16 v2, 8, v2
	v_lshlrev_b32_e32 v4, 1, v0
	s_mul_i32 s16, s11, 0x2d2
	s_sub_i32 s9, s9, s14
	v_dual_mov_b32 v6, 0 :: v_dual_and_b32 v3, 0xffff, v7
	v_mul_lo_u16 v2, v2, 19
	v_mul_u32_u24_e32 v5, 0xb6, v5
	s_mul_hi_i32 s15, s11, 0x2d2
	s_delay_alu instid0(VALU_DEP_2) | instskip(NEXT) | instid1(VALU_DEP_1)
	v_sub_nc_u16 v1, v1, v2
	v_and_b32_e32 v8, 0xff, v1
	s_waitcnt lgkmcnt(0)
	s_add_u32 s6, s6, s16
	s_addc_u32 s7, s7, s15
	v_add_co_u32 v1, s6, s6, v4
	s_delay_alu instid0(VALU_DEP_1)
	v_add_co_ci_u32_e64 v2, null, s7, 0, s6
	v_cndmask_b32_e32 v3, v3, v8, vcc_lo
	v_lshrrev_b32_e32 v8, 16, v5
	s_set_inst_prefetch_distance 0x1
	s_branch .LBB290_10
	.p2align	6
.LBB290_9:                              ;   in Loop: Header=BB290_10 Depth=1
	s_or_b32 exec_lo, exec_lo, s6
	s_add_i32 s11, s11, 1
	s_delay_alu instid0(SALU_CYCLE_1)
	s_cmp_lt_i32 s11, s9
	s_cbranch_scc0 .LBB290_12
.LBB290_10:                             ; =>This Inner Loop Header: Depth=1
	s_delay_alu instid0(VALU_DEP_1) | instskip(SKIP_1) | instid1(VALU_DEP_1)
	v_add_nc_u32_e32 v4, s11, v8
	s_mov_b32 s6, exec_lo
	v_cmpx_gt_i32_e64 s9, v4
	s_cbranch_execz .LBB290_9
; %bb.11:                               ;   in Loop: Header=BB290_10 Depth=1
	v_ashrrev_i32_e32 v5, 31, v4
	s_delay_alu instid0(VALU_DEP_1) | instskip(NEXT) | instid1(VALU_DEP_1)
	v_lshlrev_b64 v[4:5], 2, v[4:5]
	v_add_co_u32 v4, vcc_lo, s4, v4
	s_delay_alu instid0(VALU_DEP_2) | instskip(SKIP_3) | instid1(VALU_DEP_1)
	v_add_co_ci_u32_e32 v5, vcc_lo, s5, v5, vcc_lo
	global_load_b32 v4, v[4:5], off
	s_waitcnt vmcnt(0)
	v_subrev_nc_u32_e32 v9, s14, v4
	v_mad_u64_u32 v[4:5], null, v9, 19, v[3:4]
	s_delay_alu instid0(VALU_DEP_1) | instskip(NEXT) | instid1(VALU_DEP_1)
	v_ashrrev_i32_e32 v5, 31, v4
	v_lshlrev_b64 v[4:5], 1, v[4:5]
	s_delay_alu instid0(VALU_DEP_1) | instskip(NEXT) | instid1(VALU_DEP_2)
	v_add_co_u32 v4, vcc_lo, s0, v4
	v_add_co_ci_u32_e32 v5, vcc_lo, s1, v5, vcc_lo
	global_load_u16 v9, v[1:2], off
	global_load_u16 v4, v[4:5], off
	v_add_co_u32 v1, vcc_lo, 0x2d2, v1
	v_add_co_ci_u32_e32 v2, vcc_lo, 0, v2, vcc_lo
	s_waitcnt vmcnt(0)
	v_fma_mix_f32 v6, v9, v4, v6 op_sel_hi:[1,1,0]
	s_branch .LBB290_9
.LBB290_12:
	s_set_inst_prefetch_distance 0x2
	v_lshlrev_b32_e32 v1, 2, v0
	s_and_b32 vcc_lo, exec_lo, s3
	ds_store_b32 v1, v6
	s_waitcnt lgkmcnt(0)
	s_barrier
	buffer_gl0_inv
	s_cbranch_vccz .LBB290_24
; %bb.13:
	s_mov_b32 s0, exec_lo
	v_cmpx_gt_u16_e32 3, v7
	s_cbranch_execz .LBB290_15
; %bb.14:
	ds_load_2addr_b32 v[2:3], v1 offset1:16
	s_waitcnt lgkmcnt(0)
	v_add_f32_e32 v2, v3, v2
	ds_store_b32 v1, v2
.LBB290_15:
	s_or_b32 exec_lo, exec_lo, s0
	s_delay_alu instid0(SALU_CYCLE_1)
	s_mov_b32 s0, exec_lo
	s_waitcnt lgkmcnt(0)
	s_barrier
	buffer_gl0_inv
	v_cmpx_gt_u16_e32 8, v7
	s_cbranch_execz .LBB290_17
; %bb.16:
	ds_load_2addr_b32 v[2:3], v1 offset1:8
	s_waitcnt lgkmcnt(0)
	v_add_f32_e32 v2, v3, v2
	ds_store_b32 v1, v2
.LBB290_17:
	s_or_b32 exec_lo, exec_lo, s0
	s_delay_alu instid0(SALU_CYCLE_1)
	s_mov_b32 s0, exec_lo
	s_waitcnt lgkmcnt(0)
	s_barrier
	buffer_gl0_inv
	;; [unrolled: 14-line block ×3, first 2 shown]
	v_cmpx_gt_u16_e32 2, v7
	s_cbranch_execz .LBB290_21
; %bb.20:
	ds_load_2addr_b32 v[2:3], v1 offset1:2
	s_waitcnt lgkmcnt(0)
	v_add_f32_e32 v2, v3, v2
	ds_store_b32 v1, v2
.LBB290_21:
	s_or_b32 exec_lo, exec_lo, s0
	s_mov_b32 s1, 0
	s_mov_b32 s0, 0
	s_mov_b32 s3, exec_lo
	s_waitcnt lgkmcnt(0)
	s_barrier
	buffer_gl0_inv
                                        ; implicit-def: $vgpr2
                                        ; implicit-def: $vgpr3
	v_cmpx_gt_u32_e32 19, v0
	s_xor_b32 s3, exec_lo, s3
; %bb.22:
	v_mad_u32_u24 v2, v0, 19, 1
	v_mad_u32_u24 v3, 0x48, v0, v1
	s_mov_b32 s0, exec_lo
; %bb.23:
	s_or_b32 exec_lo, exec_lo, s3
	s_delay_alu instid0(SALU_CYCLE_1)
	s_and_b32 vcc_lo, exec_lo, s1
	s_cbranch_vccnz .LBB290_25
	s_branch .LBB290_36
.LBB290_24:
	s_mov_b32 s0, 0
                                        ; implicit-def: $vgpr2
                                        ; implicit-def: $vgpr3
	s_cbranch_execz .LBB290_36
.LBB290_25:
	s_mov_b32 s1, exec_lo
	v_cmpx_gt_u32_e32 57, v0
	s_cbranch_execz .LBB290_27
; %bb.26:
	ds_load_b32 v2, v1 offset:1216
	ds_load_b32 v3, v1
	s_waitcnt lgkmcnt(0)
	v_add_f32_e32 v2, v2, v3
	ds_store_b32 v1, v2
.LBB290_27:
	s_or_b32 exec_lo, exec_lo, s1
	s_delay_alu instid0(SALU_CYCLE_1)
	s_mov_b32 s1, exec_lo
	s_waitcnt lgkmcnt(0)
	s_barrier
	buffer_gl0_inv
	v_cmpx_gt_u32_e32 0x98, v0
	s_cbranch_execz .LBB290_29
; %bb.28:
	ds_load_2addr_b32 v[2:3], v1 offset1:152
	s_waitcnt lgkmcnt(0)
	v_add_f32_e32 v2, v3, v2
	ds_store_b32 v1, v2
.LBB290_29:
	s_or_b32 exec_lo, exec_lo, s1
	s_delay_alu instid0(SALU_CYCLE_1)
	s_mov_b32 s1, exec_lo
	s_waitcnt lgkmcnt(0)
	s_barrier
	buffer_gl0_inv
	v_cmpx_gt_u32_e32 0x4c, v0
	s_cbranch_execz .LBB290_31
; %bb.30:
	ds_load_2addr_b32 v[2:3], v1 offset1:76
	s_waitcnt lgkmcnt(0)
	v_add_f32_e32 v2, v3, v2
	ds_store_b32 v1, v2
.LBB290_31:
	;; [unrolled: 14-line block ×3, first 2 shown]
	s_or_b32 exec_lo, exec_lo, s1
	s_delay_alu instid0(SALU_CYCLE_1)
	s_mov_b32 s1, exec_lo
	s_waitcnt lgkmcnt(0)
	buffer_gl0_inv
                                        ; implicit-def: $vgpr2
	v_cmpx_gt_u32_e32 19, v0
; %bb.34:
	v_add_nc_u32_e32 v2, 19, v0
	s_or_b32 s0, s0, exec_lo
                                        ; implicit-def: $vgpr6
; %bb.35:
	s_or_b32 exec_lo, exec_lo, s1
	v_mov_b32_e32 v3, v1
.LBB290_36:
	s_and_saveexec_b32 s1, s0
	s_cbranch_execz .LBB290_38
; %bb.37:
	v_lshlrev_b32_e32 v1, 2, v2
	ds_load_b32 v2, v3
	ds_load_b32 v1, v1
	s_waitcnt lgkmcnt(0)
	v_add_f32_e32 v6, v2, v1
.LBB290_38:
	s_or_b32 exec_lo, exec_lo, s1
	s_delay_alu instid0(SALU_CYCLE_1)
	s_mov_b32 s0, exec_lo
	v_cmpx_gt_u32_e32 19, v0
	s_cbranch_execz .LBB290_42
; %bb.39:
	v_cmp_eq_f32_e64 s0, s2, 0
	v_mul_f32_e32 v1, s10, v6
	s_delay_alu instid0(VALU_DEP_2)
	s_and_b32 vcc_lo, exec_lo, s0
	s_mov_b32 s0, 0
	s_cbranch_vccz .LBB290_43
; %bb.40:
	s_delay_alu instid0(VALU_DEP_1) | instskip(SKIP_1) | instid1(VALU_DEP_1)
	v_mad_u64_u32 v[2:3], null, s8, 19, v[0:1]
	v_mov_b32_e32 v3, 0
	v_lshlrev_b64 v[2:3], 2, v[2:3]
	s_delay_alu instid0(VALU_DEP_1) | instskip(NEXT) | instid1(VALU_DEP_2)
	v_add_co_u32 v2, vcc_lo, s12, v2
	v_add_co_ci_u32_e32 v3, vcc_lo, s13, v3, vcc_lo
	global_store_b32 v[2:3], v1, off
	s_and_not1_b32 vcc_lo, exec_lo, s0
	s_cbranch_vccnz .LBB290_42
.LBB290_41:
	v_mad_u64_u32 v[2:3], null, s8, 19, v[0:1]
	v_mov_b32_e32 v3, 0
	s_delay_alu instid0(VALU_DEP_1) | instskip(NEXT) | instid1(VALU_DEP_1)
	v_lshlrev_b64 v[2:3], 2, v[2:3]
	v_add_co_u32 v2, vcc_lo, s12, v2
	s_delay_alu instid0(VALU_DEP_2)
	v_add_co_ci_u32_e32 v3, vcc_lo, s13, v3, vcc_lo
	global_load_b32 v0, v[2:3], off
	s_waitcnt vmcnt(0)
	v_fmac_f32_e32 v1, s2, v0
	global_store_b32 v[2:3], v1, off
.LBB290_42:
	s_nop 0
	s_sendmsg sendmsg(MSG_DEALLOC_VGPRS)
	s_endpgm
.LBB290_43:
	s_branch .LBB290_41
	.section	.rodata,"a",@progbits
	.p2align	6, 0x0
	.amdhsa_kernel _ZN9rocsparseL20bsrxmvn_17_32_kernelILj19EfiiDF16_DF16_fEEvT2_20rocsparse_direction_NS_24const_host_device_scalarIT0_EES1_PKS1_PKT1_SA_S7_PKT3_PKT4_S5_PT5_21rocsparse_index_base_b
		.amdhsa_group_segment_fixed_size 1444
		.amdhsa_private_segment_fixed_size 0
		.amdhsa_kernarg_size 96
		.amdhsa_user_sgpr_count 15
		.amdhsa_user_sgpr_dispatch_ptr 0
		.amdhsa_user_sgpr_queue_ptr 0
		.amdhsa_user_sgpr_kernarg_segment_ptr 1
		.amdhsa_user_sgpr_dispatch_id 0
		.amdhsa_user_sgpr_private_segment_size 0
		.amdhsa_wavefront_size32 1
		.amdhsa_uses_dynamic_stack 0
		.amdhsa_enable_private_segment 0
		.amdhsa_system_sgpr_workgroup_id_x 1
		.amdhsa_system_sgpr_workgroup_id_y 0
		.amdhsa_system_sgpr_workgroup_id_z 0
		.amdhsa_system_sgpr_workgroup_info 0
		.amdhsa_system_vgpr_workitem_id 0
		.amdhsa_next_free_vgpr 10
		.amdhsa_next_free_sgpr 17
		.amdhsa_reserve_vcc 1
		.amdhsa_float_round_mode_32 0
		.amdhsa_float_round_mode_16_64 0
		.amdhsa_float_denorm_mode_32 3
		.amdhsa_float_denorm_mode_16_64 3
		.amdhsa_dx10_clamp 1
		.amdhsa_ieee_mode 1
		.amdhsa_fp16_overflow 0
		.amdhsa_workgroup_processor_mode 1
		.amdhsa_memory_ordered 1
		.amdhsa_forward_progress 0
		.amdhsa_shared_vgpr_count 0
		.amdhsa_exception_fp_ieee_invalid_op 0
		.amdhsa_exception_fp_denorm_src 0
		.amdhsa_exception_fp_ieee_div_zero 0
		.amdhsa_exception_fp_ieee_overflow 0
		.amdhsa_exception_fp_ieee_underflow 0
		.amdhsa_exception_fp_ieee_inexact 0
		.amdhsa_exception_int_div_zero 0
	.end_amdhsa_kernel
	.section	.text._ZN9rocsparseL20bsrxmvn_17_32_kernelILj19EfiiDF16_DF16_fEEvT2_20rocsparse_direction_NS_24const_host_device_scalarIT0_EES1_PKS1_PKT1_SA_S7_PKT3_PKT4_S5_PT5_21rocsparse_index_base_b,"axG",@progbits,_ZN9rocsparseL20bsrxmvn_17_32_kernelILj19EfiiDF16_DF16_fEEvT2_20rocsparse_direction_NS_24const_host_device_scalarIT0_EES1_PKS1_PKT1_SA_S7_PKT3_PKT4_S5_PT5_21rocsparse_index_base_b,comdat
.Lfunc_end290:
	.size	_ZN9rocsparseL20bsrxmvn_17_32_kernelILj19EfiiDF16_DF16_fEEvT2_20rocsparse_direction_NS_24const_host_device_scalarIT0_EES1_PKS1_PKT1_SA_S7_PKT3_PKT4_S5_PT5_21rocsparse_index_base_b, .Lfunc_end290-_ZN9rocsparseL20bsrxmvn_17_32_kernelILj19EfiiDF16_DF16_fEEvT2_20rocsparse_direction_NS_24const_host_device_scalarIT0_EES1_PKS1_PKT1_SA_S7_PKT3_PKT4_S5_PT5_21rocsparse_index_base_b
                                        ; -- End function
	.section	.AMDGPU.csdata,"",@progbits
; Kernel info:
; codeLenInByte = 1532
; NumSgprs: 19
; NumVgprs: 10
; ScratchSize: 0
; MemoryBound: 0
; FloatMode: 240
; IeeeMode: 1
; LDSByteSize: 1444 bytes/workgroup (compile time only)
; SGPRBlocks: 2
; VGPRBlocks: 1
; NumSGPRsForWavesPerEU: 19
; NumVGPRsForWavesPerEU: 10
; Occupancy: 15
; WaveLimiterHint : 1
; COMPUTE_PGM_RSRC2:SCRATCH_EN: 0
; COMPUTE_PGM_RSRC2:USER_SGPR: 15
; COMPUTE_PGM_RSRC2:TRAP_HANDLER: 0
; COMPUTE_PGM_RSRC2:TGID_X_EN: 1
; COMPUTE_PGM_RSRC2:TGID_Y_EN: 0
; COMPUTE_PGM_RSRC2:TGID_Z_EN: 0
; COMPUTE_PGM_RSRC2:TIDIG_COMP_CNT: 0
	.section	.text._ZN9rocsparseL20bsrxmvn_17_32_kernelILj20EfiiDF16_DF16_fEEvT2_20rocsparse_direction_NS_24const_host_device_scalarIT0_EES1_PKS1_PKT1_SA_S7_PKT3_PKT4_S5_PT5_21rocsparse_index_base_b,"axG",@progbits,_ZN9rocsparseL20bsrxmvn_17_32_kernelILj20EfiiDF16_DF16_fEEvT2_20rocsparse_direction_NS_24const_host_device_scalarIT0_EES1_PKS1_PKT1_SA_S7_PKT3_PKT4_S5_PT5_21rocsparse_index_base_b,comdat
	.globl	_ZN9rocsparseL20bsrxmvn_17_32_kernelILj20EfiiDF16_DF16_fEEvT2_20rocsparse_direction_NS_24const_host_device_scalarIT0_EES1_PKS1_PKT1_SA_S7_PKT3_PKT4_S5_PT5_21rocsparse_index_base_b ; -- Begin function _ZN9rocsparseL20bsrxmvn_17_32_kernelILj20EfiiDF16_DF16_fEEvT2_20rocsparse_direction_NS_24const_host_device_scalarIT0_EES1_PKS1_PKT1_SA_S7_PKT3_PKT4_S5_PT5_21rocsparse_index_base_b
	.p2align	8
	.type	_ZN9rocsparseL20bsrxmvn_17_32_kernelILj20EfiiDF16_DF16_fEEvT2_20rocsparse_direction_NS_24const_host_device_scalarIT0_EES1_PKS1_PKT1_SA_S7_PKT3_PKT4_S5_PT5_21rocsparse_index_base_b,@function
_ZN9rocsparseL20bsrxmvn_17_32_kernelILj20EfiiDF16_DF16_fEEvT2_20rocsparse_direction_NS_24const_host_device_scalarIT0_EES1_PKS1_PKT1_SA_S7_PKT3_PKT4_S5_PT5_21rocsparse_index_base_b: ; @_ZN9rocsparseL20bsrxmvn_17_32_kernelILj20EfiiDF16_DF16_fEEvT2_20rocsparse_direction_NS_24const_host_device_scalarIT0_EES1_PKS1_PKT1_SA_S7_PKT3_PKT4_S5_PT5_21rocsparse_index_base_b
; %bb.0:
	s_mov_b32 s8, s15
	s_clause 0x2
	s_load_b64 s[14:15], s[0:1], 0x58
	s_load_b64 s[10:11], s[0:1], 0x8
	s_load_b64 s[2:3], s[0:1], 0x48
	s_waitcnt lgkmcnt(0)
	s_bitcmp1_b32 s15, 0
	s_cselect_b32 s4, -1, 0
	s_delay_alu instid0(SALU_CYCLE_1)
	s_and_b32 vcc_lo, exec_lo, s4
	s_xor_b32 s4, s4, -1
	s_cbranch_vccnz .LBB291_2
; %bb.1:
	s_load_b32 s10, s[10:11], 0x0
.LBB291_2:
	s_and_not1_b32 vcc_lo, exec_lo, s4
	s_cbranch_vccnz .LBB291_4
; %bb.3:
	s_load_b32 s2, s[2:3], 0x0
.LBB291_4:
	s_waitcnt lgkmcnt(0)
	v_cmp_neq_f32_e64 s3, s10, 0
	v_cmp_neq_f32_e64 s4, s2, 1.0
	s_delay_alu instid0(VALU_DEP_1) | instskip(NEXT) | instid1(SALU_CYCLE_1)
	s_or_b32 s3, s3, s4
	s_and_not1_b32 vcc_lo, exec_lo, s3
	s_cbranch_vccnz .LBB291_42
; %bb.5:
	s_clause 0x1
	s_load_b128 s[4:7], s[0:1], 0x18
	s_load_b64 s[12:13], s[0:1], 0x28
	s_waitcnt lgkmcnt(0)
	s_cmp_eq_u64 s[4:5], 0
	s_cbranch_scc1 .LBB291_7
; %bb.6:
	s_ashr_i32 s9, s8, 31
	s_delay_alu instid0(SALU_CYCLE_1) | instskip(NEXT) | instid1(SALU_CYCLE_1)
	s_lshl_b64 s[8:9], s[8:9], 2
	s_add_u32 s4, s4, s8
	s_addc_u32 s5, s5, s9
	s_load_b32 s3, s[4:5], 0x0
	s_waitcnt lgkmcnt(0)
	s_sub_i32 s8, s3, s14
.LBB291_7:
	s_load_b32 s3, s[0:1], 0x4
	v_mul_u32_u24_e32 v1, 0xccd, v0
	v_mov_b32_e32 v6, 0
	s_delay_alu instid0(VALU_DEP_2) | instskip(NEXT) | instid1(VALU_DEP_1)
	v_lshrrev_b32_e32 v1, 16, v1
	v_mul_lo_u16 v2, v1, 20
	s_delay_alu instid0(VALU_DEP_1)
	v_sub_nc_u16 v7, v0, v2
	s_waitcnt lgkmcnt(0)
	s_cmp_eq_u32 s3, 1
	s_cselect_b32 vcc_lo, -1, 0
	s_cmp_lg_u32 s3, 1
	s_cselect_b32 s3, -1, 0
	s_ashr_i32 s9, s8, 31
	s_delay_alu instid0(SALU_CYCLE_1) | instskip(NEXT) | instid1(SALU_CYCLE_1)
	s_lshl_b64 s[4:5], s[8:9], 2
	s_add_u32 s6, s6, s4
	s_addc_u32 s7, s7, s5
	s_add_u32 s9, s6, 4
	s_addc_u32 s11, s7, 0
	;; [unrolled: 2-line block ×3, first 2 shown]
	s_cmp_eq_u64 s[12:13], 0
	s_load_b64 s[12:13], s[0:1], 0x50
	s_cselect_b32 s5, s11, s5
	s_cselect_b32 s4, s9, s4
	s_load_b32 s11, s[6:7], 0x0
	s_load_b32 s9, s[4:5], 0x0
	s_waitcnt lgkmcnt(0)
	s_cmp_ge_i32 s11, s9
	s_cbranch_scc1 .LBB291_12
; %bb.8:
	v_mul_lo_u16 v2, v1, 13
	s_clause 0x1
	s_load_b128 s[4:7], s[0:1], 0x30
	s_load_b64 s[0:1], s[0:1], 0x40
	v_and_b32_e32 v5, 0xffff, v0
	s_sub_i32 s11, s11, s14
	v_lshrrev_b16 v2, 8, v2
	v_lshlrev_b32_e32 v4, 1, v0
	s_mul_i32 s16, s11, 0x320
	s_sub_i32 s9, s9, s14
	v_dual_mov_b32 v6, 0 :: v_dual_and_b32 v3, 0xffff, v7
	v_mul_lo_u16 v2, v2, 20
	v_mul_u32_u24_e32 v5, 0xa4, v5
	s_mul_hi_i32 s15, s11, 0x320
	s_delay_alu instid0(VALU_DEP_2) | instskip(NEXT) | instid1(VALU_DEP_1)
	v_sub_nc_u16 v1, v1, v2
	v_and_b32_e32 v8, 0xff, v1
	s_waitcnt lgkmcnt(0)
	s_add_u32 s6, s6, s16
	s_addc_u32 s7, s7, s15
	v_add_co_u32 v1, s6, s6, v4
	s_delay_alu instid0(VALU_DEP_1)
	v_add_co_ci_u32_e64 v2, null, s7, 0, s6
	v_cndmask_b32_e32 v3, v3, v8, vcc_lo
	v_lshrrev_b32_e32 v8, 16, v5
	s_set_inst_prefetch_distance 0x1
	s_branch .LBB291_10
	.p2align	6
.LBB291_9:                              ;   in Loop: Header=BB291_10 Depth=1
	s_or_b32 exec_lo, exec_lo, s6
	s_add_i32 s11, s11, 1
	s_delay_alu instid0(SALU_CYCLE_1)
	s_cmp_lt_i32 s11, s9
	s_cbranch_scc0 .LBB291_12
.LBB291_10:                             ; =>This Inner Loop Header: Depth=1
	s_delay_alu instid0(VALU_DEP_1) | instskip(SKIP_1) | instid1(VALU_DEP_1)
	v_add_nc_u32_e32 v4, s11, v8
	s_mov_b32 s6, exec_lo
	v_cmpx_gt_i32_e64 s9, v4
	s_cbranch_execz .LBB291_9
; %bb.11:                               ;   in Loop: Header=BB291_10 Depth=1
	v_ashrrev_i32_e32 v5, 31, v4
	s_delay_alu instid0(VALU_DEP_1) | instskip(NEXT) | instid1(VALU_DEP_1)
	v_lshlrev_b64 v[4:5], 2, v[4:5]
	v_add_co_u32 v4, vcc_lo, s4, v4
	s_delay_alu instid0(VALU_DEP_2) | instskip(SKIP_3) | instid1(VALU_DEP_1)
	v_add_co_ci_u32_e32 v5, vcc_lo, s5, v5, vcc_lo
	global_load_b32 v4, v[4:5], off
	s_waitcnt vmcnt(0)
	v_subrev_nc_u32_e32 v9, s14, v4
	v_mad_u64_u32 v[4:5], null, v9, 20, v[3:4]
	s_delay_alu instid0(VALU_DEP_1) | instskip(NEXT) | instid1(VALU_DEP_1)
	v_ashrrev_i32_e32 v5, 31, v4
	v_lshlrev_b64 v[4:5], 1, v[4:5]
	s_delay_alu instid0(VALU_DEP_1) | instskip(NEXT) | instid1(VALU_DEP_2)
	v_add_co_u32 v4, vcc_lo, s0, v4
	v_add_co_ci_u32_e32 v5, vcc_lo, s1, v5, vcc_lo
	global_load_u16 v9, v[1:2], off
	global_load_u16 v4, v[4:5], off
	v_add_co_u32 v1, vcc_lo, 0x320, v1
	v_add_co_ci_u32_e32 v2, vcc_lo, 0, v2, vcc_lo
	s_waitcnt vmcnt(0)
	v_fma_mix_f32 v6, v9, v4, v6 op_sel_hi:[1,1,0]
	s_branch .LBB291_9
.LBB291_12:
	s_set_inst_prefetch_distance 0x2
	v_lshlrev_b32_e32 v1, 2, v0
	s_and_b32 vcc_lo, exec_lo, s3
	ds_store_b32 v1, v6
	s_waitcnt lgkmcnt(0)
	s_barrier
	buffer_gl0_inv
	s_cbranch_vccz .LBB291_24
; %bb.13:
	v_cmp_gt_u16_e32 vcc_lo, 4, v7
	s_and_saveexec_b32 s0, vcc_lo
	s_cbranch_execz .LBB291_15
; %bb.14:
	ds_load_2addr_b32 v[2:3], v1 offset1:16
	s_waitcnt lgkmcnt(0)
	v_add_f32_e32 v2, v3, v2
	ds_store_b32 v1, v2
.LBB291_15:
	s_or_b32 exec_lo, exec_lo, s0
	s_delay_alu instid0(SALU_CYCLE_1)
	s_mov_b32 s1, exec_lo
	s_waitcnt lgkmcnt(0)
	s_barrier
	buffer_gl0_inv
	v_cmpx_gt_u16_e32 8, v7
	s_cbranch_execz .LBB291_17
; %bb.16:
	ds_load_2addr_b32 v[2:3], v1 offset1:8
	s_waitcnt lgkmcnt(0)
	v_add_f32_e32 v2, v3, v2
	ds_store_b32 v1, v2
.LBB291_17:
	s_or_b32 exec_lo, exec_lo, s1
	s_waitcnt lgkmcnt(0)
	s_barrier
	buffer_gl0_inv
	s_and_saveexec_b32 s0, vcc_lo
	s_cbranch_execz .LBB291_19
; %bb.18:
	ds_load_2addr_b32 v[2:3], v1 offset1:4
	s_waitcnt lgkmcnt(0)
	v_add_f32_e32 v2, v3, v2
	ds_store_b32 v1, v2
.LBB291_19:
	s_or_b32 exec_lo, exec_lo, s0
	s_delay_alu instid0(SALU_CYCLE_1)
	s_mov_b32 s0, exec_lo
	s_waitcnt lgkmcnt(0)
	s_barrier
	buffer_gl0_inv
	v_cmpx_gt_u16_e32 2, v7
	s_cbranch_execz .LBB291_21
; %bb.20:
	ds_load_2addr_b32 v[2:3], v1 offset1:2
	s_waitcnt lgkmcnt(0)
	v_add_f32_e32 v2, v3, v2
	ds_store_b32 v1, v2
.LBB291_21:
	s_or_b32 exec_lo, exec_lo, s0
	s_mov_b32 s0, 0
	s_mov_b32 s1, 0
	s_mov_b32 s3, exec_lo
	s_waitcnt lgkmcnt(0)
	s_barrier
	buffer_gl0_inv
                                        ; implicit-def: $vgpr2
                                        ; implicit-def: $vgpr3
	v_cmpx_gt_u32_e32 20, v0
	s_xor_b32 s3, exec_lo, s3
; %bb.22:
	v_mul_u32_u24_e32 v2, 20, v0
	v_mad_u32_u24 v3, 0x4c, v0, v1
	s_mov_b32 s1, exec_lo
	s_delay_alu instid0(VALU_DEP_2)
	v_or_b32_e32 v2, 1, v2
; %bb.23:
	s_or_b32 exec_lo, exec_lo, s3
	s_delay_alu instid0(SALU_CYCLE_1)
	s_and_b32 vcc_lo, exec_lo, s0
	s_cbranch_vccnz .LBB291_25
	s_branch .LBB291_36
.LBB291_24:
	s_mov_b32 s1, 0
                                        ; implicit-def: $vgpr2
                                        ; implicit-def: $vgpr3
	s_cbranch_execz .LBB291_36
.LBB291_25:
	v_cmp_gt_u32_e32 vcc_lo, 0x50, v0
	s_and_saveexec_b32 s0, vcc_lo
	s_cbranch_execz .LBB291_27
; %bb.26:
	ds_load_2addr_stride64_b32 v[2:3], v1 offset1:5
	s_waitcnt lgkmcnt(0)
	v_add_f32_e32 v2, v3, v2
	ds_store_b32 v1, v2
.LBB291_27:
	s_or_b32 exec_lo, exec_lo, s0
	s_delay_alu instid0(SALU_CYCLE_1)
	s_mov_b32 s3, exec_lo
	s_waitcnt lgkmcnt(0)
	s_barrier
	buffer_gl0_inv
	v_cmpx_gt_u32_e32 0xa0, v0
	s_cbranch_execz .LBB291_29
; %bb.28:
	ds_load_2addr_b32 v[2:3], v1 offset1:160
	s_waitcnt lgkmcnt(0)
	v_add_f32_e32 v2, v3, v2
	ds_store_b32 v1, v2
.LBB291_29:
	s_or_b32 exec_lo, exec_lo, s3
	s_waitcnt lgkmcnt(0)
	s_barrier
	buffer_gl0_inv
	s_and_saveexec_b32 s0, vcc_lo
	s_cbranch_execz .LBB291_31
; %bb.30:
	ds_load_2addr_b32 v[2:3], v1 offset1:80
	s_waitcnt lgkmcnt(0)
	v_add_f32_e32 v2, v3, v2
	ds_store_b32 v1, v2
.LBB291_31:
	s_or_b32 exec_lo, exec_lo, s0
	s_delay_alu instid0(SALU_CYCLE_1)
	s_mov_b32 s0, exec_lo
	s_waitcnt lgkmcnt(0)
	s_barrier
	buffer_gl0_inv
	v_cmpx_gt_u32_e32 40, v0
	s_cbranch_execz .LBB291_33
; %bb.32:
	ds_load_2addr_b32 v[2:3], v1 offset1:40
	s_waitcnt lgkmcnt(0)
	v_add_f32_e32 v2, v3, v2
	ds_store_b32 v1, v2
.LBB291_33:
	s_or_b32 exec_lo, exec_lo, s0
	s_delay_alu instid0(SALU_CYCLE_1)
	s_mov_b32 s0, exec_lo
	s_waitcnt lgkmcnt(0)
	buffer_gl0_inv
                                        ; implicit-def: $vgpr2
	v_cmpx_gt_u32_e32 20, v0
; %bb.34:
	v_add_nc_u32_e32 v2, 20, v0
	s_or_b32 s1, s1, exec_lo
                                        ; implicit-def: $vgpr6
; %bb.35:
	s_or_b32 exec_lo, exec_lo, s0
	v_mov_b32_e32 v3, v1
.LBB291_36:
	s_and_saveexec_b32 s0, s1
	s_cbranch_execz .LBB291_38
; %bb.37:
	v_lshlrev_b32_e32 v1, 2, v2
	ds_load_b32 v2, v3
	ds_load_b32 v1, v1
	s_waitcnt lgkmcnt(0)
	v_add_f32_e32 v6, v2, v1
.LBB291_38:
	s_or_b32 exec_lo, exec_lo, s0
	s_delay_alu instid0(SALU_CYCLE_1)
	s_mov_b32 s0, exec_lo
	v_cmpx_gt_u32_e32 20, v0
	s_cbranch_execz .LBB291_42
; %bb.39:
	v_cmp_eq_f32_e64 s0, s2, 0
	v_mul_f32_e32 v1, s10, v6
	s_delay_alu instid0(VALU_DEP_2)
	s_and_b32 vcc_lo, exec_lo, s0
	s_mov_b32 s0, 0
	s_cbranch_vccz .LBB291_43
; %bb.40:
	s_delay_alu instid0(VALU_DEP_1) | instskip(SKIP_1) | instid1(VALU_DEP_1)
	v_mad_u64_u32 v[2:3], null, s8, 20, v[0:1]
	v_mov_b32_e32 v3, 0
	v_lshlrev_b64 v[2:3], 2, v[2:3]
	s_delay_alu instid0(VALU_DEP_1) | instskip(NEXT) | instid1(VALU_DEP_2)
	v_add_co_u32 v2, vcc_lo, s12, v2
	v_add_co_ci_u32_e32 v3, vcc_lo, s13, v3, vcc_lo
	global_store_b32 v[2:3], v1, off
	s_and_not1_b32 vcc_lo, exec_lo, s0
	s_cbranch_vccnz .LBB291_42
.LBB291_41:
	v_mad_u64_u32 v[2:3], null, s8, 20, v[0:1]
	v_mov_b32_e32 v3, 0
	s_delay_alu instid0(VALU_DEP_1) | instskip(NEXT) | instid1(VALU_DEP_1)
	v_lshlrev_b64 v[2:3], 2, v[2:3]
	v_add_co_u32 v2, vcc_lo, s12, v2
	s_delay_alu instid0(VALU_DEP_2)
	v_add_co_ci_u32_e32 v3, vcc_lo, s13, v3, vcc_lo
	global_load_b32 v0, v[2:3], off
	s_waitcnt vmcnt(0)
	v_fmac_f32_e32 v1, s2, v0
	global_store_b32 v[2:3], v1, off
.LBB291_42:
	s_nop 0
	s_sendmsg sendmsg(MSG_DEALLOC_VGPRS)
	s_endpgm
.LBB291_43:
	s_branch .LBB291_41
	.section	.rodata,"a",@progbits
	.p2align	6, 0x0
	.amdhsa_kernel _ZN9rocsparseL20bsrxmvn_17_32_kernelILj20EfiiDF16_DF16_fEEvT2_20rocsparse_direction_NS_24const_host_device_scalarIT0_EES1_PKS1_PKT1_SA_S7_PKT3_PKT4_S5_PT5_21rocsparse_index_base_b
		.amdhsa_group_segment_fixed_size 1600
		.amdhsa_private_segment_fixed_size 0
		.amdhsa_kernarg_size 96
		.amdhsa_user_sgpr_count 15
		.amdhsa_user_sgpr_dispatch_ptr 0
		.amdhsa_user_sgpr_queue_ptr 0
		.amdhsa_user_sgpr_kernarg_segment_ptr 1
		.amdhsa_user_sgpr_dispatch_id 0
		.amdhsa_user_sgpr_private_segment_size 0
		.amdhsa_wavefront_size32 1
		.amdhsa_uses_dynamic_stack 0
		.amdhsa_enable_private_segment 0
		.amdhsa_system_sgpr_workgroup_id_x 1
		.amdhsa_system_sgpr_workgroup_id_y 0
		.amdhsa_system_sgpr_workgroup_id_z 0
		.amdhsa_system_sgpr_workgroup_info 0
		.amdhsa_system_vgpr_workitem_id 0
		.amdhsa_next_free_vgpr 10
		.amdhsa_next_free_sgpr 17
		.amdhsa_reserve_vcc 1
		.amdhsa_float_round_mode_32 0
		.amdhsa_float_round_mode_16_64 0
		.amdhsa_float_denorm_mode_32 3
		.amdhsa_float_denorm_mode_16_64 3
		.amdhsa_dx10_clamp 1
		.amdhsa_ieee_mode 1
		.amdhsa_fp16_overflow 0
		.amdhsa_workgroup_processor_mode 1
		.amdhsa_memory_ordered 1
		.amdhsa_forward_progress 0
		.amdhsa_shared_vgpr_count 0
		.amdhsa_exception_fp_ieee_invalid_op 0
		.amdhsa_exception_fp_denorm_src 0
		.amdhsa_exception_fp_ieee_div_zero 0
		.amdhsa_exception_fp_ieee_overflow 0
		.amdhsa_exception_fp_ieee_underflow 0
		.amdhsa_exception_fp_ieee_inexact 0
		.amdhsa_exception_int_div_zero 0
	.end_amdhsa_kernel
	.section	.text._ZN9rocsparseL20bsrxmvn_17_32_kernelILj20EfiiDF16_DF16_fEEvT2_20rocsparse_direction_NS_24const_host_device_scalarIT0_EES1_PKS1_PKT1_SA_S7_PKT3_PKT4_S5_PT5_21rocsparse_index_base_b,"axG",@progbits,_ZN9rocsparseL20bsrxmvn_17_32_kernelILj20EfiiDF16_DF16_fEEvT2_20rocsparse_direction_NS_24const_host_device_scalarIT0_EES1_PKS1_PKT1_SA_S7_PKT3_PKT4_S5_PT5_21rocsparse_index_base_b,comdat
.Lfunc_end291:
	.size	_ZN9rocsparseL20bsrxmvn_17_32_kernelILj20EfiiDF16_DF16_fEEvT2_20rocsparse_direction_NS_24const_host_device_scalarIT0_EES1_PKS1_PKT1_SA_S7_PKT3_PKT4_S5_PT5_21rocsparse_index_base_b, .Lfunc_end291-_ZN9rocsparseL20bsrxmvn_17_32_kernelILj20EfiiDF16_DF16_fEEvT2_20rocsparse_direction_NS_24const_host_device_scalarIT0_EES1_PKS1_PKT1_SA_S7_PKT3_PKT4_S5_PT5_21rocsparse_index_base_b
                                        ; -- End function
	.section	.AMDGPU.csdata,"",@progbits
; Kernel info:
; codeLenInByte = 1512
; NumSgprs: 19
; NumVgprs: 10
; ScratchSize: 0
; MemoryBound: 0
; FloatMode: 240
; IeeeMode: 1
; LDSByteSize: 1600 bytes/workgroup (compile time only)
; SGPRBlocks: 2
; VGPRBlocks: 1
; NumSGPRsForWavesPerEU: 19
; NumVGPRsForWavesPerEU: 10
; Occupancy: 13
; WaveLimiterHint : 1
; COMPUTE_PGM_RSRC2:SCRATCH_EN: 0
; COMPUTE_PGM_RSRC2:USER_SGPR: 15
; COMPUTE_PGM_RSRC2:TRAP_HANDLER: 0
; COMPUTE_PGM_RSRC2:TGID_X_EN: 1
; COMPUTE_PGM_RSRC2:TGID_Y_EN: 0
; COMPUTE_PGM_RSRC2:TGID_Z_EN: 0
; COMPUTE_PGM_RSRC2:TIDIG_COMP_CNT: 0
	.section	.text._ZN9rocsparseL20bsrxmvn_17_32_kernelILj21EfiiDF16_DF16_fEEvT2_20rocsparse_direction_NS_24const_host_device_scalarIT0_EES1_PKS1_PKT1_SA_S7_PKT3_PKT4_S5_PT5_21rocsparse_index_base_b,"axG",@progbits,_ZN9rocsparseL20bsrxmvn_17_32_kernelILj21EfiiDF16_DF16_fEEvT2_20rocsparse_direction_NS_24const_host_device_scalarIT0_EES1_PKS1_PKT1_SA_S7_PKT3_PKT4_S5_PT5_21rocsparse_index_base_b,comdat
	.globl	_ZN9rocsparseL20bsrxmvn_17_32_kernelILj21EfiiDF16_DF16_fEEvT2_20rocsparse_direction_NS_24const_host_device_scalarIT0_EES1_PKS1_PKT1_SA_S7_PKT3_PKT4_S5_PT5_21rocsparse_index_base_b ; -- Begin function _ZN9rocsparseL20bsrxmvn_17_32_kernelILj21EfiiDF16_DF16_fEEvT2_20rocsparse_direction_NS_24const_host_device_scalarIT0_EES1_PKS1_PKT1_SA_S7_PKT3_PKT4_S5_PT5_21rocsparse_index_base_b
	.p2align	8
	.type	_ZN9rocsparseL20bsrxmvn_17_32_kernelILj21EfiiDF16_DF16_fEEvT2_20rocsparse_direction_NS_24const_host_device_scalarIT0_EES1_PKS1_PKT1_SA_S7_PKT3_PKT4_S5_PT5_21rocsparse_index_base_b,@function
_ZN9rocsparseL20bsrxmvn_17_32_kernelILj21EfiiDF16_DF16_fEEvT2_20rocsparse_direction_NS_24const_host_device_scalarIT0_EES1_PKS1_PKT1_SA_S7_PKT3_PKT4_S5_PT5_21rocsparse_index_base_b: ; @_ZN9rocsparseL20bsrxmvn_17_32_kernelILj21EfiiDF16_DF16_fEEvT2_20rocsparse_direction_NS_24const_host_device_scalarIT0_EES1_PKS1_PKT1_SA_S7_PKT3_PKT4_S5_PT5_21rocsparse_index_base_b
; %bb.0:
	s_mov_b32 s8, s15
	s_clause 0x2
	s_load_b64 s[14:15], s[0:1], 0x58
	s_load_b64 s[10:11], s[0:1], 0x8
	;; [unrolled: 1-line block ×3, first 2 shown]
	s_waitcnt lgkmcnt(0)
	s_bitcmp1_b32 s15, 0
	s_cselect_b32 s4, -1, 0
	s_delay_alu instid0(SALU_CYCLE_1)
	s_and_b32 vcc_lo, exec_lo, s4
	s_xor_b32 s4, s4, -1
	s_cbranch_vccnz .LBB292_2
; %bb.1:
	s_load_b32 s10, s[10:11], 0x0
.LBB292_2:
	s_and_not1_b32 vcc_lo, exec_lo, s4
	s_cbranch_vccnz .LBB292_4
; %bb.3:
	s_load_b32 s2, s[2:3], 0x0
.LBB292_4:
	s_waitcnt lgkmcnt(0)
	v_cmp_neq_f32_e64 s3, s10, 0
	v_cmp_neq_f32_e64 s4, s2, 1.0
	s_delay_alu instid0(VALU_DEP_1) | instskip(NEXT) | instid1(SALU_CYCLE_1)
	s_or_b32 s3, s3, s4
	s_and_not1_b32 vcc_lo, exec_lo, s3
	s_cbranch_vccnz .LBB292_42
; %bb.5:
	s_clause 0x1
	s_load_b128 s[4:7], s[0:1], 0x18
	s_load_b64 s[12:13], s[0:1], 0x28
	s_waitcnt lgkmcnt(0)
	s_cmp_eq_u64 s[4:5], 0
	s_cbranch_scc1 .LBB292_7
; %bb.6:
	s_ashr_i32 s9, s8, 31
	s_delay_alu instid0(SALU_CYCLE_1) | instskip(NEXT) | instid1(SALU_CYCLE_1)
	s_lshl_b64 s[8:9], s[8:9], 2
	s_add_u32 s4, s4, s8
	s_addc_u32 s5, s5, s9
	s_load_b32 s3, s[4:5], 0x0
	s_waitcnt lgkmcnt(0)
	s_sub_i32 s8, s3, s14
.LBB292_7:
	s_load_b32 s3, s[0:1], 0x4
	v_mul_u32_u24_e32 v1, 0xc31, v0
	v_mov_b32_e32 v6, 0
	s_delay_alu instid0(VALU_DEP_2) | instskip(NEXT) | instid1(VALU_DEP_1)
	v_lshrrev_b32_e32 v1, 16, v1
	v_mul_lo_u16 v2, v1, 21
	s_delay_alu instid0(VALU_DEP_1)
	v_sub_nc_u16 v7, v0, v2
	s_waitcnt lgkmcnt(0)
	s_cmp_eq_u32 s3, 1
	s_cselect_b32 vcc_lo, -1, 0
	s_cmp_lg_u32 s3, 1
	s_cselect_b32 s3, -1, 0
	s_ashr_i32 s9, s8, 31
	s_delay_alu instid0(SALU_CYCLE_1) | instskip(NEXT) | instid1(SALU_CYCLE_1)
	s_lshl_b64 s[4:5], s[8:9], 2
	s_add_u32 s6, s6, s4
	s_addc_u32 s7, s7, s5
	s_add_u32 s9, s6, 4
	s_addc_u32 s11, s7, 0
	;; [unrolled: 2-line block ×3, first 2 shown]
	s_cmp_eq_u64 s[12:13], 0
	s_load_b64 s[12:13], s[0:1], 0x50
	s_cselect_b32 s5, s11, s5
	s_cselect_b32 s4, s9, s4
	s_load_b32 s11, s[6:7], 0x0
	s_load_b32 s9, s[4:5], 0x0
	s_waitcnt lgkmcnt(0)
	s_cmp_ge_i32 s11, s9
	s_cbranch_scc1 .LBB292_12
; %bb.8:
	v_mul_lo_u16 v2, v1, 25
	s_clause 0x1
	s_load_b128 s[4:7], s[0:1], 0x30
	s_load_b64 s[0:1], s[0:1], 0x40
	v_and_b32_e32 v5, 0xffff, v0
	s_sub_i32 s11, s11, s14
	v_lshrrev_b16 v2, 9, v2
	v_lshlrev_b32_e32 v4, 1, v0
	s_mul_i32 s16, s11, 0x372
	s_sub_i32 s9, s9, s14
	v_dual_mov_b32 v6, 0 :: v_dual_and_b32 v3, 0xffff, v7
	v_mul_lo_u16 v2, v2, 21
	v_mul_u32_u24_e32 v5, 0x253, v5
	s_mul_hi_i32 s15, s11, 0x372
	s_delay_alu instid0(VALU_DEP_2) | instskip(NEXT) | instid1(VALU_DEP_1)
	v_sub_nc_u16 v1, v1, v2
	v_and_b32_e32 v8, 0xff, v1
	s_waitcnt lgkmcnt(0)
	s_add_u32 s6, s6, s16
	s_addc_u32 s7, s7, s15
	v_add_co_u32 v1, s6, s6, v4
	s_delay_alu instid0(VALU_DEP_1)
	v_add_co_ci_u32_e64 v2, null, s7, 0, s6
	v_cndmask_b32_e32 v3, v3, v8, vcc_lo
	v_lshrrev_b32_e32 v8, 18, v5
	s_set_inst_prefetch_distance 0x1
	s_branch .LBB292_10
	.p2align	6
.LBB292_9:                              ;   in Loop: Header=BB292_10 Depth=1
	s_or_b32 exec_lo, exec_lo, s6
	s_add_i32 s11, s11, 1
	s_delay_alu instid0(SALU_CYCLE_1)
	s_cmp_lt_i32 s11, s9
	s_cbranch_scc0 .LBB292_12
.LBB292_10:                             ; =>This Inner Loop Header: Depth=1
	s_delay_alu instid0(VALU_DEP_1) | instskip(SKIP_1) | instid1(VALU_DEP_1)
	v_add_nc_u32_e32 v4, s11, v8
	s_mov_b32 s6, exec_lo
	v_cmpx_gt_i32_e64 s9, v4
	s_cbranch_execz .LBB292_9
; %bb.11:                               ;   in Loop: Header=BB292_10 Depth=1
	v_ashrrev_i32_e32 v5, 31, v4
	s_delay_alu instid0(VALU_DEP_1) | instskip(NEXT) | instid1(VALU_DEP_1)
	v_lshlrev_b64 v[4:5], 2, v[4:5]
	v_add_co_u32 v4, vcc_lo, s4, v4
	s_delay_alu instid0(VALU_DEP_2) | instskip(SKIP_3) | instid1(VALU_DEP_1)
	v_add_co_ci_u32_e32 v5, vcc_lo, s5, v5, vcc_lo
	global_load_b32 v4, v[4:5], off
	s_waitcnt vmcnt(0)
	v_subrev_nc_u32_e32 v9, s14, v4
	v_mad_u64_u32 v[4:5], null, v9, 21, v[3:4]
	s_delay_alu instid0(VALU_DEP_1) | instskip(NEXT) | instid1(VALU_DEP_1)
	v_ashrrev_i32_e32 v5, 31, v4
	v_lshlrev_b64 v[4:5], 1, v[4:5]
	s_delay_alu instid0(VALU_DEP_1) | instskip(NEXT) | instid1(VALU_DEP_2)
	v_add_co_u32 v4, vcc_lo, s0, v4
	v_add_co_ci_u32_e32 v5, vcc_lo, s1, v5, vcc_lo
	global_load_u16 v9, v[1:2], off
	global_load_u16 v4, v[4:5], off
	v_add_co_u32 v1, vcc_lo, 0x372, v1
	v_add_co_ci_u32_e32 v2, vcc_lo, 0, v2, vcc_lo
	s_waitcnt vmcnt(0)
	v_fma_mix_f32 v6, v9, v4, v6 op_sel_hi:[1,1,0]
	s_branch .LBB292_9
.LBB292_12:
	s_set_inst_prefetch_distance 0x2
	v_lshlrev_b32_e32 v1, 2, v0
	s_and_b32 vcc_lo, exec_lo, s3
	ds_store_b32 v1, v6
	s_waitcnt lgkmcnt(0)
	s_barrier
	buffer_gl0_inv
	s_cbranch_vccz .LBB292_24
; %bb.13:
	s_mov_b32 s0, exec_lo
	v_cmpx_gt_u16_e32 5, v7
	s_cbranch_execz .LBB292_15
; %bb.14:
	ds_load_2addr_b32 v[2:3], v1 offset1:16
	s_waitcnt lgkmcnt(0)
	v_add_f32_e32 v2, v3, v2
	ds_store_b32 v1, v2
.LBB292_15:
	s_or_b32 exec_lo, exec_lo, s0
	s_delay_alu instid0(SALU_CYCLE_1)
	s_mov_b32 s0, exec_lo
	s_waitcnt lgkmcnt(0)
	s_barrier
	buffer_gl0_inv
	v_cmpx_gt_u16_e32 8, v7
	s_cbranch_execz .LBB292_17
; %bb.16:
	ds_load_2addr_b32 v[2:3], v1 offset1:8
	s_waitcnt lgkmcnt(0)
	v_add_f32_e32 v2, v3, v2
	ds_store_b32 v1, v2
.LBB292_17:
	s_or_b32 exec_lo, exec_lo, s0
	s_delay_alu instid0(SALU_CYCLE_1)
	s_mov_b32 s0, exec_lo
	s_waitcnt lgkmcnt(0)
	s_barrier
	buffer_gl0_inv
	v_cmpx_gt_u16_e32 4, v7
	s_cbranch_execz .LBB292_19
; %bb.18:
	ds_load_2addr_b32 v[2:3], v1 offset1:4
	s_waitcnt lgkmcnt(0)
	v_add_f32_e32 v2, v3, v2
	ds_store_b32 v1, v2
.LBB292_19:
	s_or_b32 exec_lo, exec_lo, s0
	s_delay_alu instid0(SALU_CYCLE_1)
	s_mov_b32 s0, exec_lo
	s_waitcnt lgkmcnt(0)
	s_barrier
	buffer_gl0_inv
	v_cmpx_gt_u16_e32 2, v7
	s_cbranch_execz .LBB292_21
; %bb.20:
	ds_load_2addr_b32 v[2:3], v1 offset1:2
	s_waitcnt lgkmcnt(0)
	v_add_f32_e32 v2, v3, v2
	ds_store_b32 v1, v2
.LBB292_21:
	s_or_b32 exec_lo, exec_lo, s0
	s_mov_b32 s1, 0
	s_mov_b32 s0, 0
	s_mov_b32 s3, exec_lo
	s_waitcnt lgkmcnt(0)
	s_barrier
	buffer_gl0_inv
                                        ; implicit-def: $vgpr2
                                        ; implicit-def: $vgpr3
	v_cmpx_gt_u32_e32 21, v0
	s_xor_b32 s3, exec_lo, s3
; %bb.22:
	v_mad_u32_u24 v2, v0, 21, 1
	v_mad_u32_u24 v3, 0x50, v0, v1
	s_mov_b32 s0, exec_lo
; %bb.23:
	s_or_b32 exec_lo, exec_lo, s3
	s_delay_alu instid0(SALU_CYCLE_1)
	s_and_b32 vcc_lo, exec_lo, s1
	s_cbranch_vccnz .LBB292_25
	s_branch .LBB292_36
.LBB292_24:
	s_mov_b32 s0, 0
                                        ; implicit-def: $vgpr2
                                        ; implicit-def: $vgpr3
	s_cbranch_execz .LBB292_36
.LBB292_25:
	s_mov_b32 s1, exec_lo
	v_cmpx_gt_u32_e32 0x69, v0
	s_cbranch_execz .LBB292_27
; %bb.26:
	ds_load_b32 v2, v1 offset:1344
	ds_load_b32 v3, v1
	s_waitcnt lgkmcnt(0)
	v_add_f32_e32 v2, v2, v3
	ds_store_b32 v1, v2
.LBB292_27:
	s_or_b32 exec_lo, exec_lo, s1
	s_delay_alu instid0(SALU_CYCLE_1)
	s_mov_b32 s1, exec_lo
	s_waitcnt lgkmcnt(0)
	s_barrier
	buffer_gl0_inv
	v_cmpx_gt_u32_e32 0xa8, v0
	s_cbranch_execz .LBB292_29
; %bb.28:
	ds_load_2addr_b32 v[2:3], v1 offset1:168
	s_waitcnt lgkmcnt(0)
	v_add_f32_e32 v2, v3, v2
	ds_store_b32 v1, v2
.LBB292_29:
	s_or_b32 exec_lo, exec_lo, s1
	s_delay_alu instid0(SALU_CYCLE_1)
	s_mov_b32 s1, exec_lo
	s_waitcnt lgkmcnt(0)
	s_barrier
	buffer_gl0_inv
	v_cmpx_gt_u32_e32 0x54, v0
	s_cbranch_execz .LBB292_31
; %bb.30:
	ds_load_2addr_b32 v[2:3], v1 offset1:84
	s_waitcnt lgkmcnt(0)
	v_add_f32_e32 v2, v3, v2
	ds_store_b32 v1, v2
.LBB292_31:
	;; [unrolled: 14-line block ×3, first 2 shown]
	s_or_b32 exec_lo, exec_lo, s1
	s_delay_alu instid0(SALU_CYCLE_1)
	s_mov_b32 s1, exec_lo
	s_waitcnt lgkmcnt(0)
	buffer_gl0_inv
                                        ; implicit-def: $vgpr2
	v_cmpx_gt_u32_e32 21, v0
; %bb.34:
	v_add_nc_u32_e32 v2, 21, v0
	s_or_b32 s0, s0, exec_lo
                                        ; implicit-def: $vgpr6
; %bb.35:
	s_or_b32 exec_lo, exec_lo, s1
	v_mov_b32_e32 v3, v1
.LBB292_36:
	s_and_saveexec_b32 s1, s0
	s_cbranch_execz .LBB292_38
; %bb.37:
	v_lshlrev_b32_e32 v1, 2, v2
	ds_load_b32 v2, v3
	ds_load_b32 v1, v1
	s_waitcnt lgkmcnt(0)
	v_add_f32_e32 v6, v2, v1
.LBB292_38:
	s_or_b32 exec_lo, exec_lo, s1
	s_delay_alu instid0(SALU_CYCLE_1)
	s_mov_b32 s0, exec_lo
	v_cmpx_gt_u32_e32 21, v0
	s_cbranch_execz .LBB292_42
; %bb.39:
	v_cmp_eq_f32_e64 s0, s2, 0
	v_mul_f32_e32 v1, s10, v6
	s_delay_alu instid0(VALU_DEP_2)
	s_and_b32 vcc_lo, exec_lo, s0
	s_mov_b32 s0, 0
	s_cbranch_vccz .LBB292_43
; %bb.40:
	s_delay_alu instid0(VALU_DEP_1) | instskip(SKIP_1) | instid1(VALU_DEP_1)
	v_mad_u64_u32 v[2:3], null, s8, 21, v[0:1]
	v_mov_b32_e32 v3, 0
	v_lshlrev_b64 v[2:3], 2, v[2:3]
	s_delay_alu instid0(VALU_DEP_1) | instskip(NEXT) | instid1(VALU_DEP_2)
	v_add_co_u32 v2, vcc_lo, s12, v2
	v_add_co_ci_u32_e32 v3, vcc_lo, s13, v3, vcc_lo
	global_store_b32 v[2:3], v1, off
	s_and_not1_b32 vcc_lo, exec_lo, s0
	s_cbranch_vccnz .LBB292_42
.LBB292_41:
	v_mad_u64_u32 v[2:3], null, s8, 21, v[0:1]
	v_mov_b32_e32 v3, 0
	s_delay_alu instid0(VALU_DEP_1) | instskip(NEXT) | instid1(VALU_DEP_1)
	v_lshlrev_b64 v[2:3], 2, v[2:3]
	v_add_co_u32 v2, vcc_lo, s12, v2
	s_delay_alu instid0(VALU_DEP_2)
	v_add_co_ci_u32_e32 v3, vcc_lo, s13, v3, vcc_lo
	global_load_b32 v0, v[2:3], off
	s_waitcnt vmcnt(0)
	v_fmac_f32_e32 v1, s2, v0
	global_store_b32 v[2:3], v1, off
.LBB292_42:
	s_nop 0
	s_sendmsg sendmsg(MSG_DEALLOC_VGPRS)
	s_endpgm
.LBB292_43:
	s_branch .LBB292_41
	.section	.rodata,"a",@progbits
	.p2align	6, 0x0
	.amdhsa_kernel _ZN9rocsparseL20bsrxmvn_17_32_kernelILj21EfiiDF16_DF16_fEEvT2_20rocsparse_direction_NS_24const_host_device_scalarIT0_EES1_PKS1_PKT1_SA_S7_PKT3_PKT4_S5_PT5_21rocsparse_index_base_b
		.amdhsa_group_segment_fixed_size 1764
		.amdhsa_private_segment_fixed_size 0
		.amdhsa_kernarg_size 96
		.amdhsa_user_sgpr_count 15
		.amdhsa_user_sgpr_dispatch_ptr 0
		.amdhsa_user_sgpr_queue_ptr 0
		.amdhsa_user_sgpr_kernarg_segment_ptr 1
		.amdhsa_user_sgpr_dispatch_id 0
		.amdhsa_user_sgpr_private_segment_size 0
		.amdhsa_wavefront_size32 1
		.amdhsa_uses_dynamic_stack 0
		.amdhsa_enable_private_segment 0
		.amdhsa_system_sgpr_workgroup_id_x 1
		.amdhsa_system_sgpr_workgroup_id_y 0
		.amdhsa_system_sgpr_workgroup_id_z 0
		.amdhsa_system_sgpr_workgroup_info 0
		.amdhsa_system_vgpr_workitem_id 0
		.amdhsa_next_free_vgpr 10
		.amdhsa_next_free_sgpr 17
		.amdhsa_reserve_vcc 1
		.amdhsa_float_round_mode_32 0
		.amdhsa_float_round_mode_16_64 0
		.amdhsa_float_denorm_mode_32 3
		.amdhsa_float_denorm_mode_16_64 3
		.amdhsa_dx10_clamp 1
		.amdhsa_ieee_mode 1
		.amdhsa_fp16_overflow 0
		.amdhsa_workgroup_processor_mode 1
		.amdhsa_memory_ordered 1
		.amdhsa_forward_progress 0
		.amdhsa_shared_vgpr_count 0
		.amdhsa_exception_fp_ieee_invalid_op 0
		.amdhsa_exception_fp_denorm_src 0
		.amdhsa_exception_fp_ieee_div_zero 0
		.amdhsa_exception_fp_ieee_overflow 0
		.amdhsa_exception_fp_ieee_underflow 0
		.amdhsa_exception_fp_ieee_inexact 0
		.amdhsa_exception_int_div_zero 0
	.end_amdhsa_kernel
	.section	.text._ZN9rocsparseL20bsrxmvn_17_32_kernelILj21EfiiDF16_DF16_fEEvT2_20rocsparse_direction_NS_24const_host_device_scalarIT0_EES1_PKS1_PKT1_SA_S7_PKT3_PKT4_S5_PT5_21rocsparse_index_base_b,"axG",@progbits,_ZN9rocsparseL20bsrxmvn_17_32_kernelILj21EfiiDF16_DF16_fEEvT2_20rocsparse_direction_NS_24const_host_device_scalarIT0_EES1_PKS1_PKT1_SA_S7_PKT3_PKT4_S5_PT5_21rocsparse_index_base_b,comdat
.Lfunc_end292:
	.size	_ZN9rocsparseL20bsrxmvn_17_32_kernelILj21EfiiDF16_DF16_fEEvT2_20rocsparse_direction_NS_24const_host_device_scalarIT0_EES1_PKS1_PKT1_SA_S7_PKT3_PKT4_S5_PT5_21rocsparse_index_base_b, .Lfunc_end292-_ZN9rocsparseL20bsrxmvn_17_32_kernelILj21EfiiDF16_DF16_fEEvT2_20rocsparse_direction_NS_24const_host_device_scalarIT0_EES1_PKS1_PKT1_SA_S7_PKT3_PKT4_S5_PT5_21rocsparse_index_base_b
                                        ; -- End function
	.section	.AMDGPU.csdata,"",@progbits
; Kernel info:
; codeLenInByte = 1536
; NumSgprs: 19
; NumVgprs: 10
; ScratchSize: 0
; MemoryBound: 0
; FloatMode: 240
; IeeeMode: 1
; LDSByteSize: 1764 bytes/workgroup (compile time only)
; SGPRBlocks: 2
; VGPRBlocks: 1
; NumSGPRsForWavesPerEU: 19
; NumVGPRsForWavesPerEU: 10
; Occupancy: 14
; WaveLimiterHint : 1
; COMPUTE_PGM_RSRC2:SCRATCH_EN: 0
; COMPUTE_PGM_RSRC2:USER_SGPR: 15
; COMPUTE_PGM_RSRC2:TRAP_HANDLER: 0
; COMPUTE_PGM_RSRC2:TGID_X_EN: 1
; COMPUTE_PGM_RSRC2:TGID_Y_EN: 0
; COMPUTE_PGM_RSRC2:TGID_Z_EN: 0
; COMPUTE_PGM_RSRC2:TIDIG_COMP_CNT: 0
	.section	.text._ZN9rocsparseL20bsrxmvn_17_32_kernelILj22EfiiDF16_DF16_fEEvT2_20rocsparse_direction_NS_24const_host_device_scalarIT0_EES1_PKS1_PKT1_SA_S7_PKT3_PKT4_S5_PT5_21rocsparse_index_base_b,"axG",@progbits,_ZN9rocsparseL20bsrxmvn_17_32_kernelILj22EfiiDF16_DF16_fEEvT2_20rocsparse_direction_NS_24const_host_device_scalarIT0_EES1_PKS1_PKT1_SA_S7_PKT3_PKT4_S5_PT5_21rocsparse_index_base_b,comdat
	.globl	_ZN9rocsparseL20bsrxmvn_17_32_kernelILj22EfiiDF16_DF16_fEEvT2_20rocsparse_direction_NS_24const_host_device_scalarIT0_EES1_PKS1_PKT1_SA_S7_PKT3_PKT4_S5_PT5_21rocsparse_index_base_b ; -- Begin function _ZN9rocsparseL20bsrxmvn_17_32_kernelILj22EfiiDF16_DF16_fEEvT2_20rocsparse_direction_NS_24const_host_device_scalarIT0_EES1_PKS1_PKT1_SA_S7_PKT3_PKT4_S5_PT5_21rocsparse_index_base_b
	.p2align	8
	.type	_ZN9rocsparseL20bsrxmvn_17_32_kernelILj22EfiiDF16_DF16_fEEvT2_20rocsparse_direction_NS_24const_host_device_scalarIT0_EES1_PKS1_PKT1_SA_S7_PKT3_PKT4_S5_PT5_21rocsparse_index_base_b,@function
_ZN9rocsparseL20bsrxmvn_17_32_kernelILj22EfiiDF16_DF16_fEEvT2_20rocsparse_direction_NS_24const_host_device_scalarIT0_EES1_PKS1_PKT1_SA_S7_PKT3_PKT4_S5_PT5_21rocsparse_index_base_b: ; @_ZN9rocsparseL20bsrxmvn_17_32_kernelILj22EfiiDF16_DF16_fEEvT2_20rocsparse_direction_NS_24const_host_device_scalarIT0_EES1_PKS1_PKT1_SA_S7_PKT3_PKT4_S5_PT5_21rocsparse_index_base_b
; %bb.0:
	s_mov_b32 s8, s15
	s_clause 0x2
	s_load_b64 s[14:15], s[0:1], 0x58
	s_load_b64 s[10:11], s[0:1], 0x8
	;; [unrolled: 1-line block ×3, first 2 shown]
	s_waitcnt lgkmcnt(0)
	s_bitcmp1_b32 s15, 0
	s_cselect_b32 s4, -1, 0
	s_delay_alu instid0(SALU_CYCLE_1)
	s_and_b32 vcc_lo, exec_lo, s4
	s_xor_b32 s4, s4, -1
	s_cbranch_vccnz .LBB293_2
; %bb.1:
	s_load_b32 s10, s[10:11], 0x0
.LBB293_2:
	s_and_not1_b32 vcc_lo, exec_lo, s4
	s_cbranch_vccnz .LBB293_4
; %bb.3:
	s_load_b32 s2, s[2:3], 0x0
.LBB293_4:
	s_waitcnt lgkmcnt(0)
	v_cmp_neq_f32_e64 s3, s10, 0
	v_cmp_neq_f32_e64 s4, s2, 1.0
	s_delay_alu instid0(VALU_DEP_1) | instskip(NEXT) | instid1(SALU_CYCLE_1)
	s_or_b32 s3, s3, s4
	s_and_not1_b32 vcc_lo, exec_lo, s3
	s_cbranch_vccnz .LBB293_42
; %bb.5:
	s_clause 0x1
	s_load_b128 s[4:7], s[0:1], 0x18
	s_load_b64 s[12:13], s[0:1], 0x28
	s_waitcnt lgkmcnt(0)
	s_cmp_eq_u64 s[4:5], 0
	s_cbranch_scc1 .LBB293_7
; %bb.6:
	s_ashr_i32 s9, s8, 31
	s_delay_alu instid0(SALU_CYCLE_1) | instskip(NEXT) | instid1(SALU_CYCLE_1)
	s_lshl_b64 s[8:9], s[8:9], 2
	s_add_u32 s4, s4, s8
	s_addc_u32 s5, s5, s9
	s_load_b32 s3, s[4:5], 0x0
	s_waitcnt lgkmcnt(0)
	s_sub_i32 s8, s3, s14
.LBB293_7:
	s_load_b32 s3, s[0:1], 0x4
	v_mul_u32_u24_e32 v1, 0xba3, v0
	v_mov_b32_e32 v6, 0
	s_delay_alu instid0(VALU_DEP_2) | instskip(NEXT) | instid1(VALU_DEP_1)
	v_lshrrev_b32_e32 v1, 16, v1
	v_mul_lo_u16 v2, v1, 22
	s_delay_alu instid0(VALU_DEP_1)
	v_sub_nc_u16 v7, v0, v2
	s_waitcnt lgkmcnt(0)
	s_cmp_eq_u32 s3, 1
	s_cselect_b32 vcc_lo, -1, 0
	s_cmp_lg_u32 s3, 1
	s_cselect_b32 s3, -1, 0
	s_ashr_i32 s9, s8, 31
	s_delay_alu instid0(SALU_CYCLE_1) | instskip(NEXT) | instid1(SALU_CYCLE_1)
	s_lshl_b64 s[4:5], s[8:9], 2
	s_add_u32 s6, s6, s4
	s_addc_u32 s7, s7, s5
	s_add_u32 s9, s6, 4
	s_addc_u32 s11, s7, 0
	;; [unrolled: 2-line block ×3, first 2 shown]
	s_cmp_eq_u64 s[12:13], 0
	s_load_b64 s[12:13], s[0:1], 0x50
	s_cselect_b32 s5, s11, s5
	s_cselect_b32 s4, s9, s4
	s_load_b32 s11, s[6:7], 0x0
	s_load_b32 s9, s[4:5], 0x0
	s_waitcnt lgkmcnt(0)
	s_cmp_ge_i32 s11, s9
	s_cbranch_scc1 .LBB293_12
; %bb.8:
	v_mul_lo_u16 v2, v1, 12
	s_clause 0x1
	s_load_b128 s[4:7], s[0:1], 0x30
	s_load_b64 s[0:1], s[0:1], 0x40
	v_and_b32_e32 v5, 0xffff, v0
	s_sub_i32 s11, s11, s14
	v_lshrrev_b16 v2, 8, v2
	v_lshlrev_b32_e32 v4, 1, v0
	s_mul_i32 s16, s11, 0x3c8
	s_sub_i32 s9, s9, s14
	v_dual_mov_b32 v6, 0 :: v_dual_and_b32 v3, 0xffff, v7
	v_mul_lo_u16 v2, v2, 22
	v_mul_u32_u24_e32 v5, 0x10f, v5
	s_mul_hi_i32 s15, s11, 0x3c8
	s_delay_alu instid0(VALU_DEP_2) | instskip(NEXT) | instid1(VALU_DEP_1)
	v_sub_nc_u16 v1, v1, v2
	v_and_b32_e32 v8, 0xff, v1
	s_waitcnt lgkmcnt(0)
	s_add_u32 s6, s6, s16
	s_addc_u32 s7, s7, s15
	v_add_co_u32 v1, s6, s6, v4
	s_delay_alu instid0(VALU_DEP_1)
	v_add_co_ci_u32_e64 v2, null, s7, 0, s6
	v_cndmask_b32_e32 v3, v3, v8, vcc_lo
	v_lshrrev_b32_e32 v8, 17, v5
	s_set_inst_prefetch_distance 0x1
	s_branch .LBB293_10
	.p2align	6
.LBB293_9:                              ;   in Loop: Header=BB293_10 Depth=1
	s_or_b32 exec_lo, exec_lo, s6
	s_add_i32 s11, s11, 1
	s_delay_alu instid0(SALU_CYCLE_1)
	s_cmp_lt_i32 s11, s9
	s_cbranch_scc0 .LBB293_12
.LBB293_10:                             ; =>This Inner Loop Header: Depth=1
	s_delay_alu instid0(VALU_DEP_1) | instskip(SKIP_1) | instid1(VALU_DEP_1)
	v_add_nc_u32_e32 v4, s11, v8
	s_mov_b32 s6, exec_lo
	v_cmpx_gt_i32_e64 s9, v4
	s_cbranch_execz .LBB293_9
; %bb.11:                               ;   in Loop: Header=BB293_10 Depth=1
	v_ashrrev_i32_e32 v5, 31, v4
	s_delay_alu instid0(VALU_DEP_1) | instskip(NEXT) | instid1(VALU_DEP_1)
	v_lshlrev_b64 v[4:5], 2, v[4:5]
	v_add_co_u32 v4, vcc_lo, s4, v4
	s_delay_alu instid0(VALU_DEP_2) | instskip(SKIP_3) | instid1(VALU_DEP_1)
	v_add_co_ci_u32_e32 v5, vcc_lo, s5, v5, vcc_lo
	global_load_b32 v4, v[4:5], off
	s_waitcnt vmcnt(0)
	v_subrev_nc_u32_e32 v9, s14, v4
	v_mad_u64_u32 v[4:5], null, v9, 22, v[3:4]
	s_delay_alu instid0(VALU_DEP_1) | instskip(NEXT) | instid1(VALU_DEP_1)
	v_ashrrev_i32_e32 v5, 31, v4
	v_lshlrev_b64 v[4:5], 1, v[4:5]
	s_delay_alu instid0(VALU_DEP_1) | instskip(NEXT) | instid1(VALU_DEP_2)
	v_add_co_u32 v4, vcc_lo, s0, v4
	v_add_co_ci_u32_e32 v5, vcc_lo, s1, v5, vcc_lo
	global_load_u16 v9, v[1:2], off
	global_load_u16 v4, v[4:5], off
	v_add_co_u32 v1, vcc_lo, 0x3c8, v1
	v_add_co_ci_u32_e32 v2, vcc_lo, 0, v2, vcc_lo
	s_waitcnt vmcnt(0)
	v_fma_mix_f32 v6, v9, v4, v6 op_sel_hi:[1,1,0]
	s_branch .LBB293_9
.LBB293_12:
	s_set_inst_prefetch_distance 0x2
	v_lshlrev_b32_e32 v1, 2, v0
	s_and_b32 vcc_lo, exec_lo, s3
	ds_store_b32 v1, v6
	s_waitcnt lgkmcnt(0)
	s_barrier
	buffer_gl0_inv
	s_cbranch_vccz .LBB293_24
; %bb.13:
	s_mov_b32 s0, exec_lo
	v_cmpx_gt_u16_e32 6, v7
	s_cbranch_execz .LBB293_15
; %bb.14:
	ds_load_2addr_b32 v[2:3], v1 offset1:16
	s_waitcnt lgkmcnt(0)
	v_add_f32_e32 v2, v3, v2
	ds_store_b32 v1, v2
.LBB293_15:
	s_or_b32 exec_lo, exec_lo, s0
	s_delay_alu instid0(SALU_CYCLE_1)
	s_mov_b32 s0, exec_lo
	s_waitcnt lgkmcnt(0)
	s_barrier
	buffer_gl0_inv
	v_cmpx_gt_u16_e32 8, v7
	s_cbranch_execz .LBB293_17
; %bb.16:
	ds_load_2addr_b32 v[2:3], v1 offset1:8
	s_waitcnt lgkmcnt(0)
	v_add_f32_e32 v2, v3, v2
	ds_store_b32 v1, v2
.LBB293_17:
	s_or_b32 exec_lo, exec_lo, s0
	s_delay_alu instid0(SALU_CYCLE_1)
	s_mov_b32 s0, exec_lo
	s_waitcnt lgkmcnt(0)
	s_barrier
	buffer_gl0_inv
	;; [unrolled: 14-line block ×3, first 2 shown]
	v_cmpx_gt_u16_e32 2, v7
	s_cbranch_execz .LBB293_21
; %bb.20:
	ds_load_2addr_b32 v[2:3], v1 offset1:2
	s_waitcnt lgkmcnt(0)
	v_add_f32_e32 v2, v3, v2
	ds_store_b32 v1, v2
.LBB293_21:
	s_or_b32 exec_lo, exec_lo, s0
	s_mov_b32 s1, 0
	s_mov_b32 s0, 0
	s_mov_b32 s3, exec_lo
	s_waitcnt lgkmcnt(0)
	s_barrier
	buffer_gl0_inv
                                        ; implicit-def: $vgpr2
                                        ; implicit-def: $vgpr3
	v_cmpx_gt_u32_e32 22, v0
	s_xor_b32 s3, exec_lo, s3
; %bb.22:
	v_mul_u32_u24_e32 v2, 22, v0
	v_mad_u32_u24 v3, 0x54, v0, v1
	s_mov_b32 s0, exec_lo
	s_delay_alu instid0(VALU_DEP_2)
	v_or_b32_e32 v2, 1, v2
; %bb.23:
	s_or_b32 exec_lo, exec_lo, s3
	s_delay_alu instid0(SALU_CYCLE_1)
	s_and_b32 vcc_lo, exec_lo, s1
	s_cbranch_vccnz .LBB293_25
	s_branch .LBB293_36
.LBB293_24:
	s_mov_b32 s0, 0
                                        ; implicit-def: $vgpr2
                                        ; implicit-def: $vgpr3
	s_cbranch_execz .LBB293_36
.LBB293_25:
	s_mov_b32 s1, exec_lo
	v_cmpx_gt_u32_e32 0x84, v0
	s_cbranch_execz .LBB293_27
; %bb.26:
	ds_load_b32 v2, v1 offset:1408
	ds_load_b32 v3, v1
	s_waitcnt lgkmcnt(0)
	v_add_f32_e32 v2, v2, v3
	ds_store_b32 v1, v2
.LBB293_27:
	s_or_b32 exec_lo, exec_lo, s1
	s_delay_alu instid0(SALU_CYCLE_1)
	s_mov_b32 s1, exec_lo
	s_waitcnt lgkmcnt(0)
	s_barrier
	buffer_gl0_inv
	v_cmpx_gt_u32_e32 0xb0, v0
	s_cbranch_execz .LBB293_29
; %bb.28:
	ds_load_2addr_b32 v[2:3], v1 offset1:176
	s_waitcnt lgkmcnt(0)
	v_add_f32_e32 v2, v3, v2
	ds_store_b32 v1, v2
.LBB293_29:
	s_or_b32 exec_lo, exec_lo, s1
	s_delay_alu instid0(SALU_CYCLE_1)
	s_mov_b32 s1, exec_lo
	s_waitcnt lgkmcnt(0)
	s_barrier
	buffer_gl0_inv
	v_cmpx_gt_u32_e32 0x58, v0
	s_cbranch_execz .LBB293_31
; %bb.30:
	ds_load_2addr_b32 v[2:3], v1 offset1:88
	s_waitcnt lgkmcnt(0)
	v_add_f32_e32 v2, v3, v2
	ds_store_b32 v1, v2
.LBB293_31:
	;; [unrolled: 14-line block ×3, first 2 shown]
	s_or_b32 exec_lo, exec_lo, s1
	s_delay_alu instid0(SALU_CYCLE_1)
	s_mov_b32 s1, exec_lo
	s_waitcnt lgkmcnt(0)
	buffer_gl0_inv
                                        ; implicit-def: $vgpr2
	v_cmpx_gt_u32_e32 22, v0
; %bb.34:
	v_add_nc_u32_e32 v2, 22, v0
	s_or_b32 s0, s0, exec_lo
                                        ; implicit-def: $vgpr6
; %bb.35:
	s_or_b32 exec_lo, exec_lo, s1
	v_mov_b32_e32 v3, v1
.LBB293_36:
	s_and_saveexec_b32 s1, s0
	s_cbranch_execz .LBB293_38
; %bb.37:
	v_lshlrev_b32_e32 v1, 2, v2
	ds_load_b32 v2, v3
	ds_load_b32 v1, v1
	s_waitcnt lgkmcnt(0)
	v_add_f32_e32 v6, v2, v1
.LBB293_38:
	s_or_b32 exec_lo, exec_lo, s1
	s_delay_alu instid0(SALU_CYCLE_1)
	s_mov_b32 s0, exec_lo
	v_cmpx_gt_u32_e32 22, v0
	s_cbranch_execz .LBB293_42
; %bb.39:
	v_cmp_eq_f32_e64 s0, s2, 0
	v_mul_f32_e32 v1, s10, v6
	s_delay_alu instid0(VALU_DEP_2)
	s_and_b32 vcc_lo, exec_lo, s0
	s_mov_b32 s0, 0
	s_cbranch_vccz .LBB293_43
; %bb.40:
	s_delay_alu instid0(VALU_DEP_1) | instskip(SKIP_1) | instid1(VALU_DEP_1)
	v_mad_u64_u32 v[2:3], null, s8, 22, v[0:1]
	v_mov_b32_e32 v3, 0
	v_lshlrev_b64 v[2:3], 2, v[2:3]
	s_delay_alu instid0(VALU_DEP_1) | instskip(NEXT) | instid1(VALU_DEP_2)
	v_add_co_u32 v2, vcc_lo, s12, v2
	v_add_co_ci_u32_e32 v3, vcc_lo, s13, v3, vcc_lo
	global_store_b32 v[2:3], v1, off
	s_and_not1_b32 vcc_lo, exec_lo, s0
	s_cbranch_vccnz .LBB293_42
.LBB293_41:
	v_mad_u64_u32 v[2:3], null, s8, 22, v[0:1]
	v_mov_b32_e32 v3, 0
	s_delay_alu instid0(VALU_DEP_1) | instskip(NEXT) | instid1(VALU_DEP_1)
	v_lshlrev_b64 v[2:3], 2, v[2:3]
	v_add_co_u32 v2, vcc_lo, s12, v2
	s_delay_alu instid0(VALU_DEP_2)
	v_add_co_ci_u32_e32 v3, vcc_lo, s13, v3, vcc_lo
	global_load_b32 v0, v[2:3], off
	s_waitcnt vmcnt(0)
	v_fmac_f32_e32 v1, s2, v0
	global_store_b32 v[2:3], v1, off
.LBB293_42:
	s_nop 0
	s_sendmsg sendmsg(MSG_DEALLOC_VGPRS)
	s_endpgm
.LBB293_43:
	s_branch .LBB293_41
	.section	.rodata,"a",@progbits
	.p2align	6, 0x0
	.amdhsa_kernel _ZN9rocsparseL20bsrxmvn_17_32_kernelILj22EfiiDF16_DF16_fEEvT2_20rocsparse_direction_NS_24const_host_device_scalarIT0_EES1_PKS1_PKT1_SA_S7_PKT3_PKT4_S5_PT5_21rocsparse_index_base_b
		.amdhsa_group_segment_fixed_size 1936
		.amdhsa_private_segment_fixed_size 0
		.amdhsa_kernarg_size 96
		.amdhsa_user_sgpr_count 15
		.amdhsa_user_sgpr_dispatch_ptr 0
		.amdhsa_user_sgpr_queue_ptr 0
		.amdhsa_user_sgpr_kernarg_segment_ptr 1
		.amdhsa_user_sgpr_dispatch_id 0
		.amdhsa_user_sgpr_private_segment_size 0
		.amdhsa_wavefront_size32 1
		.amdhsa_uses_dynamic_stack 0
		.amdhsa_enable_private_segment 0
		.amdhsa_system_sgpr_workgroup_id_x 1
		.amdhsa_system_sgpr_workgroup_id_y 0
		.amdhsa_system_sgpr_workgroup_id_z 0
		.amdhsa_system_sgpr_workgroup_info 0
		.amdhsa_system_vgpr_workitem_id 0
		.amdhsa_next_free_vgpr 10
		.amdhsa_next_free_sgpr 17
		.amdhsa_reserve_vcc 1
		.amdhsa_float_round_mode_32 0
		.amdhsa_float_round_mode_16_64 0
		.amdhsa_float_denorm_mode_32 3
		.amdhsa_float_denorm_mode_16_64 3
		.amdhsa_dx10_clamp 1
		.amdhsa_ieee_mode 1
		.amdhsa_fp16_overflow 0
		.amdhsa_workgroup_processor_mode 1
		.amdhsa_memory_ordered 1
		.amdhsa_forward_progress 0
		.amdhsa_shared_vgpr_count 0
		.amdhsa_exception_fp_ieee_invalid_op 0
		.amdhsa_exception_fp_denorm_src 0
		.amdhsa_exception_fp_ieee_div_zero 0
		.amdhsa_exception_fp_ieee_overflow 0
		.amdhsa_exception_fp_ieee_underflow 0
		.amdhsa_exception_fp_ieee_inexact 0
		.amdhsa_exception_int_div_zero 0
	.end_amdhsa_kernel
	.section	.text._ZN9rocsparseL20bsrxmvn_17_32_kernelILj22EfiiDF16_DF16_fEEvT2_20rocsparse_direction_NS_24const_host_device_scalarIT0_EES1_PKS1_PKT1_SA_S7_PKT3_PKT4_S5_PT5_21rocsparse_index_base_b,"axG",@progbits,_ZN9rocsparseL20bsrxmvn_17_32_kernelILj22EfiiDF16_DF16_fEEvT2_20rocsparse_direction_NS_24const_host_device_scalarIT0_EES1_PKS1_PKT1_SA_S7_PKT3_PKT4_S5_PT5_21rocsparse_index_base_b,comdat
.Lfunc_end293:
	.size	_ZN9rocsparseL20bsrxmvn_17_32_kernelILj22EfiiDF16_DF16_fEEvT2_20rocsparse_direction_NS_24const_host_device_scalarIT0_EES1_PKS1_PKT1_SA_S7_PKT3_PKT4_S5_PT5_21rocsparse_index_base_b, .Lfunc_end293-_ZN9rocsparseL20bsrxmvn_17_32_kernelILj22EfiiDF16_DF16_fEEvT2_20rocsparse_direction_NS_24const_host_device_scalarIT0_EES1_PKS1_PKT1_SA_S7_PKT3_PKT4_S5_PT5_21rocsparse_index_base_b
                                        ; -- End function
	.section	.AMDGPU.csdata,"",@progbits
; Kernel info:
; codeLenInByte = 1540
; NumSgprs: 19
; NumVgprs: 10
; ScratchSize: 0
; MemoryBound: 0
; FloatMode: 240
; IeeeMode: 1
; LDSByteSize: 1936 bytes/workgroup (compile time only)
; SGPRBlocks: 2
; VGPRBlocks: 1
; NumSGPRsForWavesPerEU: 19
; NumVGPRsForWavesPerEU: 10
; Occupancy: 16
; WaveLimiterHint : 1
; COMPUTE_PGM_RSRC2:SCRATCH_EN: 0
; COMPUTE_PGM_RSRC2:USER_SGPR: 15
; COMPUTE_PGM_RSRC2:TRAP_HANDLER: 0
; COMPUTE_PGM_RSRC2:TGID_X_EN: 1
; COMPUTE_PGM_RSRC2:TGID_Y_EN: 0
; COMPUTE_PGM_RSRC2:TGID_Z_EN: 0
; COMPUTE_PGM_RSRC2:TIDIG_COMP_CNT: 0
	.section	.text._ZN9rocsparseL20bsrxmvn_17_32_kernelILj23EfiiDF16_DF16_fEEvT2_20rocsparse_direction_NS_24const_host_device_scalarIT0_EES1_PKS1_PKT1_SA_S7_PKT3_PKT4_S5_PT5_21rocsparse_index_base_b,"axG",@progbits,_ZN9rocsparseL20bsrxmvn_17_32_kernelILj23EfiiDF16_DF16_fEEvT2_20rocsparse_direction_NS_24const_host_device_scalarIT0_EES1_PKS1_PKT1_SA_S7_PKT3_PKT4_S5_PT5_21rocsparse_index_base_b,comdat
	.globl	_ZN9rocsparseL20bsrxmvn_17_32_kernelILj23EfiiDF16_DF16_fEEvT2_20rocsparse_direction_NS_24const_host_device_scalarIT0_EES1_PKS1_PKT1_SA_S7_PKT3_PKT4_S5_PT5_21rocsparse_index_base_b ; -- Begin function _ZN9rocsparseL20bsrxmvn_17_32_kernelILj23EfiiDF16_DF16_fEEvT2_20rocsparse_direction_NS_24const_host_device_scalarIT0_EES1_PKS1_PKT1_SA_S7_PKT3_PKT4_S5_PT5_21rocsparse_index_base_b
	.p2align	8
	.type	_ZN9rocsparseL20bsrxmvn_17_32_kernelILj23EfiiDF16_DF16_fEEvT2_20rocsparse_direction_NS_24const_host_device_scalarIT0_EES1_PKS1_PKT1_SA_S7_PKT3_PKT4_S5_PT5_21rocsparse_index_base_b,@function
_ZN9rocsparseL20bsrxmvn_17_32_kernelILj23EfiiDF16_DF16_fEEvT2_20rocsparse_direction_NS_24const_host_device_scalarIT0_EES1_PKS1_PKT1_SA_S7_PKT3_PKT4_S5_PT5_21rocsparse_index_base_b: ; @_ZN9rocsparseL20bsrxmvn_17_32_kernelILj23EfiiDF16_DF16_fEEvT2_20rocsparse_direction_NS_24const_host_device_scalarIT0_EES1_PKS1_PKT1_SA_S7_PKT3_PKT4_S5_PT5_21rocsparse_index_base_b
; %bb.0:
	s_mov_b32 s8, s15
	s_clause 0x2
	s_load_b64 s[14:15], s[0:1], 0x58
	s_load_b64 s[10:11], s[0:1], 0x8
	;; [unrolled: 1-line block ×3, first 2 shown]
	s_waitcnt lgkmcnt(0)
	s_bitcmp1_b32 s15, 0
	s_cselect_b32 s4, -1, 0
	s_delay_alu instid0(SALU_CYCLE_1)
	s_and_b32 vcc_lo, exec_lo, s4
	s_xor_b32 s4, s4, -1
	s_cbranch_vccnz .LBB294_2
; %bb.1:
	s_load_b32 s10, s[10:11], 0x0
.LBB294_2:
	s_and_not1_b32 vcc_lo, exec_lo, s4
	s_cbranch_vccnz .LBB294_4
; %bb.3:
	s_load_b32 s2, s[2:3], 0x0
.LBB294_4:
	s_waitcnt lgkmcnt(0)
	v_cmp_neq_f32_e64 s3, s10, 0
	v_cmp_neq_f32_e64 s4, s2, 1.0
	s_delay_alu instid0(VALU_DEP_1) | instskip(NEXT) | instid1(SALU_CYCLE_1)
	s_or_b32 s3, s3, s4
	s_and_not1_b32 vcc_lo, exec_lo, s3
	s_cbranch_vccnz .LBB294_42
; %bb.5:
	s_clause 0x1
	s_load_b128 s[4:7], s[0:1], 0x18
	s_load_b64 s[12:13], s[0:1], 0x28
	s_waitcnt lgkmcnt(0)
	s_cmp_eq_u64 s[4:5], 0
	s_cbranch_scc1 .LBB294_7
; %bb.6:
	s_ashr_i32 s9, s8, 31
	s_delay_alu instid0(SALU_CYCLE_1) | instskip(NEXT) | instid1(SALU_CYCLE_1)
	s_lshl_b64 s[8:9], s[8:9], 2
	s_add_u32 s4, s4, s8
	s_addc_u32 s5, s5, s9
	s_load_b32 s3, s[4:5], 0x0
	s_waitcnt lgkmcnt(0)
	s_sub_i32 s8, s3, s14
.LBB294_7:
	s_load_b32 s3, s[0:1], 0x4
	v_mul_u32_u24_e32 v1, 0xb22, v0
	v_mov_b32_e32 v6, 0
	s_delay_alu instid0(VALU_DEP_2) | instskip(NEXT) | instid1(VALU_DEP_1)
	v_lshrrev_b32_e32 v1, 16, v1
	v_mul_lo_u16 v2, v1, 23
	s_delay_alu instid0(VALU_DEP_1)
	v_sub_nc_u16 v7, v0, v2
	s_waitcnt lgkmcnt(0)
	s_cmp_eq_u32 s3, 1
	s_cselect_b32 vcc_lo, -1, 0
	s_cmp_lg_u32 s3, 1
	s_cselect_b32 s3, -1, 0
	s_ashr_i32 s9, s8, 31
	s_delay_alu instid0(SALU_CYCLE_1) | instskip(NEXT) | instid1(SALU_CYCLE_1)
	s_lshl_b64 s[4:5], s[8:9], 2
	s_add_u32 s6, s6, s4
	s_addc_u32 s7, s7, s5
	s_add_u32 s9, s6, 4
	s_addc_u32 s11, s7, 0
	;; [unrolled: 2-line block ×3, first 2 shown]
	s_cmp_eq_u64 s[12:13], 0
	s_load_b64 s[12:13], s[0:1], 0x50
	s_cselect_b32 s5, s11, s5
	s_cselect_b32 s4, s9, s4
	s_load_b32 s9, s[6:7], 0x0
	s_load_b32 s11, s[4:5], 0x0
	s_waitcnt lgkmcnt(0)
	s_cmp_ge_i32 s9, s11
	s_cbranch_scc1 .LBB294_12
; %bb.8:
	s_clause 0x1
	s_load_b128 s[4:7], s[0:1], 0x30
	s_load_b64 s[16:17], s[0:1], 0x40
	v_dual_mov_b32 v6, 0 :: v_dual_and_b32 v1, 0xffff, v1
	v_cmp_gt_u32_e64 s0, 0x211, v0
	v_and_b32_e32 v3, 0xffff, v7
	s_sub_i32 s9, s9, s14
	s_delay_alu instid0(VALU_DEP_3) | instskip(SKIP_2) | instid1(VALU_DEP_1)
	v_subrev_nc_u32_e32 v2, 23, v1
	s_sub_i32 s1, s11, s14
	s_mul_i32 s11, s9, 0x422
	v_cndmask_b32_e64 v1, v2, v1, s0
	v_lshlrev_b32_e32 v2, 1, v0
	s_mul_hi_i32 s0, s9, 0x422
	s_delay_alu instid0(VALU_DEP_2)
	v_cndmask_b32_e32 v1, v3, v1, vcc_lo
	v_cmp_lt_u32_e32 vcc_lo, 0x210, v0
	s_waitcnt lgkmcnt(0)
	s_add_u32 s6, s6, s11
	s_addc_u32 s0, s7, s0
	v_add_co_u32 v2, s6, s6, v2
	s_delay_alu instid0(VALU_DEP_1)
	v_add_co_ci_u32_e64 v3, null, s0, 0, s6
	v_cndmask_b32_e64 v8, 0, 1, vcc_lo
	s_set_inst_prefetch_distance 0x1
	s_branch .LBB294_10
	.p2align	6
.LBB294_9:                              ;   in Loop: Header=BB294_10 Depth=1
	s_or_b32 exec_lo, exec_lo, s0
	s_add_i32 s9, s9, 1
	s_delay_alu instid0(SALU_CYCLE_1)
	s_cmp_lt_i32 s9, s1
	s_cbranch_scc0 .LBB294_12
.LBB294_10:                             ; =>This Inner Loop Header: Depth=1
	s_delay_alu instid0(VALU_DEP_1) | instskip(SKIP_1) | instid1(VALU_DEP_1)
	v_add_nc_u32_e32 v4, s9, v8
	s_mov_b32 s0, exec_lo
	v_cmpx_gt_i32_e64 s1, v4
	s_cbranch_execz .LBB294_9
; %bb.11:                               ;   in Loop: Header=BB294_10 Depth=1
	v_ashrrev_i32_e32 v5, 31, v4
	s_delay_alu instid0(VALU_DEP_1) | instskip(NEXT) | instid1(VALU_DEP_1)
	v_lshlrev_b64 v[4:5], 2, v[4:5]
	v_add_co_u32 v4, vcc_lo, s4, v4
	s_delay_alu instid0(VALU_DEP_2) | instskip(SKIP_3) | instid1(VALU_DEP_1)
	v_add_co_ci_u32_e32 v5, vcc_lo, s5, v5, vcc_lo
	global_load_b32 v4, v[4:5], off
	s_waitcnt vmcnt(0)
	v_subrev_nc_u32_e32 v9, s14, v4
	v_mad_u64_u32 v[4:5], null, v9, 23, v[1:2]
	s_delay_alu instid0(VALU_DEP_1) | instskip(NEXT) | instid1(VALU_DEP_1)
	v_ashrrev_i32_e32 v5, 31, v4
	v_lshlrev_b64 v[4:5], 1, v[4:5]
	s_delay_alu instid0(VALU_DEP_1) | instskip(NEXT) | instid1(VALU_DEP_2)
	v_add_co_u32 v4, vcc_lo, s16, v4
	v_add_co_ci_u32_e32 v5, vcc_lo, s17, v5, vcc_lo
	global_load_u16 v9, v[2:3], off
	global_load_u16 v4, v[4:5], off
	v_add_co_u32 v2, vcc_lo, 0x422, v2
	v_add_co_ci_u32_e32 v3, vcc_lo, 0, v3, vcc_lo
	s_waitcnt vmcnt(0)
	v_fma_mix_f32 v6, v9, v4, v6 op_sel_hi:[1,1,0]
	s_branch .LBB294_9
.LBB294_12:
	s_set_inst_prefetch_distance 0x2
	v_lshlrev_b32_e32 v1, 2, v0
	s_and_b32 vcc_lo, exec_lo, s3
	ds_store_b32 v1, v6
	s_waitcnt lgkmcnt(0)
	s_barrier
	buffer_gl0_inv
	s_cbranch_vccz .LBB294_24
; %bb.13:
	s_mov_b32 s0, exec_lo
	v_cmpx_gt_u16_e32 7, v7
	s_cbranch_execz .LBB294_15
; %bb.14:
	ds_load_2addr_b32 v[2:3], v1 offset1:16
	s_waitcnt lgkmcnt(0)
	v_add_f32_e32 v2, v3, v2
	ds_store_b32 v1, v2
.LBB294_15:
	s_or_b32 exec_lo, exec_lo, s0
	s_delay_alu instid0(SALU_CYCLE_1)
	s_mov_b32 s0, exec_lo
	s_waitcnt lgkmcnt(0)
	s_barrier
	buffer_gl0_inv
	v_cmpx_gt_u16_e32 8, v7
	s_cbranch_execz .LBB294_17
; %bb.16:
	ds_load_2addr_b32 v[2:3], v1 offset1:8
	s_waitcnt lgkmcnt(0)
	v_add_f32_e32 v2, v3, v2
	ds_store_b32 v1, v2
.LBB294_17:
	s_or_b32 exec_lo, exec_lo, s0
	s_delay_alu instid0(SALU_CYCLE_1)
	s_mov_b32 s0, exec_lo
	s_waitcnt lgkmcnt(0)
	s_barrier
	buffer_gl0_inv
	;; [unrolled: 14-line block ×3, first 2 shown]
	v_cmpx_gt_u16_e32 2, v7
	s_cbranch_execz .LBB294_21
; %bb.20:
	ds_load_2addr_b32 v[2:3], v1 offset1:2
	s_waitcnt lgkmcnt(0)
	v_add_f32_e32 v2, v3, v2
	ds_store_b32 v1, v2
.LBB294_21:
	s_or_b32 exec_lo, exec_lo, s0
	s_mov_b32 s1, 0
	s_mov_b32 s0, 0
	s_mov_b32 s3, exec_lo
	s_waitcnt lgkmcnt(0)
	s_barrier
	buffer_gl0_inv
                                        ; implicit-def: $vgpr2
                                        ; implicit-def: $vgpr3
	v_cmpx_gt_u32_e32 23, v0
	s_xor_b32 s3, exec_lo, s3
; %bb.22:
	v_mad_u32_u24 v2, v0, 23, 1
	v_mad_u32_u24 v3, 0x58, v0, v1
	s_mov_b32 s0, exec_lo
; %bb.23:
	s_or_b32 exec_lo, exec_lo, s3
	s_delay_alu instid0(SALU_CYCLE_1)
	s_and_b32 vcc_lo, exec_lo, s1
	s_cbranch_vccnz .LBB294_25
	s_branch .LBB294_36
.LBB294_24:
	s_mov_b32 s0, 0
                                        ; implicit-def: $vgpr2
                                        ; implicit-def: $vgpr3
	s_cbranch_execz .LBB294_36
.LBB294_25:
	s_mov_b32 s1, exec_lo
	v_cmpx_gt_u32_e32 0xa1, v0
	s_cbranch_execz .LBB294_27
; %bb.26:
	ds_load_b32 v2, v1 offset:1472
	ds_load_b32 v3, v1
	s_waitcnt lgkmcnt(0)
	v_add_f32_e32 v2, v2, v3
	ds_store_b32 v1, v2
.LBB294_27:
	s_or_b32 exec_lo, exec_lo, s1
	s_delay_alu instid0(SALU_CYCLE_1)
	s_mov_b32 s1, exec_lo
	s_waitcnt lgkmcnt(0)
	s_barrier
	buffer_gl0_inv
	v_cmpx_gt_u32_e32 0xb8, v0
	s_cbranch_execz .LBB294_29
; %bb.28:
	ds_load_2addr_b32 v[2:3], v1 offset1:184
	s_waitcnt lgkmcnt(0)
	v_add_f32_e32 v2, v3, v2
	ds_store_b32 v1, v2
.LBB294_29:
	s_or_b32 exec_lo, exec_lo, s1
	s_delay_alu instid0(SALU_CYCLE_1)
	s_mov_b32 s1, exec_lo
	s_waitcnt lgkmcnt(0)
	s_barrier
	buffer_gl0_inv
	v_cmpx_gt_u32_e32 0x5c, v0
	s_cbranch_execz .LBB294_31
; %bb.30:
	ds_load_2addr_b32 v[2:3], v1 offset1:92
	s_waitcnt lgkmcnt(0)
	v_add_f32_e32 v2, v3, v2
	ds_store_b32 v1, v2
.LBB294_31:
	s_or_b32 exec_lo, exec_lo, s1
	s_delay_alu instid0(SALU_CYCLE_1)
	s_mov_b32 s1, exec_lo
	s_waitcnt lgkmcnt(0)
	s_barrier
	buffer_gl0_inv
	v_cmpx_gt_u32_e32 46, v0
	s_cbranch_execz .LBB294_33
; %bb.32:
	ds_load_2addr_b32 v[2:3], v1 offset1:46
	s_waitcnt lgkmcnt(0)
	v_add_f32_e32 v2, v3, v2
	ds_store_b32 v1, v2
.LBB294_33:
	s_or_b32 exec_lo, exec_lo, s1
	s_delay_alu instid0(SALU_CYCLE_1)
	s_mov_b32 s1, exec_lo
	s_waitcnt lgkmcnt(0)
	buffer_gl0_inv
                                        ; implicit-def: $vgpr2
	v_cmpx_gt_u32_e32 23, v0
; %bb.34:
	v_add_nc_u32_e32 v2, 23, v0
	s_or_b32 s0, s0, exec_lo
                                        ; implicit-def: $vgpr6
; %bb.35:
	s_or_b32 exec_lo, exec_lo, s1
	v_mov_b32_e32 v3, v1
.LBB294_36:
	s_and_saveexec_b32 s1, s0
	s_cbranch_execz .LBB294_38
; %bb.37:
	v_lshlrev_b32_e32 v1, 2, v2
	ds_load_b32 v2, v3
	ds_load_b32 v1, v1
	s_waitcnt lgkmcnt(0)
	v_add_f32_e32 v6, v2, v1
.LBB294_38:
	s_or_b32 exec_lo, exec_lo, s1
	s_delay_alu instid0(SALU_CYCLE_1)
	s_mov_b32 s0, exec_lo
	v_cmpx_gt_u32_e32 23, v0
	s_cbranch_execz .LBB294_42
; %bb.39:
	v_cmp_eq_f32_e64 s0, s2, 0
	v_mul_f32_e32 v1, s10, v6
	s_delay_alu instid0(VALU_DEP_2)
	s_and_b32 vcc_lo, exec_lo, s0
	s_mov_b32 s0, 0
	s_cbranch_vccz .LBB294_43
; %bb.40:
	s_delay_alu instid0(VALU_DEP_1) | instskip(SKIP_1) | instid1(VALU_DEP_1)
	v_mad_u64_u32 v[2:3], null, s8, 23, v[0:1]
	v_mov_b32_e32 v3, 0
	v_lshlrev_b64 v[2:3], 2, v[2:3]
	s_delay_alu instid0(VALU_DEP_1) | instskip(NEXT) | instid1(VALU_DEP_2)
	v_add_co_u32 v2, vcc_lo, s12, v2
	v_add_co_ci_u32_e32 v3, vcc_lo, s13, v3, vcc_lo
	global_store_b32 v[2:3], v1, off
	s_and_not1_b32 vcc_lo, exec_lo, s0
	s_cbranch_vccnz .LBB294_42
.LBB294_41:
	v_mad_u64_u32 v[2:3], null, s8, 23, v[0:1]
	v_mov_b32_e32 v3, 0
	s_delay_alu instid0(VALU_DEP_1) | instskip(NEXT) | instid1(VALU_DEP_1)
	v_lshlrev_b64 v[2:3], 2, v[2:3]
	v_add_co_u32 v2, vcc_lo, s12, v2
	s_delay_alu instid0(VALU_DEP_2)
	v_add_co_ci_u32_e32 v3, vcc_lo, s13, v3, vcc_lo
	global_load_b32 v0, v[2:3], off
	s_waitcnt vmcnt(0)
	v_fmac_f32_e32 v1, s2, v0
	global_store_b32 v[2:3], v1, off
.LBB294_42:
	s_nop 0
	s_sendmsg sendmsg(MSG_DEALLOC_VGPRS)
	s_endpgm
.LBB294_43:
	s_branch .LBB294_41
	.section	.rodata,"a",@progbits
	.p2align	6, 0x0
	.amdhsa_kernel _ZN9rocsparseL20bsrxmvn_17_32_kernelILj23EfiiDF16_DF16_fEEvT2_20rocsparse_direction_NS_24const_host_device_scalarIT0_EES1_PKS1_PKT1_SA_S7_PKT3_PKT4_S5_PT5_21rocsparse_index_base_b
		.amdhsa_group_segment_fixed_size 2116
		.amdhsa_private_segment_fixed_size 0
		.amdhsa_kernarg_size 96
		.amdhsa_user_sgpr_count 15
		.amdhsa_user_sgpr_dispatch_ptr 0
		.amdhsa_user_sgpr_queue_ptr 0
		.amdhsa_user_sgpr_kernarg_segment_ptr 1
		.amdhsa_user_sgpr_dispatch_id 0
		.amdhsa_user_sgpr_private_segment_size 0
		.amdhsa_wavefront_size32 1
		.amdhsa_uses_dynamic_stack 0
		.amdhsa_enable_private_segment 0
		.amdhsa_system_sgpr_workgroup_id_x 1
		.amdhsa_system_sgpr_workgroup_id_y 0
		.amdhsa_system_sgpr_workgroup_id_z 0
		.amdhsa_system_sgpr_workgroup_info 0
		.amdhsa_system_vgpr_workitem_id 0
		.amdhsa_next_free_vgpr 10
		.amdhsa_next_free_sgpr 18
		.amdhsa_reserve_vcc 1
		.amdhsa_float_round_mode_32 0
		.amdhsa_float_round_mode_16_64 0
		.amdhsa_float_denorm_mode_32 3
		.amdhsa_float_denorm_mode_16_64 3
		.amdhsa_dx10_clamp 1
		.amdhsa_ieee_mode 1
		.amdhsa_fp16_overflow 0
		.amdhsa_workgroup_processor_mode 1
		.amdhsa_memory_ordered 1
		.amdhsa_forward_progress 0
		.amdhsa_shared_vgpr_count 0
		.amdhsa_exception_fp_ieee_invalid_op 0
		.amdhsa_exception_fp_denorm_src 0
		.amdhsa_exception_fp_ieee_div_zero 0
		.amdhsa_exception_fp_ieee_overflow 0
		.amdhsa_exception_fp_ieee_underflow 0
		.amdhsa_exception_fp_ieee_inexact 0
		.amdhsa_exception_int_div_zero 0
	.end_amdhsa_kernel
	.section	.text._ZN9rocsparseL20bsrxmvn_17_32_kernelILj23EfiiDF16_DF16_fEEvT2_20rocsparse_direction_NS_24const_host_device_scalarIT0_EES1_PKS1_PKT1_SA_S7_PKT3_PKT4_S5_PT5_21rocsparse_index_base_b,"axG",@progbits,_ZN9rocsparseL20bsrxmvn_17_32_kernelILj23EfiiDF16_DF16_fEEvT2_20rocsparse_direction_NS_24const_host_device_scalarIT0_EES1_PKS1_PKT1_SA_S7_PKT3_PKT4_S5_PT5_21rocsparse_index_base_b,comdat
.Lfunc_end294:
	.size	_ZN9rocsparseL20bsrxmvn_17_32_kernelILj23EfiiDF16_DF16_fEEvT2_20rocsparse_direction_NS_24const_host_device_scalarIT0_EES1_PKS1_PKT1_SA_S7_PKT3_PKT4_S5_PT5_21rocsparse_index_base_b, .Lfunc_end294-_ZN9rocsparseL20bsrxmvn_17_32_kernelILj23EfiiDF16_DF16_fEEvT2_20rocsparse_direction_NS_24const_host_device_scalarIT0_EES1_PKS1_PKT1_SA_S7_PKT3_PKT4_S5_PT5_21rocsparse_index_base_b
                                        ; -- End function
	.section	.AMDGPU.csdata,"",@progbits
; Kernel info:
; codeLenInByte = 1528
; NumSgprs: 20
; NumVgprs: 10
; ScratchSize: 0
; MemoryBound: 0
; FloatMode: 240
; IeeeMode: 1
; LDSByteSize: 2116 bytes/workgroup (compile time only)
; SGPRBlocks: 2
; VGPRBlocks: 1
; NumSGPRsForWavesPerEU: 20
; NumVGPRsForWavesPerEU: 10
; Occupancy: 13
; WaveLimiterHint : 1
; COMPUTE_PGM_RSRC2:SCRATCH_EN: 0
; COMPUTE_PGM_RSRC2:USER_SGPR: 15
; COMPUTE_PGM_RSRC2:TRAP_HANDLER: 0
; COMPUTE_PGM_RSRC2:TGID_X_EN: 1
; COMPUTE_PGM_RSRC2:TGID_Y_EN: 0
; COMPUTE_PGM_RSRC2:TGID_Z_EN: 0
; COMPUTE_PGM_RSRC2:TIDIG_COMP_CNT: 0
	.section	.text._ZN9rocsparseL20bsrxmvn_17_32_kernelILj24EfiiDF16_DF16_fEEvT2_20rocsparse_direction_NS_24const_host_device_scalarIT0_EES1_PKS1_PKT1_SA_S7_PKT3_PKT4_S5_PT5_21rocsparse_index_base_b,"axG",@progbits,_ZN9rocsparseL20bsrxmvn_17_32_kernelILj24EfiiDF16_DF16_fEEvT2_20rocsparse_direction_NS_24const_host_device_scalarIT0_EES1_PKS1_PKT1_SA_S7_PKT3_PKT4_S5_PT5_21rocsparse_index_base_b,comdat
	.globl	_ZN9rocsparseL20bsrxmvn_17_32_kernelILj24EfiiDF16_DF16_fEEvT2_20rocsparse_direction_NS_24const_host_device_scalarIT0_EES1_PKS1_PKT1_SA_S7_PKT3_PKT4_S5_PT5_21rocsparse_index_base_b ; -- Begin function _ZN9rocsparseL20bsrxmvn_17_32_kernelILj24EfiiDF16_DF16_fEEvT2_20rocsparse_direction_NS_24const_host_device_scalarIT0_EES1_PKS1_PKT1_SA_S7_PKT3_PKT4_S5_PT5_21rocsparse_index_base_b
	.p2align	8
	.type	_ZN9rocsparseL20bsrxmvn_17_32_kernelILj24EfiiDF16_DF16_fEEvT2_20rocsparse_direction_NS_24const_host_device_scalarIT0_EES1_PKS1_PKT1_SA_S7_PKT3_PKT4_S5_PT5_21rocsparse_index_base_b,@function
_ZN9rocsparseL20bsrxmvn_17_32_kernelILj24EfiiDF16_DF16_fEEvT2_20rocsparse_direction_NS_24const_host_device_scalarIT0_EES1_PKS1_PKT1_SA_S7_PKT3_PKT4_S5_PT5_21rocsparse_index_base_b: ; @_ZN9rocsparseL20bsrxmvn_17_32_kernelILj24EfiiDF16_DF16_fEEvT2_20rocsparse_direction_NS_24const_host_device_scalarIT0_EES1_PKS1_PKT1_SA_S7_PKT3_PKT4_S5_PT5_21rocsparse_index_base_b
; %bb.0:
	s_mov_b32 s8, s15
	s_clause 0x2
	s_load_b64 s[14:15], s[0:1], 0x58
	s_load_b64 s[10:11], s[0:1], 0x8
	;; [unrolled: 1-line block ×3, first 2 shown]
	s_waitcnt lgkmcnt(0)
	s_bitcmp1_b32 s15, 0
	s_cselect_b32 s4, -1, 0
	s_delay_alu instid0(SALU_CYCLE_1)
	s_and_b32 vcc_lo, exec_lo, s4
	s_xor_b32 s4, s4, -1
	s_cbranch_vccnz .LBB295_2
; %bb.1:
	s_load_b32 s10, s[10:11], 0x0
.LBB295_2:
	s_and_not1_b32 vcc_lo, exec_lo, s4
	s_cbranch_vccnz .LBB295_4
; %bb.3:
	s_load_b32 s2, s[2:3], 0x0
.LBB295_4:
	s_waitcnt lgkmcnt(0)
	v_cmp_neq_f32_e64 s3, s10, 0
	v_cmp_neq_f32_e64 s4, s2, 1.0
	s_delay_alu instid0(VALU_DEP_1) | instskip(NEXT) | instid1(SALU_CYCLE_1)
	s_or_b32 s3, s3, s4
	s_and_not1_b32 vcc_lo, exec_lo, s3
	s_cbranch_vccnz .LBB295_42
; %bb.5:
	s_clause 0x1
	s_load_b128 s[4:7], s[0:1], 0x18
	s_load_b64 s[12:13], s[0:1], 0x28
	s_waitcnt lgkmcnt(0)
	s_cmp_eq_u64 s[4:5], 0
	s_cbranch_scc1 .LBB295_7
; %bb.6:
	s_ashr_i32 s9, s8, 31
	s_delay_alu instid0(SALU_CYCLE_1) | instskip(NEXT) | instid1(SALU_CYCLE_1)
	s_lshl_b64 s[8:9], s[8:9], 2
	s_add_u32 s4, s4, s8
	s_addc_u32 s5, s5, s9
	s_load_b32 s3, s[4:5], 0x0
	s_waitcnt lgkmcnt(0)
	s_sub_i32 s8, s3, s14
.LBB295_7:
	s_load_b32 s3, s[0:1], 0x4
	v_mul_u32_u24_e32 v1, 0xaab, v0
	v_mov_b32_e32 v6, 0
	s_delay_alu instid0(VALU_DEP_2) | instskip(NEXT) | instid1(VALU_DEP_1)
	v_lshrrev_b32_e32 v1, 16, v1
	v_mul_lo_u16 v2, v1, 24
	s_delay_alu instid0(VALU_DEP_1)
	v_sub_nc_u16 v7, v0, v2
	s_waitcnt lgkmcnt(0)
	s_cmp_eq_u32 s3, 1
	s_cselect_b32 vcc_lo, -1, 0
	s_cmp_lg_u32 s3, 1
	s_cselect_b32 s3, -1, 0
	s_ashr_i32 s9, s8, 31
	s_delay_alu instid0(SALU_CYCLE_1) | instskip(NEXT) | instid1(SALU_CYCLE_1)
	s_lshl_b64 s[4:5], s[8:9], 2
	s_add_u32 s6, s6, s4
	s_addc_u32 s7, s7, s5
	s_add_u32 s9, s6, 4
	s_addc_u32 s11, s7, 0
	;; [unrolled: 2-line block ×3, first 2 shown]
	s_cmp_eq_u64 s[12:13], 0
	s_load_b64 s[12:13], s[0:1], 0x50
	s_cselect_b32 s5, s11, s5
	s_cselect_b32 s4, s9, s4
	s_load_b32 s9, s[6:7], 0x0
	s_load_b32 s11, s[4:5], 0x0
	s_waitcnt lgkmcnt(0)
	s_cmp_ge_i32 s9, s11
	s_cbranch_scc1 .LBB295_12
; %bb.8:
	s_clause 0x1
	s_load_b128 s[4:7], s[0:1], 0x30
	s_load_b64 s[16:17], s[0:1], 0x40
	v_dual_mov_b32 v6, 0 :: v_dual_and_b32 v1, 0xffff, v1
	v_cmp_gt_u32_e64 s0, 0x240, v0
	v_and_b32_e32 v3, 0xffff, v7
	s_sub_i32 s9, s9, s14
	s_delay_alu instid0(VALU_DEP_3) | instskip(SKIP_2) | instid1(VALU_DEP_1)
	v_subrev_nc_u32_e32 v2, 24, v1
	s_sub_i32 s1, s11, s14
	s_mul_i32 s11, s9, 0x480
	v_cndmask_b32_e64 v1, v2, v1, s0
	v_lshlrev_b32_e32 v2, 1, v0
	s_mul_hi_i32 s0, s9, 0x480
	s_delay_alu instid0(VALU_DEP_2)
	v_cndmask_b32_e32 v1, v3, v1, vcc_lo
	v_cmp_lt_u32_e32 vcc_lo, 0x23f, v0
	s_waitcnt lgkmcnt(0)
	s_add_u32 s6, s6, s11
	s_addc_u32 s0, s7, s0
	v_add_co_u32 v2, s6, s6, v2
	s_delay_alu instid0(VALU_DEP_1)
	v_add_co_ci_u32_e64 v3, null, s0, 0, s6
	v_cndmask_b32_e64 v8, 0, 1, vcc_lo
	s_set_inst_prefetch_distance 0x1
	s_branch .LBB295_10
	.p2align	6
.LBB295_9:                              ;   in Loop: Header=BB295_10 Depth=1
	s_or_b32 exec_lo, exec_lo, s0
	s_add_i32 s9, s9, 1
	s_delay_alu instid0(SALU_CYCLE_1)
	s_cmp_lt_i32 s9, s1
	s_cbranch_scc0 .LBB295_12
.LBB295_10:                             ; =>This Inner Loop Header: Depth=1
	s_delay_alu instid0(VALU_DEP_1) | instskip(SKIP_1) | instid1(VALU_DEP_1)
	v_add_nc_u32_e32 v4, s9, v8
	s_mov_b32 s0, exec_lo
	v_cmpx_gt_i32_e64 s1, v4
	s_cbranch_execz .LBB295_9
; %bb.11:                               ;   in Loop: Header=BB295_10 Depth=1
	v_ashrrev_i32_e32 v5, 31, v4
	s_delay_alu instid0(VALU_DEP_1) | instskip(NEXT) | instid1(VALU_DEP_1)
	v_lshlrev_b64 v[4:5], 2, v[4:5]
	v_add_co_u32 v4, vcc_lo, s4, v4
	s_delay_alu instid0(VALU_DEP_2) | instskip(SKIP_3) | instid1(VALU_DEP_1)
	v_add_co_ci_u32_e32 v5, vcc_lo, s5, v5, vcc_lo
	global_load_b32 v4, v[4:5], off
	s_waitcnt vmcnt(0)
	v_subrev_nc_u32_e32 v9, s14, v4
	v_mad_u64_u32 v[4:5], null, v9, 24, v[1:2]
	s_delay_alu instid0(VALU_DEP_1) | instskip(NEXT) | instid1(VALU_DEP_1)
	v_ashrrev_i32_e32 v5, 31, v4
	v_lshlrev_b64 v[4:5], 1, v[4:5]
	s_delay_alu instid0(VALU_DEP_1) | instskip(NEXT) | instid1(VALU_DEP_2)
	v_add_co_u32 v4, vcc_lo, s16, v4
	v_add_co_ci_u32_e32 v5, vcc_lo, s17, v5, vcc_lo
	global_load_u16 v9, v[2:3], off
	global_load_u16 v4, v[4:5], off
	v_add_co_u32 v2, vcc_lo, 0x480, v2
	v_add_co_ci_u32_e32 v3, vcc_lo, 0, v3, vcc_lo
	s_waitcnt vmcnt(0)
	v_fma_mix_f32 v6, v9, v4, v6 op_sel_hi:[1,1,0]
	s_branch .LBB295_9
.LBB295_12:
	s_set_inst_prefetch_distance 0x2
	v_lshlrev_b32_e32 v1, 2, v0
	s_and_b32 vcc_lo, exec_lo, s3
	ds_store_b32 v1, v6
	s_waitcnt lgkmcnt(0)
	s_barrier
	buffer_gl0_inv
	s_cbranch_vccz .LBB295_24
; %bb.13:
	v_cmp_gt_u16_e32 vcc_lo, 8, v7
	s_and_saveexec_b32 s0, vcc_lo
	s_cbranch_execz .LBB295_15
; %bb.14:
	ds_load_2addr_b32 v[2:3], v1 offset1:16
	s_waitcnt lgkmcnt(0)
	v_add_f32_e32 v2, v3, v2
	ds_store_b32 v1, v2
.LBB295_15:
	s_or_b32 exec_lo, exec_lo, s0
	s_waitcnt lgkmcnt(0)
	s_barrier
	buffer_gl0_inv
	s_and_saveexec_b32 s0, vcc_lo
	s_cbranch_execz .LBB295_17
; %bb.16:
	ds_load_2addr_b32 v[2:3], v1 offset1:8
	s_waitcnt lgkmcnt(0)
	v_add_f32_e32 v2, v3, v2
	ds_store_b32 v1, v2
.LBB295_17:
	s_or_b32 exec_lo, exec_lo, s0
	s_delay_alu instid0(SALU_CYCLE_1)
	s_mov_b32 s0, exec_lo
	s_waitcnt lgkmcnt(0)
	s_barrier
	buffer_gl0_inv
	v_cmpx_gt_u16_e32 4, v7
	s_cbranch_execz .LBB295_19
; %bb.18:
	ds_load_2addr_b32 v[2:3], v1 offset1:4
	s_waitcnt lgkmcnt(0)
	v_add_f32_e32 v2, v3, v2
	ds_store_b32 v1, v2
.LBB295_19:
	s_or_b32 exec_lo, exec_lo, s0
	s_delay_alu instid0(SALU_CYCLE_1)
	s_mov_b32 s0, exec_lo
	s_waitcnt lgkmcnt(0)
	s_barrier
	buffer_gl0_inv
	v_cmpx_gt_u16_e32 2, v7
	s_cbranch_execz .LBB295_21
; %bb.20:
	ds_load_2addr_b32 v[2:3], v1 offset1:2
	s_waitcnt lgkmcnt(0)
	v_add_f32_e32 v2, v3, v2
	ds_store_b32 v1, v2
.LBB295_21:
	s_or_b32 exec_lo, exec_lo, s0
	s_mov_b32 s1, 0
	s_mov_b32 s0, 0
	s_mov_b32 s3, exec_lo
	s_waitcnt lgkmcnt(0)
	s_barrier
	buffer_gl0_inv
                                        ; implicit-def: $vgpr2
                                        ; implicit-def: $vgpr3
	v_cmpx_gt_u32_e32 24, v0
	s_xor_b32 s3, exec_lo, s3
; %bb.22:
	v_mul_u32_u24_e32 v2, 24, v0
	v_mad_u32_u24 v3, 0x5c, v0, v1
	s_mov_b32 s0, exec_lo
	s_delay_alu instid0(VALU_DEP_2)
	v_or_b32_e32 v2, 1, v2
; %bb.23:
	s_or_b32 exec_lo, exec_lo, s3
	s_delay_alu instid0(SALU_CYCLE_1)
	s_and_b32 vcc_lo, exec_lo, s1
	s_cbranch_vccnz .LBB295_25
	s_branch .LBB295_36
.LBB295_24:
	s_mov_b32 s0, 0
                                        ; implicit-def: $vgpr2
                                        ; implicit-def: $vgpr3
	s_cbranch_execz .LBB295_36
.LBB295_25:
	v_cmp_gt_u32_e32 vcc_lo, 0xc0, v0
	s_and_saveexec_b32 s1, vcc_lo
	s_cbranch_execz .LBB295_27
; %bb.26:
	ds_load_2addr_stride64_b32 v[2:3], v1 offset1:6
	s_waitcnt lgkmcnt(0)
	v_add_f32_e32 v2, v3, v2
	ds_store_b32 v1, v2
.LBB295_27:
	s_or_b32 exec_lo, exec_lo, s1
	s_waitcnt lgkmcnt(0)
	s_barrier
	buffer_gl0_inv
	s_and_saveexec_b32 s1, vcc_lo
	s_cbranch_execz .LBB295_29
; %bb.28:
	ds_load_2addr_stride64_b32 v[2:3], v1 offset1:3
	s_waitcnt lgkmcnt(0)
	v_add_f32_e32 v2, v3, v2
	ds_store_b32 v1, v2
.LBB295_29:
	s_or_b32 exec_lo, exec_lo, s1
	s_delay_alu instid0(SALU_CYCLE_1)
	s_mov_b32 s1, exec_lo
	s_waitcnt lgkmcnt(0)
	s_barrier
	buffer_gl0_inv
	v_cmpx_gt_u32_e32 0x60, v0
	s_cbranch_execz .LBB295_31
; %bb.30:
	ds_load_2addr_b32 v[2:3], v1 offset1:96
	s_waitcnt lgkmcnt(0)
	v_add_f32_e32 v2, v3, v2
	ds_store_b32 v1, v2
.LBB295_31:
	s_or_b32 exec_lo, exec_lo, s1
	s_delay_alu instid0(SALU_CYCLE_1)
	s_mov_b32 s1, exec_lo
	s_waitcnt lgkmcnt(0)
	s_barrier
	buffer_gl0_inv
	v_cmpx_gt_u32_e32 48, v0
	s_cbranch_execz .LBB295_33
; %bb.32:
	ds_load_2addr_b32 v[2:3], v1 offset1:48
	s_waitcnt lgkmcnt(0)
	v_add_f32_e32 v2, v3, v2
	ds_store_b32 v1, v2
.LBB295_33:
	s_or_b32 exec_lo, exec_lo, s1
	s_delay_alu instid0(SALU_CYCLE_1)
	s_mov_b32 s1, exec_lo
	s_waitcnt lgkmcnt(0)
	buffer_gl0_inv
                                        ; implicit-def: $vgpr2
	v_cmpx_gt_u32_e32 24, v0
; %bb.34:
	v_add_nc_u32_e32 v2, 24, v0
	s_or_b32 s0, s0, exec_lo
                                        ; implicit-def: $vgpr6
; %bb.35:
	s_or_b32 exec_lo, exec_lo, s1
	v_mov_b32_e32 v3, v1
.LBB295_36:
	s_and_saveexec_b32 s1, s0
	s_cbranch_execz .LBB295_38
; %bb.37:
	v_lshlrev_b32_e32 v1, 2, v2
	ds_load_b32 v2, v3
	ds_load_b32 v1, v1
	s_waitcnt lgkmcnt(0)
	v_add_f32_e32 v6, v2, v1
.LBB295_38:
	s_or_b32 exec_lo, exec_lo, s1
	s_delay_alu instid0(SALU_CYCLE_1)
	s_mov_b32 s0, exec_lo
	v_cmpx_gt_u32_e32 24, v0
	s_cbranch_execz .LBB295_42
; %bb.39:
	v_cmp_eq_f32_e64 s0, s2, 0
	v_mul_f32_e32 v1, s10, v6
	s_delay_alu instid0(VALU_DEP_2)
	s_and_b32 vcc_lo, exec_lo, s0
	s_mov_b32 s0, 0
	s_cbranch_vccz .LBB295_43
; %bb.40:
	s_delay_alu instid0(VALU_DEP_1) | instskip(SKIP_1) | instid1(VALU_DEP_1)
	v_mad_u64_u32 v[2:3], null, s8, 24, v[0:1]
	v_mov_b32_e32 v3, 0
	v_lshlrev_b64 v[2:3], 2, v[2:3]
	s_delay_alu instid0(VALU_DEP_1) | instskip(NEXT) | instid1(VALU_DEP_2)
	v_add_co_u32 v2, vcc_lo, s12, v2
	v_add_co_ci_u32_e32 v3, vcc_lo, s13, v3, vcc_lo
	global_store_b32 v[2:3], v1, off
	s_and_not1_b32 vcc_lo, exec_lo, s0
	s_cbranch_vccnz .LBB295_42
.LBB295_41:
	v_mad_u64_u32 v[2:3], null, s8, 24, v[0:1]
	v_mov_b32_e32 v3, 0
	s_delay_alu instid0(VALU_DEP_1) | instskip(NEXT) | instid1(VALU_DEP_1)
	v_lshlrev_b64 v[2:3], 2, v[2:3]
	v_add_co_u32 v2, vcc_lo, s12, v2
	s_delay_alu instid0(VALU_DEP_2)
	v_add_co_ci_u32_e32 v3, vcc_lo, s13, v3, vcc_lo
	global_load_b32 v0, v[2:3], off
	s_waitcnt vmcnt(0)
	v_fmac_f32_e32 v1, s2, v0
	global_store_b32 v[2:3], v1, off
.LBB295_42:
	s_nop 0
	s_sendmsg sendmsg(MSG_DEALLOC_VGPRS)
	s_endpgm
.LBB295_43:
	s_branch .LBB295_41
	.section	.rodata,"a",@progbits
	.p2align	6, 0x0
	.amdhsa_kernel _ZN9rocsparseL20bsrxmvn_17_32_kernelILj24EfiiDF16_DF16_fEEvT2_20rocsparse_direction_NS_24const_host_device_scalarIT0_EES1_PKS1_PKT1_SA_S7_PKT3_PKT4_S5_PT5_21rocsparse_index_base_b
		.amdhsa_group_segment_fixed_size 2304
		.amdhsa_private_segment_fixed_size 0
		.amdhsa_kernarg_size 96
		.amdhsa_user_sgpr_count 15
		.amdhsa_user_sgpr_dispatch_ptr 0
		.amdhsa_user_sgpr_queue_ptr 0
		.amdhsa_user_sgpr_kernarg_segment_ptr 1
		.amdhsa_user_sgpr_dispatch_id 0
		.amdhsa_user_sgpr_private_segment_size 0
		.amdhsa_wavefront_size32 1
		.amdhsa_uses_dynamic_stack 0
		.amdhsa_enable_private_segment 0
		.amdhsa_system_sgpr_workgroup_id_x 1
		.amdhsa_system_sgpr_workgroup_id_y 0
		.amdhsa_system_sgpr_workgroup_id_z 0
		.amdhsa_system_sgpr_workgroup_info 0
		.amdhsa_system_vgpr_workitem_id 0
		.amdhsa_next_free_vgpr 10
		.amdhsa_next_free_sgpr 18
		.amdhsa_reserve_vcc 1
		.amdhsa_float_round_mode_32 0
		.amdhsa_float_round_mode_16_64 0
		.amdhsa_float_denorm_mode_32 3
		.amdhsa_float_denorm_mode_16_64 3
		.amdhsa_dx10_clamp 1
		.amdhsa_ieee_mode 1
		.amdhsa_fp16_overflow 0
		.amdhsa_workgroup_processor_mode 1
		.amdhsa_memory_ordered 1
		.amdhsa_forward_progress 0
		.amdhsa_shared_vgpr_count 0
		.amdhsa_exception_fp_ieee_invalid_op 0
		.amdhsa_exception_fp_denorm_src 0
		.amdhsa_exception_fp_ieee_div_zero 0
		.amdhsa_exception_fp_ieee_overflow 0
		.amdhsa_exception_fp_ieee_underflow 0
		.amdhsa_exception_fp_ieee_inexact 0
		.amdhsa_exception_int_div_zero 0
	.end_amdhsa_kernel
	.section	.text._ZN9rocsparseL20bsrxmvn_17_32_kernelILj24EfiiDF16_DF16_fEEvT2_20rocsparse_direction_NS_24const_host_device_scalarIT0_EES1_PKS1_PKT1_SA_S7_PKT3_PKT4_S5_PT5_21rocsparse_index_base_b,"axG",@progbits,_ZN9rocsparseL20bsrxmvn_17_32_kernelILj24EfiiDF16_DF16_fEEvT2_20rocsparse_direction_NS_24const_host_device_scalarIT0_EES1_PKS1_PKT1_SA_S7_PKT3_PKT4_S5_PT5_21rocsparse_index_base_b,comdat
.Lfunc_end295:
	.size	_ZN9rocsparseL20bsrxmvn_17_32_kernelILj24EfiiDF16_DF16_fEEvT2_20rocsparse_direction_NS_24const_host_device_scalarIT0_EES1_PKS1_PKT1_SA_S7_PKT3_PKT4_S5_PT5_21rocsparse_index_base_b, .Lfunc_end295-_ZN9rocsparseL20bsrxmvn_17_32_kernelILj24EfiiDF16_DF16_fEEvT2_20rocsparse_direction_NS_24const_host_device_scalarIT0_EES1_PKS1_PKT1_SA_S7_PKT3_PKT4_S5_PT5_21rocsparse_index_base_b
                                        ; -- End function
	.section	.AMDGPU.csdata,"",@progbits
; Kernel info:
; codeLenInByte = 1504
; NumSgprs: 20
; NumVgprs: 10
; ScratchSize: 0
; MemoryBound: 0
; FloatMode: 240
; IeeeMode: 1
; LDSByteSize: 2304 bytes/workgroup (compile time only)
; SGPRBlocks: 2
; VGPRBlocks: 1
; NumSGPRsForWavesPerEU: 20
; NumVGPRsForWavesPerEU: 10
; Occupancy: 14
; WaveLimiterHint : 1
; COMPUTE_PGM_RSRC2:SCRATCH_EN: 0
; COMPUTE_PGM_RSRC2:USER_SGPR: 15
; COMPUTE_PGM_RSRC2:TRAP_HANDLER: 0
; COMPUTE_PGM_RSRC2:TGID_X_EN: 1
; COMPUTE_PGM_RSRC2:TGID_Y_EN: 0
; COMPUTE_PGM_RSRC2:TGID_Z_EN: 0
; COMPUTE_PGM_RSRC2:TIDIG_COMP_CNT: 0
	.section	.text._ZN9rocsparseL20bsrxmvn_17_32_kernelILj25EfiiDF16_DF16_fEEvT2_20rocsparse_direction_NS_24const_host_device_scalarIT0_EES1_PKS1_PKT1_SA_S7_PKT3_PKT4_S5_PT5_21rocsparse_index_base_b,"axG",@progbits,_ZN9rocsparseL20bsrxmvn_17_32_kernelILj25EfiiDF16_DF16_fEEvT2_20rocsparse_direction_NS_24const_host_device_scalarIT0_EES1_PKS1_PKT1_SA_S7_PKT3_PKT4_S5_PT5_21rocsparse_index_base_b,comdat
	.globl	_ZN9rocsparseL20bsrxmvn_17_32_kernelILj25EfiiDF16_DF16_fEEvT2_20rocsparse_direction_NS_24const_host_device_scalarIT0_EES1_PKS1_PKT1_SA_S7_PKT3_PKT4_S5_PT5_21rocsparse_index_base_b ; -- Begin function _ZN9rocsparseL20bsrxmvn_17_32_kernelILj25EfiiDF16_DF16_fEEvT2_20rocsparse_direction_NS_24const_host_device_scalarIT0_EES1_PKS1_PKT1_SA_S7_PKT3_PKT4_S5_PT5_21rocsparse_index_base_b
	.p2align	8
	.type	_ZN9rocsparseL20bsrxmvn_17_32_kernelILj25EfiiDF16_DF16_fEEvT2_20rocsparse_direction_NS_24const_host_device_scalarIT0_EES1_PKS1_PKT1_SA_S7_PKT3_PKT4_S5_PT5_21rocsparse_index_base_b,@function
_ZN9rocsparseL20bsrxmvn_17_32_kernelILj25EfiiDF16_DF16_fEEvT2_20rocsparse_direction_NS_24const_host_device_scalarIT0_EES1_PKS1_PKT1_SA_S7_PKT3_PKT4_S5_PT5_21rocsparse_index_base_b: ; @_ZN9rocsparseL20bsrxmvn_17_32_kernelILj25EfiiDF16_DF16_fEEvT2_20rocsparse_direction_NS_24const_host_device_scalarIT0_EES1_PKS1_PKT1_SA_S7_PKT3_PKT4_S5_PT5_21rocsparse_index_base_b
; %bb.0:
	s_mov_b32 s8, s15
	s_clause 0x2
	s_load_b64 s[14:15], s[0:1], 0x58
	s_load_b64 s[10:11], s[0:1], 0x8
	;; [unrolled: 1-line block ×3, first 2 shown]
	s_waitcnt lgkmcnt(0)
	s_bitcmp1_b32 s15, 0
	s_cselect_b32 s4, -1, 0
	s_delay_alu instid0(SALU_CYCLE_1)
	s_and_b32 vcc_lo, exec_lo, s4
	s_xor_b32 s4, s4, -1
	s_cbranch_vccnz .LBB296_2
; %bb.1:
	s_load_b32 s10, s[10:11], 0x0
.LBB296_2:
	s_and_not1_b32 vcc_lo, exec_lo, s4
	s_cbranch_vccnz .LBB296_4
; %bb.3:
	s_load_b32 s2, s[2:3], 0x0
.LBB296_4:
	s_waitcnt lgkmcnt(0)
	v_cmp_neq_f32_e64 s3, s10, 0
	v_cmp_neq_f32_e64 s4, s2, 1.0
	s_delay_alu instid0(VALU_DEP_1) | instskip(NEXT) | instid1(SALU_CYCLE_1)
	s_or_b32 s3, s3, s4
	s_and_not1_b32 vcc_lo, exec_lo, s3
	s_cbranch_vccnz .LBB296_42
; %bb.5:
	s_clause 0x1
	s_load_b128 s[4:7], s[0:1], 0x18
	s_load_b64 s[12:13], s[0:1], 0x28
	s_waitcnt lgkmcnt(0)
	s_cmp_eq_u64 s[4:5], 0
	s_cbranch_scc1 .LBB296_7
; %bb.6:
	s_ashr_i32 s9, s8, 31
	s_delay_alu instid0(SALU_CYCLE_1) | instskip(NEXT) | instid1(SALU_CYCLE_1)
	s_lshl_b64 s[8:9], s[8:9], 2
	s_add_u32 s4, s4, s8
	s_addc_u32 s5, s5, s9
	s_load_b32 s3, s[4:5], 0x0
	s_waitcnt lgkmcnt(0)
	s_sub_i32 s8, s3, s14
.LBB296_7:
	s_load_b32 s3, s[0:1], 0x4
	v_mul_u32_u24_e32 v1, 0xa3e, v0
	v_mov_b32_e32 v6, 0
	s_delay_alu instid0(VALU_DEP_2) | instskip(NEXT) | instid1(VALU_DEP_1)
	v_lshrrev_b32_e32 v1, 16, v1
	v_mul_lo_u16 v2, v1, 25
	s_delay_alu instid0(VALU_DEP_1)
	v_sub_nc_u16 v7, v0, v2
	s_waitcnt lgkmcnt(0)
	s_cmp_eq_u32 s3, 1
	s_cselect_b32 vcc_lo, -1, 0
	s_cmp_lg_u32 s3, 1
	s_cselect_b32 s3, -1, 0
	s_ashr_i32 s9, s8, 31
	s_delay_alu instid0(SALU_CYCLE_1) | instskip(NEXT) | instid1(SALU_CYCLE_1)
	s_lshl_b64 s[4:5], s[8:9], 2
	s_add_u32 s6, s6, s4
	s_addc_u32 s7, s7, s5
	s_add_u32 s9, s6, 4
	s_addc_u32 s11, s7, 0
	;; [unrolled: 2-line block ×3, first 2 shown]
	s_cmp_eq_u64 s[12:13], 0
	s_load_b64 s[12:13], s[0:1], 0x50
	s_cselect_b32 s5, s11, s5
	s_cselect_b32 s4, s9, s4
	s_load_b32 s9, s[6:7], 0x0
	s_load_b32 s11, s[4:5], 0x0
	s_waitcnt lgkmcnt(0)
	s_cmp_ge_i32 s9, s11
	s_cbranch_scc1 .LBB296_12
; %bb.8:
	s_clause 0x1
	s_load_b128 s[4:7], s[0:1], 0x30
	s_load_b64 s[16:17], s[0:1], 0x40
	v_dual_mov_b32 v6, 0 :: v_dual_and_b32 v1, 0xffff, v1
	v_cmp_gt_u32_e64 s0, 0x271, v0
	v_and_b32_e32 v3, 0xffff, v7
	s_sub_i32 s9, s9, s14
	s_delay_alu instid0(VALU_DEP_3) | instskip(SKIP_2) | instid1(VALU_DEP_1)
	v_subrev_nc_u32_e32 v2, 25, v1
	s_sub_i32 s1, s11, s14
	s_mul_i32 s11, s9, 0x4e2
	v_cndmask_b32_e64 v1, v2, v1, s0
	v_lshlrev_b32_e32 v2, 1, v0
	s_mul_hi_i32 s0, s9, 0x4e2
	s_delay_alu instid0(VALU_DEP_2)
	v_cndmask_b32_e32 v1, v3, v1, vcc_lo
	v_cmp_lt_u32_e32 vcc_lo, 0x270, v0
	s_waitcnt lgkmcnt(0)
	s_add_u32 s6, s6, s11
	s_addc_u32 s0, s7, s0
	v_add_co_u32 v2, s6, s6, v2
	s_delay_alu instid0(VALU_DEP_1)
	v_add_co_ci_u32_e64 v3, null, s0, 0, s6
	v_cndmask_b32_e64 v8, 0, 1, vcc_lo
	s_set_inst_prefetch_distance 0x1
	s_branch .LBB296_10
	.p2align	6
.LBB296_9:                              ;   in Loop: Header=BB296_10 Depth=1
	s_or_b32 exec_lo, exec_lo, s0
	s_add_i32 s9, s9, 1
	s_delay_alu instid0(SALU_CYCLE_1)
	s_cmp_lt_i32 s9, s1
	s_cbranch_scc0 .LBB296_12
.LBB296_10:                             ; =>This Inner Loop Header: Depth=1
	s_delay_alu instid0(VALU_DEP_1) | instskip(SKIP_1) | instid1(VALU_DEP_1)
	v_add_nc_u32_e32 v4, s9, v8
	s_mov_b32 s0, exec_lo
	v_cmpx_gt_i32_e64 s1, v4
	s_cbranch_execz .LBB296_9
; %bb.11:                               ;   in Loop: Header=BB296_10 Depth=1
	v_ashrrev_i32_e32 v5, 31, v4
	s_delay_alu instid0(VALU_DEP_1) | instskip(NEXT) | instid1(VALU_DEP_1)
	v_lshlrev_b64 v[4:5], 2, v[4:5]
	v_add_co_u32 v4, vcc_lo, s4, v4
	s_delay_alu instid0(VALU_DEP_2) | instskip(SKIP_3) | instid1(VALU_DEP_1)
	v_add_co_ci_u32_e32 v5, vcc_lo, s5, v5, vcc_lo
	global_load_b32 v4, v[4:5], off
	s_waitcnt vmcnt(0)
	v_subrev_nc_u32_e32 v9, s14, v4
	v_mad_u64_u32 v[4:5], null, v9, 25, v[1:2]
	s_delay_alu instid0(VALU_DEP_1) | instskip(NEXT) | instid1(VALU_DEP_1)
	v_ashrrev_i32_e32 v5, 31, v4
	v_lshlrev_b64 v[4:5], 1, v[4:5]
	s_delay_alu instid0(VALU_DEP_1) | instskip(NEXT) | instid1(VALU_DEP_2)
	v_add_co_u32 v4, vcc_lo, s16, v4
	v_add_co_ci_u32_e32 v5, vcc_lo, s17, v5, vcc_lo
	global_load_u16 v9, v[2:3], off
	global_load_u16 v4, v[4:5], off
	v_add_co_u32 v2, vcc_lo, 0x4e2, v2
	v_add_co_ci_u32_e32 v3, vcc_lo, 0, v3, vcc_lo
	s_waitcnt vmcnt(0)
	v_fma_mix_f32 v6, v9, v4, v6 op_sel_hi:[1,1,0]
	s_branch .LBB296_9
.LBB296_12:
	s_set_inst_prefetch_distance 0x2
	v_lshlrev_b32_e32 v1, 2, v0
	s_and_b32 vcc_lo, exec_lo, s3
	ds_store_b32 v1, v6
	s_waitcnt lgkmcnt(0)
	s_barrier
	buffer_gl0_inv
	s_cbranch_vccz .LBB296_24
; %bb.13:
	s_mov_b32 s0, exec_lo
	v_cmpx_gt_u16_e32 9, v7
	s_cbranch_execz .LBB296_15
; %bb.14:
	ds_load_2addr_b32 v[2:3], v1 offset1:16
	s_waitcnt lgkmcnt(0)
	v_add_f32_e32 v2, v3, v2
	ds_store_b32 v1, v2
.LBB296_15:
	s_or_b32 exec_lo, exec_lo, s0
	s_delay_alu instid0(SALU_CYCLE_1)
	s_mov_b32 s0, exec_lo
	s_waitcnt lgkmcnt(0)
	s_barrier
	buffer_gl0_inv
	v_cmpx_gt_u16_e32 8, v7
	s_cbranch_execz .LBB296_17
; %bb.16:
	ds_load_2addr_b32 v[2:3], v1 offset1:8
	s_waitcnt lgkmcnt(0)
	v_add_f32_e32 v2, v3, v2
	ds_store_b32 v1, v2
.LBB296_17:
	s_or_b32 exec_lo, exec_lo, s0
	s_delay_alu instid0(SALU_CYCLE_1)
	s_mov_b32 s0, exec_lo
	s_waitcnt lgkmcnt(0)
	s_barrier
	buffer_gl0_inv
	v_cmpx_gt_u16_e32 4, v7
	s_cbranch_execz .LBB296_19
; %bb.18:
	ds_load_2addr_b32 v[2:3], v1 offset1:4
	s_waitcnt lgkmcnt(0)
	v_add_f32_e32 v2, v3, v2
	ds_store_b32 v1, v2
.LBB296_19:
	s_or_b32 exec_lo, exec_lo, s0
	s_delay_alu instid0(SALU_CYCLE_1)
	s_mov_b32 s0, exec_lo
	s_waitcnt lgkmcnt(0)
	s_barrier
	buffer_gl0_inv
	v_cmpx_gt_u16_e32 2, v7
	s_cbranch_execz .LBB296_21
; %bb.20:
	ds_load_2addr_b32 v[2:3], v1 offset1:2
	s_waitcnt lgkmcnt(0)
	v_add_f32_e32 v2, v3, v2
	ds_store_b32 v1, v2
.LBB296_21:
	s_or_b32 exec_lo, exec_lo, s0
	s_mov_b32 s1, 0
	s_mov_b32 s0, 0
	s_mov_b32 s3, exec_lo
	s_waitcnt lgkmcnt(0)
	s_barrier
	buffer_gl0_inv
                                        ; implicit-def: $vgpr2
                                        ; implicit-def: $vgpr3
	v_cmpx_gt_u32_e32 25, v0
	s_xor_b32 s3, exec_lo, s3
; %bb.22:
	v_mad_u32_u24 v2, v0, 25, 1
	v_mad_u32_u24 v3, 0x60, v0, v1
	s_mov_b32 s0, exec_lo
; %bb.23:
	s_or_b32 exec_lo, exec_lo, s3
	s_delay_alu instid0(SALU_CYCLE_1)
	s_and_b32 vcc_lo, exec_lo, s1
	s_cbranch_vccnz .LBB296_25
	s_branch .LBB296_36
.LBB296_24:
	s_mov_b32 s0, 0
                                        ; implicit-def: $vgpr2
                                        ; implicit-def: $vgpr3
	s_cbranch_execz .LBB296_36
.LBB296_25:
	s_mov_b32 s1, exec_lo
	v_cmpx_gt_u32_e32 0xe1, v0
	s_cbranch_execz .LBB296_27
; %bb.26:
	ds_load_b32 v2, v1 offset:1600
	ds_load_b32 v3, v1
	s_waitcnt lgkmcnt(0)
	v_add_f32_e32 v2, v2, v3
	ds_store_b32 v1, v2
.LBB296_27:
	s_or_b32 exec_lo, exec_lo, s1
	s_delay_alu instid0(SALU_CYCLE_1)
	s_mov_b32 s1, exec_lo
	s_waitcnt lgkmcnt(0)
	s_barrier
	buffer_gl0_inv
	v_cmpx_gt_u32_e32 0xc8, v0
	s_cbranch_execz .LBB296_29
; %bb.28:
	ds_load_2addr_b32 v[2:3], v1 offset1:200
	s_waitcnt lgkmcnt(0)
	v_add_f32_e32 v2, v3, v2
	ds_store_b32 v1, v2
.LBB296_29:
	s_or_b32 exec_lo, exec_lo, s1
	s_delay_alu instid0(SALU_CYCLE_1)
	s_mov_b32 s1, exec_lo
	s_waitcnt lgkmcnt(0)
	s_barrier
	buffer_gl0_inv
	v_cmpx_gt_u32_e32 0x64, v0
	s_cbranch_execz .LBB296_31
; %bb.30:
	ds_load_2addr_b32 v[2:3], v1 offset1:100
	s_waitcnt lgkmcnt(0)
	v_add_f32_e32 v2, v3, v2
	ds_store_b32 v1, v2
.LBB296_31:
	;; [unrolled: 14-line block ×3, first 2 shown]
	s_or_b32 exec_lo, exec_lo, s1
	s_delay_alu instid0(SALU_CYCLE_1)
	s_mov_b32 s1, exec_lo
	s_waitcnt lgkmcnt(0)
	buffer_gl0_inv
                                        ; implicit-def: $vgpr2
	v_cmpx_gt_u32_e32 25, v0
; %bb.34:
	v_add_nc_u32_e32 v2, 25, v0
	s_or_b32 s0, s0, exec_lo
                                        ; implicit-def: $vgpr6
; %bb.35:
	s_or_b32 exec_lo, exec_lo, s1
	v_mov_b32_e32 v3, v1
.LBB296_36:
	s_and_saveexec_b32 s1, s0
	s_cbranch_execz .LBB296_38
; %bb.37:
	v_lshlrev_b32_e32 v1, 2, v2
	ds_load_b32 v2, v3
	ds_load_b32 v1, v1
	s_waitcnt lgkmcnt(0)
	v_add_f32_e32 v6, v2, v1
.LBB296_38:
	s_or_b32 exec_lo, exec_lo, s1
	s_delay_alu instid0(SALU_CYCLE_1)
	s_mov_b32 s0, exec_lo
	v_cmpx_gt_u32_e32 25, v0
	s_cbranch_execz .LBB296_42
; %bb.39:
	v_cmp_eq_f32_e64 s0, s2, 0
	v_mul_f32_e32 v1, s10, v6
	s_delay_alu instid0(VALU_DEP_2)
	s_and_b32 vcc_lo, exec_lo, s0
	s_mov_b32 s0, 0
	s_cbranch_vccz .LBB296_43
; %bb.40:
	s_delay_alu instid0(VALU_DEP_1) | instskip(SKIP_1) | instid1(VALU_DEP_1)
	v_mad_u64_u32 v[2:3], null, s8, 25, v[0:1]
	v_mov_b32_e32 v3, 0
	v_lshlrev_b64 v[2:3], 2, v[2:3]
	s_delay_alu instid0(VALU_DEP_1) | instskip(NEXT) | instid1(VALU_DEP_2)
	v_add_co_u32 v2, vcc_lo, s12, v2
	v_add_co_ci_u32_e32 v3, vcc_lo, s13, v3, vcc_lo
	global_store_b32 v[2:3], v1, off
	s_and_not1_b32 vcc_lo, exec_lo, s0
	s_cbranch_vccnz .LBB296_42
.LBB296_41:
	v_mad_u64_u32 v[2:3], null, s8, 25, v[0:1]
	v_mov_b32_e32 v3, 0
	s_delay_alu instid0(VALU_DEP_1) | instskip(NEXT) | instid1(VALU_DEP_1)
	v_lshlrev_b64 v[2:3], 2, v[2:3]
	v_add_co_u32 v2, vcc_lo, s12, v2
	s_delay_alu instid0(VALU_DEP_2)
	v_add_co_ci_u32_e32 v3, vcc_lo, s13, v3, vcc_lo
	global_load_b32 v0, v[2:3], off
	s_waitcnt vmcnt(0)
	v_fmac_f32_e32 v1, s2, v0
	global_store_b32 v[2:3], v1, off
.LBB296_42:
	s_nop 0
	s_sendmsg sendmsg(MSG_DEALLOC_VGPRS)
	s_endpgm
.LBB296_43:
	s_branch .LBB296_41
	.section	.rodata,"a",@progbits
	.p2align	6, 0x0
	.amdhsa_kernel _ZN9rocsparseL20bsrxmvn_17_32_kernelILj25EfiiDF16_DF16_fEEvT2_20rocsparse_direction_NS_24const_host_device_scalarIT0_EES1_PKS1_PKT1_SA_S7_PKT3_PKT4_S5_PT5_21rocsparse_index_base_b
		.amdhsa_group_segment_fixed_size 2500
		.amdhsa_private_segment_fixed_size 0
		.amdhsa_kernarg_size 96
		.amdhsa_user_sgpr_count 15
		.amdhsa_user_sgpr_dispatch_ptr 0
		.amdhsa_user_sgpr_queue_ptr 0
		.amdhsa_user_sgpr_kernarg_segment_ptr 1
		.amdhsa_user_sgpr_dispatch_id 0
		.amdhsa_user_sgpr_private_segment_size 0
		.amdhsa_wavefront_size32 1
		.amdhsa_uses_dynamic_stack 0
		.amdhsa_enable_private_segment 0
		.amdhsa_system_sgpr_workgroup_id_x 1
		.amdhsa_system_sgpr_workgroup_id_y 0
		.amdhsa_system_sgpr_workgroup_id_z 0
		.amdhsa_system_sgpr_workgroup_info 0
		.amdhsa_system_vgpr_workitem_id 0
		.amdhsa_next_free_vgpr 10
		.amdhsa_next_free_sgpr 18
		.amdhsa_reserve_vcc 1
		.amdhsa_float_round_mode_32 0
		.amdhsa_float_round_mode_16_64 0
		.amdhsa_float_denorm_mode_32 3
		.amdhsa_float_denorm_mode_16_64 3
		.amdhsa_dx10_clamp 1
		.amdhsa_ieee_mode 1
		.amdhsa_fp16_overflow 0
		.amdhsa_workgroup_processor_mode 1
		.amdhsa_memory_ordered 1
		.amdhsa_forward_progress 0
		.amdhsa_shared_vgpr_count 0
		.amdhsa_exception_fp_ieee_invalid_op 0
		.amdhsa_exception_fp_denorm_src 0
		.amdhsa_exception_fp_ieee_div_zero 0
		.amdhsa_exception_fp_ieee_overflow 0
		.amdhsa_exception_fp_ieee_underflow 0
		.amdhsa_exception_fp_ieee_inexact 0
		.amdhsa_exception_int_div_zero 0
	.end_amdhsa_kernel
	.section	.text._ZN9rocsparseL20bsrxmvn_17_32_kernelILj25EfiiDF16_DF16_fEEvT2_20rocsparse_direction_NS_24const_host_device_scalarIT0_EES1_PKS1_PKT1_SA_S7_PKT3_PKT4_S5_PT5_21rocsparse_index_base_b,"axG",@progbits,_ZN9rocsparseL20bsrxmvn_17_32_kernelILj25EfiiDF16_DF16_fEEvT2_20rocsparse_direction_NS_24const_host_device_scalarIT0_EES1_PKS1_PKT1_SA_S7_PKT3_PKT4_S5_PT5_21rocsparse_index_base_b,comdat
.Lfunc_end296:
	.size	_ZN9rocsparseL20bsrxmvn_17_32_kernelILj25EfiiDF16_DF16_fEEvT2_20rocsparse_direction_NS_24const_host_device_scalarIT0_EES1_PKS1_PKT1_SA_S7_PKT3_PKT4_S5_PT5_21rocsparse_index_base_b, .Lfunc_end296-_ZN9rocsparseL20bsrxmvn_17_32_kernelILj25EfiiDF16_DF16_fEEvT2_20rocsparse_direction_NS_24const_host_device_scalarIT0_EES1_PKS1_PKT1_SA_S7_PKT3_PKT4_S5_PT5_21rocsparse_index_base_b
                                        ; -- End function
	.section	.AMDGPU.csdata,"",@progbits
; Kernel info:
; codeLenInByte = 1528
; NumSgprs: 20
; NumVgprs: 10
; ScratchSize: 0
; MemoryBound: 0
; FloatMode: 240
; IeeeMode: 1
; LDSByteSize: 2500 bytes/workgroup (compile time only)
; SGPRBlocks: 2
; VGPRBlocks: 1
; NumSGPRsForWavesPerEU: 20
; NumVGPRsForWavesPerEU: 10
; Occupancy: 15
; WaveLimiterHint : 1
; COMPUTE_PGM_RSRC2:SCRATCH_EN: 0
; COMPUTE_PGM_RSRC2:USER_SGPR: 15
; COMPUTE_PGM_RSRC2:TRAP_HANDLER: 0
; COMPUTE_PGM_RSRC2:TGID_X_EN: 1
; COMPUTE_PGM_RSRC2:TGID_Y_EN: 0
; COMPUTE_PGM_RSRC2:TGID_Z_EN: 0
; COMPUTE_PGM_RSRC2:TIDIG_COMP_CNT: 0
	.section	.text._ZN9rocsparseL20bsrxmvn_17_32_kernelILj26EfiiDF16_DF16_fEEvT2_20rocsparse_direction_NS_24const_host_device_scalarIT0_EES1_PKS1_PKT1_SA_S7_PKT3_PKT4_S5_PT5_21rocsparse_index_base_b,"axG",@progbits,_ZN9rocsparseL20bsrxmvn_17_32_kernelILj26EfiiDF16_DF16_fEEvT2_20rocsparse_direction_NS_24const_host_device_scalarIT0_EES1_PKS1_PKT1_SA_S7_PKT3_PKT4_S5_PT5_21rocsparse_index_base_b,comdat
	.globl	_ZN9rocsparseL20bsrxmvn_17_32_kernelILj26EfiiDF16_DF16_fEEvT2_20rocsparse_direction_NS_24const_host_device_scalarIT0_EES1_PKS1_PKT1_SA_S7_PKT3_PKT4_S5_PT5_21rocsparse_index_base_b ; -- Begin function _ZN9rocsparseL20bsrxmvn_17_32_kernelILj26EfiiDF16_DF16_fEEvT2_20rocsparse_direction_NS_24const_host_device_scalarIT0_EES1_PKS1_PKT1_SA_S7_PKT3_PKT4_S5_PT5_21rocsparse_index_base_b
	.p2align	8
	.type	_ZN9rocsparseL20bsrxmvn_17_32_kernelILj26EfiiDF16_DF16_fEEvT2_20rocsparse_direction_NS_24const_host_device_scalarIT0_EES1_PKS1_PKT1_SA_S7_PKT3_PKT4_S5_PT5_21rocsparse_index_base_b,@function
_ZN9rocsparseL20bsrxmvn_17_32_kernelILj26EfiiDF16_DF16_fEEvT2_20rocsparse_direction_NS_24const_host_device_scalarIT0_EES1_PKS1_PKT1_SA_S7_PKT3_PKT4_S5_PT5_21rocsparse_index_base_b: ; @_ZN9rocsparseL20bsrxmvn_17_32_kernelILj26EfiiDF16_DF16_fEEvT2_20rocsparse_direction_NS_24const_host_device_scalarIT0_EES1_PKS1_PKT1_SA_S7_PKT3_PKT4_S5_PT5_21rocsparse_index_base_b
; %bb.0:
	s_mov_b32 s8, s15
	s_clause 0x2
	s_load_b64 s[14:15], s[0:1], 0x58
	s_load_b64 s[10:11], s[0:1], 0x8
	;; [unrolled: 1-line block ×3, first 2 shown]
	s_waitcnt lgkmcnt(0)
	s_bitcmp1_b32 s15, 0
	s_cselect_b32 s4, -1, 0
	s_delay_alu instid0(SALU_CYCLE_1)
	s_and_b32 vcc_lo, exec_lo, s4
	s_xor_b32 s4, s4, -1
	s_cbranch_vccnz .LBB297_2
; %bb.1:
	s_load_b32 s10, s[10:11], 0x0
.LBB297_2:
	s_and_not1_b32 vcc_lo, exec_lo, s4
	s_cbranch_vccnz .LBB297_4
; %bb.3:
	s_load_b32 s2, s[2:3], 0x0
.LBB297_4:
	s_waitcnt lgkmcnt(0)
	v_cmp_neq_f32_e64 s3, s10, 0
	v_cmp_neq_f32_e64 s4, s2, 1.0
	s_delay_alu instid0(VALU_DEP_1) | instskip(NEXT) | instid1(SALU_CYCLE_1)
	s_or_b32 s3, s3, s4
	s_and_not1_b32 vcc_lo, exec_lo, s3
	s_cbranch_vccnz .LBB297_42
; %bb.5:
	s_clause 0x1
	s_load_b128 s[4:7], s[0:1], 0x18
	s_load_b64 s[12:13], s[0:1], 0x28
	s_waitcnt lgkmcnt(0)
	s_cmp_eq_u64 s[4:5], 0
	s_cbranch_scc1 .LBB297_7
; %bb.6:
	s_ashr_i32 s9, s8, 31
	s_delay_alu instid0(SALU_CYCLE_1) | instskip(NEXT) | instid1(SALU_CYCLE_1)
	s_lshl_b64 s[8:9], s[8:9], 2
	s_add_u32 s4, s4, s8
	s_addc_u32 s5, s5, s9
	s_load_b32 s3, s[4:5], 0x0
	s_waitcnt lgkmcnt(0)
	s_sub_i32 s8, s3, s14
.LBB297_7:
	s_load_b32 s3, s[0:1], 0x4
	v_mul_u32_u24_e32 v1, 0x9d9, v0
	v_mov_b32_e32 v6, 0
	s_delay_alu instid0(VALU_DEP_2) | instskip(NEXT) | instid1(VALU_DEP_1)
	v_lshrrev_b32_e32 v1, 16, v1
	v_mul_lo_u16 v2, v1, 26
	s_delay_alu instid0(VALU_DEP_1)
	v_sub_nc_u16 v7, v0, v2
	s_waitcnt lgkmcnt(0)
	s_cmp_eq_u32 s3, 1
	s_cselect_b32 vcc_lo, -1, 0
	s_cmp_lg_u32 s3, 1
	s_cselect_b32 s3, -1, 0
	s_ashr_i32 s9, s8, 31
	s_delay_alu instid0(SALU_CYCLE_1) | instskip(NEXT) | instid1(SALU_CYCLE_1)
	s_lshl_b64 s[4:5], s[8:9], 2
	s_add_u32 s6, s6, s4
	s_addc_u32 s7, s7, s5
	s_add_u32 s9, s6, 4
	s_addc_u32 s11, s7, 0
	;; [unrolled: 2-line block ×3, first 2 shown]
	s_cmp_eq_u64 s[12:13], 0
	s_load_b64 s[12:13], s[0:1], 0x50
	s_cselect_b32 s5, s11, s5
	s_cselect_b32 s4, s9, s4
	s_load_b32 s9, s[6:7], 0x0
	s_load_b32 s11, s[4:5], 0x0
	s_waitcnt lgkmcnt(0)
	s_cmp_ge_i32 s9, s11
	s_cbranch_scc1 .LBB297_12
; %bb.8:
	s_clause 0x1
	s_load_b128 s[4:7], s[0:1], 0x30
	s_load_b64 s[16:17], s[0:1], 0x40
	v_dual_mov_b32 v6, 0 :: v_dual_and_b32 v1, 0xffff, v1
	v_cmp_gt_u32_e64 s0, 0x2a4, v0
	v_and_b32_e32 v3, 0xffff, v7
	s_sub_i32 s9, s9, s14
	s_delay_alu instid0(VALU_DEP_3) | instskip(SKIP_2) | instid1(VALU_DEP_1)
	v_subrev_nc_u32_e32 v2, 26, v1
	s_sub_i32 s1, s11, s14
	s_mul_i32 s11, s9, 0x548
	v_cndmask_b32_e64 v1, v2, v1, s0
	v_lshlrev_b32_e32 v2, 1, v0
	s_mul_hi_i32 s0, s9, 0x548
	s_delay_alu instid0(VALU_DEP_2)
	v_cndmask_b32_e32 v1, v3, v1, vcc_lo
	v_cmp_lt_u32_e32 vcc_lo, 0x2a3, v0
	s_waitcnt lgkmcnt(0)
	s_add_u32 s6, s6, s11
	s_addc_u32 s0, s7, s0
	v_add_co_u32 v2, s6, s6, v2
	s_delay_alu instid0(VALU_DEP_1)
	v_add_co_ci_u32_e64 v3, null, s0, 0, s6
	v_cndmask_b32_e64 v8, 0, 1, vcc_lo
	s_set_inst_prefetch_distance 0x1
	s_branch .LBB297_10
	.p2align	6
.LBB297_9:                              ;   in Loop: Header=BB297_10 Depth=1
	s_or_b32 exec_lo, exec_lo, s0
	s_add_i32 s9, s9, 1
	s_delay_alu instid0(SALU_CYCLE_1)
	s_cmp_lt_i32 s9, s1
	s_cbranch_scc0 .LBB297_12
.LBB297_10:                             ; =>This Inner Loop Header: Depth=1
	s_delay_alu instid0(VALU_DEP_1) | instskip(SKIP_1) | instid1(VALU_DEP_1)
	v_add_nc_u32_e32 v4, s9, v8
	s_mov_b32 s0, exec_lo
	v_cmpx_gt_i32_e64 s1, v4
	s_cbranch_execz .LBB297_9
; %bb.11:                               ;   in Loop: Header=BB297_10 Depth=1
	v_ashrrev_i32_e32 v5, 31, v4
	s_delay_alu instid0(VALU_DEP_1) | instskip(NEXT) | instid1(VALU_DEP_1)
	v_lshlrev_b64 v[4:5], 2, v[4:5]
	v_add_co_u32 v4, vcc_lo, s4, v4
	s_delay_alu instid0(VALU_DEP_2) | instskip(SKIP_3) | instid1(VALU_DEP_1)
	v_add_co_ci_u32_e32 v5, vcc_lo, s5, v5, vcc_lo
	global_load_b32 v4, v[4:5], off
	s_waitcnt vmcnt(0)
	v_subrev_nc_u32_e32 v9, s14, v4
	v_mad_u64_u32 v[4:5], null, v9, 26, v[1:2]
	s_delay_alu instid0(VALU_DEP_1) | instskip(NEXT) | instid1(VALU_DEP_1)
	v_ashrrev_i32_e32 v5, 31, v4
	v_lshlrev_b64 v[4:5], 1, v[4:5]
	s_delay_alu instid0(VALU_DEP_1) | instskip(NEXT) | instid1(VALU_DEP_2)
	v_add_co_u32 v4, vcc_lo, s16, v4
	v_add_co_ci_u32_e32 v5, vcc_lo, s17, v5, vcc_lo
	global_load_u16 v9, v[2:3], off
	global_load_u16 v4, v[4:5], off
	v_add_co_u32 v2, vcc_lo, 0x548, v2
	v_add_co_ci_u32_e32 v3, vcc_lo, 0, v3, vcc_lo
	s_waitcnt vmcnt(0)
	v_fma_mix_f32 v6, v9, v4, v6 op_sel_hi:[1,1,0]
	s_branch .LBB297_9
.LBB297_12:
	s_set_inst_prefetch_distance 0x2
	v_lshlrev_b32_e32 v1, 2, v0
	s_and_b32 vcc_lo, exec_lo, s3
	ds_store_b32 v1, v6
	s_waitcnt lgkmcnt(0)
	s_barrier
	buffer_gl0_inv
	s_cbranch_vccz .LBB297_24
; %bb.13:
	s_mov_b32 s0, exec_lo
	v_cmpx_gt_u16_e32 10, v7
	s_cbranch_execz .LBB297_15
; %bb.14:
	ds_load_2addr_b32 v[2:3], v1 offset1:16
	s_waitcnt lgkmcnt(0)
	v_add_f32_e32 v2, v3, v2
	ds_store_b32 v1, v2
.LBB297_15:
	s_or_b32 exec_lo, exec_lo, s0
	s_delay_alu instid0(SALU_CYCLE_1)
	s_mov_b32 s0, exec_lo
	s_waitcnt lgkmcnt(0)
	s_barrier
	buffer_gl0_inv
	v_cmpx_gt_u16_e32 8, v7
	s_cbranch_execz .LBB297_17
; %bb.16:
	ds_load_2addr_b32 v[2:3], v1 offset1:8
	s_waitcnt lgkmcnt(0)
	v_add_f32_e32 v2, v3, v2
	ds_store_b32 v1, v2
.LBB297_17:
	s_or_b32 exec_lo, exec_lo, s0
	s_delay_alu instid0(SALU_CYCLE_1)
	s_mov_b32 s0, exec_lo
	s_waitcnt lgkmcnt(0)
	s_barrier
	buffer_gl0_inv
	;; [unrolled: 14-line block ×3, first 2 shown]
	v_cmpx_gt_u16_e32 2, v7
	s_cbranch_execz .LBB297_21
; %bb.20:
	ds_load_2addr_b32 v[2:3], v1 offset1:2
	s_waitcnt lgkmcnt(0)
	v_add_f32_e32 v2, v3, v2
	ds_store_b32 v1, v2
.LBB297_21:
	s_or_b32 exec_lo, exec_lo, s0
	s_mov_b32 s1, 0
	s_mov_b32 s0, 0
	s_mov_b32 s3, exec_lo
	s_waitcnt lgkmcnt(0)
	s_barrier
	buffer_gl0_inv
                                        ; implicit-def: $vgpr2
                                        ; implicit-def: $vgpr3
	v_cmpx_gt_u32_e32 26, v0
	s_xor_b32 s3, exec_lo, s3
; %bb.22:
	v_mul_u32_u24_e32 v2, 26, v0
	v_mad_u32_u24 v3, 0x64, v0, v1
	s_mov_b32 s0, exec_lo
	s_delay_alu instid0(VALU_DEP_2)
	v_or_b32_e32 v2, 1, v2
; %bb.23:
	s_or_b32 exec_lo, exec_lo, s3
	s_delay_alu instid0(SALU_CYCLE_1)
	s_and_b32 vcc_lo, exec_lo, s1
	s_cbranch_vccnz .LBB297_25
	s_branch .LBB297_36
.LBB297_24:
	s_mov_b32 s0, 0
                                        ; implicit-def: $vgpr2
                                        ; implicit-def: $vgpr3
	s_cbranch_execz .LBB297_36
.LBB297_25:
	s_mov_b32 s1, exec_lo
	v_cmpx_gt_u32_e32 0x104, v0
	s_cbranch_execz .LBB297_27
; %bb.26:
	ds_load_b32 v2, v1 offset:1664
	ds_load_b32 v3, v1
	s_waitcnt lgkmcnt(0)
	v_add_f32_e32 v2, v2, v3
	ds_store_b32 v1, v2
.LBB297_27:
	s_or_b32 exec_lo, exec_lo, s1
	s_delay_alu instid0(SALU_CYCLE_1)
	s_mov_b32 s1, exec_lo
	s_waitcnt lgkmcnt(0)
	s_barrier
	buffer_gl0_inv
	v_cmpx_gt_u32_e32 0xd0, v0
	s_cbranch_execz .LBB297_29
; %bb.28:
	ds_load_2addr_b32 v[2:3], v1 offset1:208
	s_waitcnt lgkmcnt(0)
	v_add_f32_e32 v2, v3, v2
	ds_store_b32 v1, v2
.LBB297_29:
	s_or_b32 exec_lo, exec_lo, s1
	s_delay_alu instid0(SALU_CYCLE_1)
	s_mov_b32 s1, exec_lo
	s_waitcnt lgkmcnt(0)
	s_barrier
	buffer_gl0_inv
	v_cmpx_gt_u32_e32 0x68, v0
	s_cbranch_execz .LBB297_31
; %bb.30:
	ds_load_2addr_b32 v[2:3], v1 offset1:104
	s_waitcnt lgkmcnt(0)
	v_add_f32_e32 v2, v3, v2
	ds_store_b32 v1, v2
.LBB297_31:
	;; [unrolled: 14-line block ×3, first 2 shown]
	s_or_b32 exec_lo, exec_lo, s1
	s_delay_alu instid0(SALU_CYCLE_1)
	s_mov_b32 s1, exec_lo
	s_waitcnt lgkmcnt(0)
	buffer_gl0_inv
                                        ; implicit-def: $vgpr2
	v_cmpx_gt_u32_e32 26, v0
; %bb.34:
	v_add_nc_u32_e32 v2, 26, v0
	s_or_b32 s0, s0, exec_lo
                                        ; implicit-def: $vgpr6
; %bb.35:
	s_or_b32 exec_lo, exec_lo, s1
	v_mov_b32_e32 v3, v1
.LBB297_36:
	s_and_saveexec_b32 s1, s0
	s_cbranch_execz .LBB297_38
; %bb.37:
	v_lshlrev_b32_e32 v1, 2, v2
	ds_load_b32 v2, v3
	ds_load_b32 v1, v1
	s_waitcnt lgkmcnt(0)
	v_add_f32_e32 v6, v2, v1
.LBB297_38:
	s_or_b32 exec_lo, exec_lo, s1
	s_delay_alu instid0(SALU_CYCLE_1)
	s_mov_b32 s0, exec_lo
	v_cmpx_gt_u32_e32 26, v0
	s_cbranch_execz .LBB297_42
; %bb.39:
	v_cmp_eq_f32_e64 s0, s2, 0
	v_mul_f32_e32 v1, s10, v6
	s_delay_alu instid0(VALU_DEP_2)
	s_and_b32 vcc_lo, exec_lo, s0
	s_mov_b32 s0, 0
	s_cbranch_vccz .LBB297_43
; %bb.40:
	s_delay_alu instid0(VALU_DEP_1) | instskip(SKIP_1) | instid1(VALU_DEP_1)
	v_mad_u64_u32 v[2:3], null, s8, 26, v[0:1]
	v_mov_b32_e32 v3, 0
	v_lshlrev_b64 v[2:3], 2, v[2:3]
	s_delay_alu instid0(VALU_DEP_1) | instskip(NEXT) | instid1(VALU_DEP_2)
	v_add_co_u32 v2, vcc_lo, s12, v2
	v_add_co_ci_u32_e32 v3, vcc_lo, s13, v3, vcc_lo
	global_store_b32 v[2:3], v1, off
	s_and_not1_b32 vcc_lo, exec_lo, s0
	s_cbranch_vccnz .LBB297_42
.LBB297_41:
	v_mad_u64_u32 v[2:3], null, s8, 26, v[0:1]
	v_mov_b32_e32 v3, 0
	s_delay_alu instid0(VALU_DEP_1) | instskip(NEXT) | instid1(VALU_DEP_1)
	v_lshlrev_b64 v[2:3], 2, v[2:3]
	v_add_co_u32 v2, vcc_lo, s12, v2
	s_delay_alu instid0(VALU_DEP_2)
	v_add_co_ci_u32_e32 v3, vcc_lo, s13, v3, vcc_lo
	global_load_b32 v0, v[2:3], off
	s_waitcnt vmcnt(0)
	v_fmac_f32_e32 v1, s2, v0
	global_store_b32 v[2:3], v1, off
.LBB297_42:
	s_nop 0
	s_sendmsg sendmsg(MSG_DEALLOC_VGPRS)
	s_endpgm
.LBB297_43:
	s_branch .LBB297_41
	.section	.rodata,"a",@progbits
	.p2align	6, 0x0
	.amdhsa_kernel _ZN9rocsparseL20bsrxmvn_17_32_kernelILj26EfiiDF16_DF16_fEEvT2_20rocsparse_direction_NS_24const_host_device_scalarIT0_EES1_PKS1_PKT1_SA_S7_PKT3_PKT4_S5_PT5_21rocsparse_index_base_b
		.amdhsa_group_segment_fixed_size 2704
		.amdhsa_private_segment_fixed_size 0
		.amdhsa_kernarg_size 96
		.amdhsa_user_sgpr_count 15
		.amdhsa_user_sgpr_dispatch_ptr 0
		.amdhsa_user_sgpr_queue_ptr 0
		.amdhsa_user_sgpr_kernarg_segment_ptr 1
		.amdhsa_user_sgpr_dispatch_id 0
		.amdhsa_user_sgpr_private_segment_size 0
		.amdhsa_wavefront_size32 1
		.amdhsa_uses_dynamic_stack 0
		.amdhsa_enable_private_segment 0
		.amdhsa_system_sgpr_workgroup_id_x 1
		.amdhsa_system_sgpr_workgroup_id_y 0
		.amdhsa_system_sgpr_workgroup_id_z 0
		.amdhsa_system_sgpr_workgroup_info 0
		.amdhsa_system_vgpr_workitem_id 0
		.amdhsa_next_free_vgpr 10
		.amdhsa_next_free_sgpr 18
		.amdhsa_reserve_vcc 1
		.amdhsa_float_round_mode_32 0
		.amdhsa_float_round_mode_16_64 0
		.amdhsa_float_denorm_mode_32 3
		.amdhsa_float_denorm_mode_16_64 3
		.amdhsa_dx10_clamp 1
		.amdhsa_ieee_mode 1
		.amdhsa_fp16_overflow 0
		.amdhsa_workgroup_processor_mode 1
		.amdhsa_memory_ordered 1
		.amdhsa_forward_progress 0
		.amdhsa_shared_vgpr_count 0
		.amdhsa_exception_fp_ieee_invalid_op 0
		.amdhsa_exception_fp_denorm_src 0
		.amdhsa_exception_fp_ieee_div_zero 0
		.amdhsa_exception_fp_ieee_overflow 0
		.amdhsa_exception_fp_ieee_underflow 0
		.amdhsa_exception_fp_ieee_inexact 0
		.amdhsa_exception_int_div_zero 0
	.end_amdhsa_kernel
	.section	.text._ZN9rocsparseL20bsrxmvn_17_32_kernelILj26EfiiDF16_DF16_fEEvT2_20rocsparse_direction_NS_24const_host_device_scalarIT0_EES1_PKS1_PKT1_SA_S7_PKT3_PKT4_S5_PT5_21rocsparse_index_base_b,"axG",@progbits,_ZN9rocsparseL20bsrxmvn_17_32_kernelILj26EfiiDF16_DF16_fEEvT2_20rocsparse_direction_NS_24const_host_device_scalarIT0_EES1_PKS1_PKT1_SA_S7_PKT3_PKT4_S5_PT5_21rocsparse_index_base_b,comdat
.Lfunc_end297:
	.size	_ZN9rocsparseL20bsrxmvn_17_32_kernelILj26EfiiDF16_DF16_fEEvT2_20rocsparse_direction_NS_24const_host_device_scalarIT0_EES1_PKS1_PKT1_SA_S7_PKT3_PKT4_S5_PT5_21rocsparse_index_base_b, .Lfunc_end297-_ZN9rocsparseL20bsrxmvn_17_32_kernelILj26EfiiDF16_DF16_fEEvT2_20rocsparse_direction_NS_24const_host_device_scalarIT0_EES1_PKS1_PKT1_SA_S7_PKT3_PKT4_S5_PT5_21rocsparse_index_base_b
                                        ; -- End function
	.section	.AMDGPU.csdata,"",@progbits
; Kernel info:
; codeLenInByte = 1532
; NumSgprs: 20
; NumVgprs: 10
; ScratchSize: 0
; MemoryBound: 0
; FloatMode: 240
; IeeeMode: 1
; LDSByteSize: 2704 bytes/workgroup (compile time only)
; SGPRBlocks: 2
; VGPRBlocks: 1
; NumSGPRsForWavesPerEU: 20
; NumVGPRsForWavesPerEU: 10
; Occupancy: 11
; WaveLimiterHint : 1
; COMPUTE_PGM_RSRC2:SCRATCH_EN: 0
; COMPUTE_PGM_RSRC2:USER_SGPR: 15
; COMPUTE_PGM_RSRC2:TRAP_HANDLER: 0
; COMPUTE_PGM_RSRC2:TGID_X_EN: 1
; COMPUTE_PGM_RSRC2:TGID_Y_EN: 0
; COMPUTE_PGM_RSRC2:TGID_Z_EN: 0
; COMPUTE_PGM_RSRC2:TIDIG_COMP_CNT: 0
	.section	.text._ZN9rocsparseL20bsrxmvn_17_32_kernelILj27EfiiDF16_DF16_fEEvT2_20rocsparse_direction_NS_24const_host_device_scalarIT0_EES1_PKS1_PKT1_SA_S7_PKT3_PKT4_S5_PT5_21rocsparse_index_base_b,"axG",@progbits,_ZN9rocsparseL20bsrxmvn_17_32_kernelILj27EfiiDF16_DF16_fEEvT2_20rocsparse_direction_NS_24const_host_device_scalarIT0_EES1_PKS1_PKT1_SA_S7_PKT3_PKT4_S5_PT5_21rocsparse_index_base_b,comdat
	.globl	_ZN9rocsparseL20bsrxmvn_17_32_kernelILj27EfiiDF16_DF16_fEEvT2_20rocsparse_direction_NS_24const_host_device_scalarIT0_EES1_PKS1_PKT1_SA_S7_PKT3_PKT4_S5_PT5_21rocsparse_index_base_b ; -- Begin function _ZN9rocsparseL20bsrxmvn_17_32_kernelILj27EfiiDF16_DF16_fEEvT2_20rocsparse_direction_NS_24const_host_device_scalarIT0_EES1_PKS1_PKT1_SA_S7_PKT3_PKT4_S5_PT5_21rocsparse_index_base_b
	.p2align	8
	.type	_ZN9rocsparseL20bsrxmvn_17_32_kernelILj27EfiiDF16_DF16_fEEvT2_20rocsparse_direction_NS_24const_host_device_scalarIT0_EES1_PKS1_PKT1_SA_S7_PKT3_PKT4_S5_PT5_21rocsparse_index_base_b,@function
_ZN9rocsparseL20bsrxmvn_17_32_kernelILj27EfiiDF16_DF16_fEEvT2_20rocsparse_direction_NS_24const_host_device_scalarIT0_EES1_PKS1_PKT1_SA_S7_PKT3_PKT4_S5_PT5_21rocsparse_index_base_b: ; @_ZN9rocsparseL20bsrxmvn_17_32_kernelILj27EfiiDF16_DF16_fEEvT2_20rocsparse_direction_NS_24const_host_device_scalarIT0_EES1_PKS1_PKT1_SA_S7_PKT3_PKT4_S5_PT5_21rocsparse_index_base_b
; %bb.0:
	s_mov_b32 s8, s15
	s_clause 0x2
	s_load_b64 s[14:15], s[0:1], 0x58
	s_load_b64 s[10:11], s[0:1], 0x8
	;; [unrolled: 1-line block ×3, first 2 shown]
	s_waitcnt lgkmcnt(0)
	s_bitcmp1_b32 s15, 0
	s_cselect_b32 s4, -1, 0
	s_delay_alu instid0(SALU_CYCLE_1)
	s_and_b32 vcc_lo, exec_lo, s4
	s_xor_b32 s4, s4, -1
	s_cbranch_vccnz .LBB298_2
; %bb.1:
	s_load_b32 s10, s[10:11], 0x0
.LBB298_2:
	s_and_not1_b32 vcc_lo, exec_lo, s4
	s_cbranch_vccnz .LBB298_4
; %bb.3:
	s_load_b32 s2, s[2:3], 0x0
.LBB298_4:
	s_waitcnt lgkmcnt(0)
	v_cmp_neq_f32_e64 s3, s10, 0
	v_cmp_neq_f32_e64 s4, s2, 1.0
	s_delay_alu instid0(VALU_DEP_1) | instskip(NEXT) | instid1(SALU_CYCLE_1)
	s_or_b32 s3, s3, s4
	s_and_not1_b32 vcc_lo, exec_lo, s3
	s_cbranch_vccnz .LBB298_42
; %bb.5:
	s_clause 0x1
	s_load_b128 s[4:7], s[0:1], 0x18
	s_load_b64 s[12:13], s[0:1], 0x28
	s_waitcnt lgkmcnt(0)
	s_cmp_eq_u64 s[4:5], 0
	s_cbranch_scc1 .LBB298_7
; %bb.6:
	s_ashr_i32 s9, s8, 31
	s_delay_alu instid0(SALU_CYCLE_1) | instskip(NEXT) | instid1(SALU_CYCLE_1)
	s_lshl_b64 s[8:9], s[8:9], 2
	s_add_u32 s4, s4, s8
	s_addc_u32 s5, s5, s9
	s_load_b32 s3, s[4:5], 0x0
	s_waitcnt lgkmcnt(0)
	s_sub_i32 s8, s3, s14
.LBB298_7:
	s_load_b32 s3, s[0:1], 0x4
	v_mul_u32_u24_e32 v1, 0x97c, v0
	v_mov_b32_e32 v6, 0
	s_delay_alu instid0(VALU_DEP_2) | instskip(NEXT) | instid1(VALU_DEP_1)
	v_lshrrev_b32_e32 v1, 16, v1
	v_mul_lo_u16 v2, v1, 27
	s_delay_alu instid0(VALU_DEP_1)
	v_sub_nc_u16 v7, v0, v2
	s_waitcnt lgkmcnt(0)
	s_cmp_eq_u32 s3, 1
	s_cselect_b32 vcc_lo, -1, 0
	s_cmp_lg_u32 s3, 1
	s_cselect_b32 s3, -1, 0
	s_ashr_i32 s9, s8, 31
	s_delay_alu instid0(SALU_CYCLE_1) | instskip(NEXT) | instid1(SALU_CYCLE_1)
	s_lshl_b64 s[4:5], s[8:9], 2
	s_add_u32 s6, s6, s4
	s_addc_u32 s7, s7, s5
	s_add_u32 s9, s6, 4
	s_addc_u32 s11, s7, 0
	;; [unrolled: 2-line block ×3, first 2 shown]
	s_cmp_eq_u64 s[12:13], 0
	s_load_b64 s[12:13], s[0:1], 0x50
	s_cselect_b32 s5, s11, s5
	s_cselect_b32 s4, s9, s4
	s_load_b32 s9, s[6:7], 0x0
	s_load_b32 s11, s[4:5], 0x0
	s_waitcnt lgkmcnt(0)
	s_cmp_ge_i32 s9, s11
	s_cbranch_scc1 .LBB298_12
; %bb.8:
	s_clause 0x1
	s_load_b128 s[4:7], s[0:1], 0x30
	s_load_b64 s[16:17], s[0:1], 0x40
	v_dual_mov_b32 v6, 0 :: v_dual_and_b32 v1, 0xffff, v1
	v_cmp_gt_u32_e64 s0, 0x2d9, v0
	v_and_b32_e32 v3, 0xffff, v7
	s_sub_i32 s9, s9, s14
	s_delay_alu instid0(VALU_DEP_3) | instskip(SKIP_2) | instid1(VALU_DEP_1)
	v_subrev_nc_u32_e32 v2, 27, v1
	s_sub_i32 s1, s11, s14
	s_mul_i32 s11, s9, 0x5b2
	v_cndmask_b32_e64 v1, v2, v1, s0
	v_lshlrev_b32_e32 v2, 1, v0
	s_mul_hi_i32 s0, s9, 0x5b2
	s_delay_alu instid0(VALU_DEP_2)
	v_cndmask_b32_e32 v1, v3, v1, vcc_lo
	v_cmp_lt_u32_e32 vcc_lo, 0x2d8, v0
	s_waitcnt lgkmcnt(0)
	s_add_u32 s6, s6, s11
	s_addc_u32 s0, s7, s0
	v_add_co_u32 v2, s6, s6, v2
	s_delay_alu instid0(VALU_DEP_1)
	v_add_co_ci_u32_e64 v3, null, s0, 0, s6
	v_cndmask_b32_e64 v8, 0, 1, vcc_lo
	s_set_inst_prefetch_distance 0x1
	s_branch .LBB298_10
	.p2align	6
.LBB298_9:                              ;   in Loop: Header=BB298_10 Depth=1
	s_or_b32 exec_lo, exec_lo, s0
	s_add_i32 s9, s9, 1
	s_delay_alu instid0(SALU_CYCLE_1)
	s_cmp_lt_i32 s9, s1
	s_cbranch_scc0 .LBB298_12
.LBB298_10:                             ; =>This Inner Loop Header: Depth=1
	s_delay_alu instid0(VALU_DEP_1) | instskip(SKIP_1) | instid1(VALU_DEP_1)
	v_add_nc_u32_e32 v4, s9, v8
	s_mov_b32 s0, exec_lo
	v_cmpx_gt_i32_e64 s1, v4
	s_cbranch_execz .LBB298_9
; %bb.11:                               ;   in Loop: Header=BB298_10 Depth=1
	v_ashrrev_i32_e32 v5, 31, v4
	s_delay_alu instid0(VALU_DEP_1) | instskip(NEXT) | instid1(VALU_DEP_1)
	v_lshlrev_b64 v[4:5], 2, v[4:5]
	v_add_co_u32 v4, vcc_lo, s4, v4
	s_delay_alu instid0(VALU_DEP_2) | instskip(SKIP_3) | instid1(VALU_DEP_1)
	v_add_co_ci_u32_e32 v5, vcc_lo, s5, v5, vcc_lo
	global_load_b32 v4, v[4:5], off
	s_waitcnt vmcnt(0)
	v_subrev_nc_u32_e32 v9, s14, v4
	v_mad_u64_u32 v[4:5], null, v9, 27, v[1:2]
	s_delay_alu instid0(VALU_DEP_1) | instskip(NEXT) | instid1(VALU_DEP_1)
	v_ashrrev_i32_e32 v5, 31, v4
	v_lshlrev_b64 v[4:5], 1, v[4:5]
	s_delay_alu instid0(VALU_DEP_1) | instskip(NEXT) | instid1(VALU_DEP_2)
	v_add_co_u32 v4, vcc_lo, s16, v4
	v_add_co_ci_u32_e32 v5, vcc_lo, s17, v5, vcc_lo
	global_load_u16 v9, v[2:3], off
	global_load_u16 v4, v[4:5], off
	v_add_co_u32 v2, vcc_lo, 0x5b2, v2
	v_add_co_ci_u32_e32 v3, vcc_lo, 0, v3, vcc_lo
	s_waitcnt vmcnt(0)
	v_fma_mix_f32 v6, v9, v4, v6 op_sel_hi:[1,1,0]
	s_branch .LBB298_9
.LBB298_12:
	s_set_inst_prefetch_distance 0x2
	v_lshlrev_b32_e32 v1, 2, v0
	s_and_b32 vcc_lo, exec_lo, s3
	ds_store_b32 v1, v6
	s_waitcnt lgkmcnt(0)
	s_barrier
	buffer_gl0_inv
	s_cbranch_vccz .LBB298_24
; %bb.13:
	s_mov_b32 s0, exec_lo
	v_cmpx_gt_u16_e32 11, v7
	s_cbranch_execz .LBB298_15
; %bb.14:
	ds_load_2addr_b32 v[2:3], v1 offset1:16
	s_waitcnt lgkmcnt(0)
	v_add_f32_e32 v2, v3, v2
	ds_store_b32 v1, v2
.LBB298_15:
	s_or_b32 exec_lo, exec_lo, s0
	s_delay_alu instid0(SALU_CYCLE_1)
	s_mov_b32 s0, exec_lo
	s_waitcnt lgkmcnt(0)
	s_barrier
	buffer_gl0_inv
	v_cmpx_gt_u16_e32 8, v7
	s_cbranch_execz .LBB298_17
; %bb.16:
	ds_load_2addr_b32 v[2:3], v1 offset1:8
	s_waitcnt lgkmcnt(0)
	v_add_f32_e32 v2, v3, v2
	ds_store_b32 v1, v2
.LBB298_17:
	s_or_b32 exec_lo, exec_lo, s0
	s_delay_alu instid0(SALU_CYCLE_1)
	s_mov_b32 s0, exec_lo
	s_waitcnt lgkmcnt(0)
	s_barrier
	buffer_gl0_inv
	v_cmpx_gt_u16_e32 4, v7
	s_cbranch_execz .LBB298_19
; %bb.18:
	ds_load_2addr_b32 v[2:3], v1 offset1:4
	s_waitcnt lgkmcnt(0)
	v_add_f32_e32 v2, v3, v2
	ds_store_b32 v1, v2
.LBB298_19:
	s_or_b32 exec_lo, exec_lo, s0
	s_delay_alu instid0(SALU_CYCLE_1)
	s_mov_b32 s0, exec_lo
	s_waitcnt lgkmcnt(0)
	s_barrier
	buffer_gl0_inv
	v_cmpx_gt_u16_e32 2, v7
	s_cbranch_execz .LBB298_21
; %bb.20:
	ds_load_2addr_b32 v[2:3], v1 offset1:2
	s_waitcnt lgkmcnt(0)
	v_add_f32_e32 v2, v3, v2
	ds_store_b32 v1, v2
.LBB298_21:
	s_or_b32 exec_lo, exec_lo, s0
	s_mov_b32 s1, 0
	s_mov_b32 s0, 0
	s_mov_b32 s3, exec_lo
	s_waitcnt lgkmcnt(0)
	s_barrier
	buffer_gl0_inv
                                        ; implicit-def: $vgpr2
                                        ; implicit-def: $vgpr3
	v_cmpx_gt_u32_e32 27, v0
	s_xor_b32 s3, exec_lo, s3
; %bb.22:
	v_mad_u32_u24 v2, v0, 27, 1
	v_mad_u32_u24 v3, 0x68, v0, v1
	s_mov_b32 s0, exec_lo
; %bb.23:
	s_or_b32 exec_lo, exec_lo, s3
	s_delay_alu instid0(SALU_CYCLE_1)
	s_and_b32 vcc_lo, exec_lo, s1
	s_cbranch_vccnz .LBB298_25
	s_branch .LBB298_36
.LBB298_24:
	s_mov_b32 s0, 0
                                        ; implicit-def: $vgpr2
                                        ; implicit-def: $vgpr3
	s_cbranch_execz .LBB298_36
.LBB298_25:
	s_mov_b32 s1, exec_lo
	v_cmpx_gt_u32_e32 0x129, v0
	s_cbranch_execz .LBB298_27
; %bb.26:
	ds_load_b32 v2, v1 offset:1728
	ds_load_b32 v3, v1
	s_waitcnt lgkmcnt(0)
	v_add_f32_e32 v2, v2, v3
	ds_store_b32 v1, v2
.LBB298_27:
	s_or_b32 exec_lo, exec_lo, s1
	s_delay_alu instid0(SALU_CYCLE_1)
	s_mov_b32 s1, exec_lo
	s_waitcnt lgkmcnt(0)
	s_barrier
	buffer_gl0_inv
	v_cmpx_gt_u32_e32 0xd8, v0
	s_cbranch_execz .LBB298_29
; %bb.28:
	ds_load_2addr_b32 v[2:3], v1 offset1:216
	s_waitcnt lgkmcnt(0)
	v_add_f32_e32 v2, v3, v2
	ds_store_b32 v1, v2
.LBB298_29:
	s_or_b32 exec_lo, exec_lo, s1
	s_delay_alu instid0(SALU_CYCLE_1)
	s_mov_b32 s1, exec_lo
	s_waitcnt lgkmcnt(0)
	s_barrier
	buffer_gl0_inv
	v_cmpx_gt_u32_e32 0x6c, v0
	s_cbranch_execz .LBB298_31
; %bb.30:
	ds_load_2addr_b32 v[2:3], v1 offset1:108
	s_waitcnt lgkmcnt(0)
	v_add_f32_e32 v2, v3, v2
	ds_store_b32 v1, v2
.LBB298_31:
	;; [unrolled: 14-line block ×3, first 2 shown]
	s_or_b32 exec_lo, exec_lo, s1
	s_delay_alu instid0(SALU_CYCLE_1)
	s_mov_b32 s1, exec_lo
	s_waitcnt lgkmcnt(0)
	buffer_gl0_inv
                                        ; implicit-def: $vgpr2
	v_cmpx_gt_u32_e32 27, v0
; %bb.34:
	v_add_nc_u32_e32 v2, 27, v0
	s_or_b32 s0, s0, exec_lo
                                        ; implicit-def: $vgpr6
; %bb.35:
	s_or_b32 exec_lo, exec_lo, s1
	v_mov_b32_e32 v3, v1
.LBB298_36:
	s_and_saveexec_b32 s1, s0
	s_cbranch_execz .LBB298_38
; %bb.37:
	v_lshlrev_b32_e32 v1, 2, v2
	ds_load_b32 v2, v3
	ds_load_b32 v1, v1
	s_waitcnt lgkmcnt(0)
	v_add_f32_e32 v6, v2, v1
.LBB298_38:
	s_or_b32 exec_lo, exec_lo, s1
	s_delay_alu instid0(SALU_CYCLE_1)
	s_mov_b32 s0, exec_lo
	v_cmpx_gt_u32_e32 27, v0
	s_cbranch_execz .LBB298_42
; %bb.39:
	v_cmp_eq_f32_e64 s0, s2, 0
	v_mul_f32_e32 v1, s10, v6
	s_delay_alu instid0(VALU_DEP_2)
	s_and_b32 vcc_lo, exec_lo, s0
	s_mov_b32 s0, 0
	s_cbranch_vccz .LBB298_43
; %bb.40:
	s_delay_alu instid0(VALU_DEP_1) | instskip(SKIP_1) | instid1(VALU_DEP_1)
	v_mad_u64_u32 v[2:3], null, s8, 27, v[0:1]
	v_mov_b32_e32 v3, 0
	v_lshlrev_b64 v[2:3], 2, v[2:3]
	s_delay_alu instid0(VALU_DEP_1) | instskip(NEXT) | instid1(VALU_DEP_2)
	v_add_co_u32 v2, vcc_lo, s12, v2
	v_add_co_ci_u32_e32 v3, vcc_lo, s13, v3, vcc_lo
	global_store_b32 v[2:3], v1, off
	s_and_not1_b32 vcc_lo, exec_lo, s0
	s_cbranch_vccnz .LBB298_42
.LBB298_41:
	v_mad_u64_u32 v[2:3], null, s8, 27, v[0:1]
	v_mov_b32_e32 v3, 0
	s_delay_alu instid0(VALU_DEP_1) | instskip(NEXT) | instid1(VALU_DEP_1)
	v_lshlrev_b64 v[2:3], 2, v[2:3]
	v_add_co_u32 v2, vcc_lo, s12, v2
	s_delay_alu instid0(VALU_DEP_2)
	v_add_co_ci_u32_e32 v3, vcc_lo, s13, v3, vcc_lo
	global_load_b32 v0, v[2:3], off
	s_waitcnt vmcnt(0)
	v_fmac_f32_e32 v1, s2, v0
	global_store_b32 v[2:3], v1, off
.LBB298_42:
	s_nop 0
	s_sendmsg sendmsg(MSG_DEALLOC_VGPRS)
	s_endpgm
.LBB298_43:
	s_branch .LBB298_41
	.section	.rodata,"a",@progbits
	.p2align	6, 0x0
	.amdhsa_kernel _ZN9rocsparseL20bsrxmvn_17_32_kernelILj27EfiiDF16_DF16_fEEvT2_20rocsparse_direction_NS_24const_host_device_scalarIT0_EES1_PKS1_PKT1_SA_S7_PKT3_PKT4_S5_PT5_21rocsparse_index_base_b
		.amdhsa_group_segment_fixed_size 2916
		.amdhsa_private_segment_fixed_size 0
		.amdhsa_kernarg_size 96
		.amdhsa_user_sgpr_count 15
		.amdhsa_user_sgpr_dispatch_ptr 0
		.amdhsa_user_sgpr_queue_ptr 0
		.amdhsa_user_sgpr_kernarg_segment_ptr 1
		.amdhsa_user_sgpr_dispatch_id 0
		.amdhsa_user_sgpr_private_segment_size 0
		.amdhsa_wavefront_size32 1
		.amdhsa_uses_dynamic_stack 0
		.amdhsa_enable_private_segment 0
		.amdhsa_system_sgpr_workgroup_id_x 1
		.amdhsa_system_sgpr_workgroup_id_y 0
		.amdhsa_system_sgpr_workgroup_id_z 0
		.amdhsa_system_sgpr_workgroup_info 0
		.amdhsa_system_vgpr_workitem_id 0
		.amdhsa_next_free_vgpr 10
		.amdhsa_next_free_sgpr 18
		.amdhsa_reserve_vcc 1
		.amdhsa_float_round_mode_32 0
		.amdhsa_float_round_mode_16_64 0
		.amdhsa_float_denorm_mode_32 3
		.amdhsa_float_denorm_mode_16_64 3
		.amdhsa_dx10_clamp 1
		.amdhsa_ieee_mode 1
		.amdhsa_fp16_overflow 0
		.amdhsa_workgroup_processor_mode 1
		.amdhsa_memory_ordered 1
		.amdhsa_forward_progress 0
		.amdhsa_shared_vgpr_count 0
		.amdhsa_exception_fp_ieee_invalid_op 0
		.amdhsa_exception_fp_denorm_src 0
		.amdhsa_exception_fp_ieee_div_zero 0
		.amdhsa_exception_fp_ieee_overflow 0
		.amdhsa_exception_fp_ieee_underflow 0
		.amdhsa_exception_fp_ieee_inexact 0
		.amdhsa_exception_int_div_zero 0
	.end_amdhsa_kernel
	.section	.text._ZN9rocsparseL20bsrxmvn_17_32_kernelILj27EfiiDF16_DF16_fEEvT2_20rocsparse_direction_NS_24const_host_device_scalarIT0_EES1_PKS1_PKT1_SA_S7_PKT3_PKT4_S5_PT5_21rocsparse_index_base_b,"axG",@progbits,_ZN9rocsparseL20bsrxmvn_17_32_kernelILj27EfiiDF16_DF16_fEEvT2_20rocsparse_direction_NS_24const_host_device_scalarIT0_EES1_PKS1_PKT1_SA_S7_PKT3_PKT4_S5_PT5_21rocsparse_index_base_b,comdat
.Lfunc_end298:
	.size	_ZN9rocsparseL20bsrxmvn_17_32_kernelILj27EfiiDF16_DF16_fEEvT2_20rocsparse_direction_NS_24const_host_device_scalarIT0_EES1_PKS1_PKT1_SA_S7_PKT3_PKT4_S5_PT5_21rocsparse_index_base_b, .Lfunc_end298-_ZN9rocsparseL20bsrxmvn_17_32_kernelILj27EfiiDF16_DF16_fEEvT2_20rocsparse_direction_NS_24const_host_device_scalarIT0_EES1_PKS1_PKT1_SA_S7_PKT3_PKT4_S5_PT5_21rocsparse_index_base_b
                                        ; -- End function
	.section	.AMDGPU.csdata,"",@progbits
; Kernel info:
; codeLenInByte = 1528
; NumSgprs: 20
; NumVgprs: 10
; ScratchSize: 0
; MemoryBound: 0
; FloatMode: 240
; IeeeMode: 1
; LDSByteSize: 2916 bytes/workgroup (compile time only)
; SGPRBlocks: 2
; VGPRBlocks: 1
; NumSGPRsForWavesPerEU: 20
; NumVGPRsForWavesPerEU: 10
; Occupancy: 12
; WaveLimiterHint : 1
; COMPUTE_PGM_RSRC2:SCRATCH_EN: 0
; COMPUTE_PGM_RSRC2:USER_SGPR: 15
; COMPUTE_PGM_RSRC2:TRAP_HANDLER: 0
; COMPUTE_PGM_RSRC2:TGID_X_EN: 1
; COMPUTE_PGM_RSRC2:TGID_Y_EN: 0
; COMPUTE_PGM_RSRC2:TGID_Z_EN: 0
; COMPUTE_PGM_RSRC2:TIDIG_COMP_CNT: 0
	.section	.text._ZN9rocsparseL20bsrxmvn_17_32_kernelILj28EfiiDF16_DF16_fEEvT2_20rocsparse_direction_NS_24const_host_device_scalarIT0_EES1_PKS1_PKT1_SA_S7_PKT3_PKT4_S5_PT5_21rocsparse_index_base_b,"axG",@progbits,_ZN9rocsparseL20bsrxmvn_17_32_kernelILj28EfiiDF16_DF16_fEEvT2_20rocsparse_direction_NS_24const_host_device_scalarIT0_EES1_PKS1_PKT1_SA_S7_PKT3_PKT4_S5_PT5_21rocsparse_index_base_b,comdat
	.globl	_ZN9rocsparseL20bsrxmvn_17_32_kernelILj28EfiiDF16_DF16_fEEvT2_20rocsparse_direction_NS_24const_host_device_scalarIT0_EES1_PKS1_PKT1_SA_S7_PKT3_PKT4_S5_PT5_21rocsparse_index_base_b ; -- Begin function _ZN9rocsparseL20bsrxmvn_17_32_kernelILj28EfiiDF16_DF16_fEEvT2_20rocsparse_direction_NS_24const_host_device_scalarIT0_EES1_PKS1_PKT1_SA_S7_PKT3_PKT4_S5_PT5_21rocsparse_index_base_b
	.p2align	8
	.type	_ZN9rocsparseL20bsrxmvn_17_32_kernelILj28EfiiDF16_DF16_fEEvT2_20rocsparse_direction_NS_24const_host_device_scalarIT0_EES1_PKS1_PKT1_SA_S7_PKT3_PKT4_S5_PT5_21rocsparse_index_base_b,@function
_ZN9rocsparseL20bsrxmvn_17_32_kernelILj28EfiiDF16_DF16_fEEvT2_20rocsparse_direction_NS_24const_host_device_scalarIT0_EES1_PKS1_PKT1_SA_S7_PKT3_PKT4_S5_PT5_21rocsparse_index_base_b: ; @_ZN9rocsparseL20bsrxmvn_17_32_kernelILj28EfiiDF16_DF16_fEEvT2_20rocsparse_direction_NS_24const_host_device_scalarIT0_EES1_PKS1_PKT1_SA_S7_PKT3_PKT4_S5_PT5_21rocsparse_index_base_b
; %bb.0:
	s_mov_b32 s8, s15
	s_clause 0x2
	s_load_b64 s[14:15], s[0:1], 0x58
	s_load_b64 s[10:11], s[0:1], 0x8
	;; [unrolled: 1-line block ×3, first 2 shown]
	s_waitcnt lgkmcnt(0)
	s_bitcmp1_b32 s15, 0
	s_cselect_b32 s4, -1, 0
	s_delay_alu instid0(SALU_CYCLE_1)
	s_and_b32 vcc_lo, exec_lo, s4
	s_xor_b32 s4, s4, -1
	s_cbranch_vccnz .LBB299_2
; %bb.1:
	s_load_b32 s10, s[10:11], 0x0
.LBB299_2:
	s_and_not1_b32 vcc_lo, exec_lo, s4
	s_cbranch_vccnz .LBB299_4
; %bb.3:
	s_load_b32 s2, s[2:3], 0x0
.LBB299_4:
	s_waitcnt lgkmcnt(0)
	v_cmp_neq_f32_e64 s3, s10, 0
	v_cmp_neq_f32_e64 s4, s2, 1.0
	s_delay_alu instid0(VALU_DEP_1) | instskip(NEXT) | instid1(SALU_CYCLE_1)
	s_or_b32 s3, s3, s4
	s_and_not1_b32 vcc_lo, exec_lo, s3
	s_cbranch_vccnz .LBB299_42
; %bb.5:
	s_clause 0x1
	s_load_b128 s[4:7], s[0:1], 0x18
	s_load_b64 s[12:13], s[0:1], 0x28
	s_waitcnt lgkmcnt(0)
	s_cmp_eq_u64 s[4:5], 0
	s_cbranch_scc1 .LBB299_7
; %bb.6:
	s_ashr_i32 s9, s8, 31
	s_delay_alu instid0(SALU_CYCLE_1) | instskip(NEXT) | instid1(SALU_CYCLE_1)
	s_lshl_b64 s[8:9], s[8:9], 2
	s_add_u32 s4, s4, s8
	s_addc_u32 s5, s5, s9
	s_load_b32 s3, s[4:5], 0x0
	s_waitcnt lgkmcnt(0)
	s_sub_i32 s8, s3, s14
.LBB299_7:
	s_load_b32 s3, s[0:1], 0x4
	v_mul_u32_u24_e32 v1, 0x925, v0
	v_mov_b32_e32 v6, 0
	s_delay_alu instid0(VALU_DEP_2) | instskip(NEXT) | instid1(VALU_DEP_1)
	v_lshrrev_b32_e32 v1, 16, v1
	v_mul_lo_u16 v2, v1, 28
	s_delay_alu instid0(VALU_DEP_1)
	v_sub_nc_u16 v7, v0, v2
	s_waitcnt lgkmcnt(0)
	s_cmp_eq_u32 s3, 1
	s_cselect_b32 vcc_lo, -1, 0
	s_cmp_lg_u32 s3, 1
	s_cselect_b32 s3, -1, 0
	s_ashr_i32 s9, s8, 31
	s_delay_alu instid0(SALU_CYCLE_1) | instskip(NEXT) | instid1(SALU_CYCLE_1)
	s_lshl_b64 s[4:5], s[8:9], 2
	s_add_u32 s6, s6, s4
	s_addc_u32 s7, s7, s5
	s_add_u32 s9, s6, 4
	s_addc_u32 s11, s7, 0
	;; [unrolled: 2-line block ×3, first 2 shown]
	s_cmp_eq_u64 s[12:13], 0
	s_load_b64 s[12:13], s[0:1], 0x50
	s_cselect_b32 s5, s11, s5
	s_cselect_b32 s4, s9, s4
	s_load_b32 s9, s[6:7], 0x0
	s_load_b32 s11, s[4:5], 0x0
	s_waitcnt lgkmcnt(0)
	s_cmp_ge_i32 s9, s11
	s_cbranch_scc1 .LBB299_12
; %bb.8:
	s_clause 0x1
	s_load_b128 s[4:7], s[0:1], 0x30
	s_load_b64 s[16:17], s[0:1], 0x40
	v_dual_mov_b32 v6, 0 :: v_dual_and_b32 v1, 0xffff, v1
	v_cmp_gt_u32_e64 s0, 0x310, v0
	v_and_b32_e32 v3, 0xffff, v7
	s_sub_i32 s9, s9, s14
	s_delay_alu instid0(VALU_DEP_3) | instskip(SKIP_2) | instid1(VALU_DEP_1)
	v_subrev_nc_u32_e32 v2, 28, v1
	s_sub_i32 s1, s11, s14
	s_mul_i32 s11, s9, 0x620
	v_cndmask_b32_e64 v1, v2, v1, s0
	v_lshlrev_b32_e32 v2, 1, v0
	s_mul_hi_i32 s0, s9, 0x620
	s_delay_alu instid0(VALU_DEP_2)
	v_cndmask_b32_e32 v1, v3, v1, vcc_lo
	v_cmp_lt_u32_e32 vcc_lo, 0x30f, v0
	s_waitcnt lgkmcnt(0)
	s_add_u32 s6, s6, s11
	s_addc_u32 s0, s7, s0
	v_add_co_u32 v2, s6, s6, v2
	s_delay_alu instid0(VALU_DEP_1)
	v_add_co_ci_u32_e64 v3, null, s0, 0, s6
	v_cndmask_b32_e64 v8, 0, 1, vcc_lo
	s_set_inst_prefetch_distance 0x1
	s_branch .LBB299_10
	.p2align	6
.LBB299_9:                              ;   in Loop: Header=BB299_10 Depth=1
	s_or_b32 exec_lo, exec_lo, s0
	s_add_i32 s9, s9, 1
	s_delay_alu instid0(SALU_CYCLE_1)
	s_cmp_lt_i32 s9, s1
	s_cbranch_scc0 .LBB299_12
.LBB299_10:                             ; =>This Inner Loop Header: Depth=1
	s_delay_alu instid0(VALU_DEP_1) | instskip(SKIP_1) | instid1(VALU_DEP_1)
	v_add_nc_u32_e32 v4, s9, v8
	s_mov_b32 s0, exec_lo
	v_cmpx_gt_i32_e64 s1, v4
	s_cbranch_execz .LBB299_9
; %bb.11:                               ;   in Loop: Header=BB299_10 Depth=1
	v_ashrrev_i32_e32 v5, 31, v4
	s_delay_alu instid0(VALU_DEP_1) | instskip(NEXT) | instid1(VALU_DEP_1)
	v_lshlrev_b64 v[4:5], 2, v[4:5]
	v_add_co_u32 v4, vcc_lo, s4, v4
	s_delay_alu instid0(VALU_DEP_2) | instskip(SKIP_3) | instid1(VALU_DEP_1)
	v_add_co_ci_u32_e32 v5, vcc_lo, s5, v5, vcc_lo
	global_load_b32 v4, v[4:5], off
	s_waitcnt vmcnt(0)
	v_subrev_nc_u32_e32 v9, s14, v4
	v_mad_u64_u32 v[4:5], null, v9, 28, v[1:2]
	s_delay_alu instid0(VALU_DEP_1) | instskip(NEXT) | instid1(VALU_DEP_1)
	v_ashrrev_i32_e32 v5, 31, v4
	v_lshlrev_b64 v[4:5], 1, v[4:5]
	s_delay_alu instid0(VALU_DEP_1) | instskip(NEXT) | instid1(VALU_DEP_2)
	v_add_co_u32 v4, vcc_lo, s16, v4
	v_add_co_ci_u32_e32 v5, vcc_lo, s17, v5, vcc_lo
	global_load_u16 v9, v[2:3], off
	global_load_u16 v4, v[4:5], off
	v_add_co_u32 v2, vcc_lo, 0x620, v2
	v_add_co_ci_u32_e32 v3, vcc_lo, 0, v3, vcc_lo
	s_waitcnt vmcnt(0)
	v_fma_mix_f32 v6, v9, v4, v6 op_sel_hi:[1,1,0]
	s_branch .LBB299_9
.LBB299_12:
	s_set_inst_prefetch_distance 0x2
	v_lshlrev_b32_e32 v1, 2, v0
	s_and_b32 vcc_lo, exec_lo, s3
	ds_store_b32 v1, v6
	s_waitcnt lgkmcnt(0)
	s_barrier
	buffer_gl0_inv
	s_cbranch_vccz .LBB299_24
; %bb.13:
	s_mov_b32 s0, exec_lo
	v_cmpx_gt_u16_e32 12, v7
	s_cbranch_execz .LBB299_15
; %bb.14:
	ds_load_2addr_b32 v[2:3], v1 offset1:16
	s_waitcnt lgkmcnt(0)
	v_add_f32_e32 v2, v3, v2
	ds_store_b32 v1, v2
.LBB299_15:
	s_or_b32 exec_lo, exec_lo, s0
	s_delay_alu instid0(SALU_CYCLE_1)
	s_mov_b32 s0, exec_lo
	s_waitcnt lgkmcnt(0)
	s_barrier
	buffer_gl0_inv
	v_cmpx_gt_u16_e32 8, v7
	s_cbranch_execz .LBB299_17
; %bb.16:
	ds_load_2addr_b32 v[2:3], v1 offset1:8
	s_waitcnt lgkmcnt(0)
	v_add_f32_e32 v2, v3, v2
	ds_store_b32 v1, v2
.LBB299_17:
	s_or_b32 exec_lo, exec_lo, s0
	s_delay_alu instid0(SALU_CYCLE_1)
	s_mov_b32 s0, exec_lo
	s_waitcnt lgkmcnt(0)
	s_barrier
	buffer_gl0_inv
	;; [unrolled: 14-line block ×3, first 2 shown]
	v_cmpx_gt_u16_e32 2, v7
	s_cbranch_execz .LBB299_21
; %bb.20:
	ds_load_2addr_b32 v[2:3], v1 offset1:2
	s_waitcnt lgkmcnt(0)
	v_add_f32_e32 v2, v3, v2
	ds_store_b32 v1, v2
.LBB299_21:
	s_or_b32 exec_lo, exec_lo, s0
	s_mov_b32 s1, 0
	s_mov_b32 s0, 0
	s_mov_b32 s3, exec_lo
	s_waitcnt lgkmcnt(0)
	s_barrier
	buffer_gl0_inv
                                        ; implicit-def: $vgpr2
                                        ; implicit-def: $vgpr3
	v_cmpx_gt_u32_e32 28, v0
	s_xor_b32 s3, exec_lo, s3
; %bb.22:
	v_mul_u32_u24_e32 v2, 28, v0
	v_mad_u32_u24 v3, 0x6c, v0, v1
	s_mov_b32 s0, exec_lo
	s_delay_alu instid0(VALU_DEP_2)
	v_or_b32_e32 v2, 1, v2
; %bb.23:
	s_or_b32 exec_lo, exec_lo, s3
	s_delay_alu instid0(SALU_CYCLE_1)
	s_and_b32 vcc_lo, exec_lo, s1
	s_cbranch_vccnz .LBB299_25
	s_branch .LBB299_36
.LBB299_24:
	s_mov_b32 s0, 0
                                        ; implicit-def: $vgpr2
                                        ; implicit-def: $vgpr3
	s_cbranch_execz .LBB299_36
.LBB299_25:
	s_mov_b32 s1, exec_lo
	v_cmpx_gt_u32_e32 0x150, v0
	s_cbranch_execz .LBB299_27
; %bb.26:
	ds_load_2addr_stride64_b32 v[2:3], v1 offset1:7
	s_waitcnt lgkmcnt(0)
	v_add_f32_e32 v2, v3, v2
	ds_store_b32 v1, v2
.LBB299_27:
	s_or_b32 exec_lo, exec_lo, s1
	s_delay_alu instid0(SALU_CYCLE_1)
	s_mov_b32 s1, exec_lo
	s_waitcnt lgkmcnt(0)
	s_barrier
	buffer_gl0_inv
	v_cmpx_gt_u32_e32 0xe0, v0
	s_cbranch_execz .LBB299_29
; %bb.28:
	ds_load_2addr_b32 v[2:3], v1 offset1:224
	s_waitcnt lgkmcnt(0)
	v_add_f32_e32 v2, v3, v2
	ds_store_b32 v1, v2
.LBB299_29:
	s_or_b32 exec_lo, exec_lo, s1
	s_delay_alu instid0(SALU_CYCLE_1)
	s_mov_b32 s1, exec_lo
	s_waitcnt lgkmcnt(0)
	s_barrier
	buffer_gl0_inv
	v_cmpx_gt_u32_e32 0x70, v0
	s_cbranch_execz .LBB299_31
; %bb.30:
	ds_load_2addr_b32 v[2:3], v1 offset1:112
	s_waitcnt lgkmcnt(0)
	v_add_f32_e32 v2, v3, v2
	ds_store_b32 v1, v2
.LBB299_31:
	;; [unrolled: 14-line block ×3, first 2 shown]
	s_or_b32 exec_lo, exec_lo, s1
	s_delay_alu instid0(SALU_CYCLE_1)
	s_mov_b32 s1, exec_lo
	s_waitcnt lgkmcnt(0)
	buffer_gl0_inv
                                        ; implicit-def: $vgpr2
	v_cmpx_gt_u32_e32 28, v0
; %bb.34:
	v_add_nc_u32_e32 v2, 28, v0
	s_or_b32 s0, s0, exec_lo
                                        ; implicit-def: $vgpr6
; %bb.35:
	s_or_b32 exec_lo, exec_lo, s1
	v_mov_b32_e32 v3, v1
.LBB299_36:
	s_and_saveexec_b32 s1, s0
	s_cbranch_execz .LBB299_38
; %bb.37:
	v_lshlrev_b32_e32 v1, 2, v2
	ds_load_b32 v2, v3
	ds_load_b32 v1, v1
	s_waitcnt lgkmcnt(0)
	v_add_f32_e32 v6, v2, v1
.LBB299_38:
	s_or_b32 exec_lo, exec_lo, s1
	s_delay_alu instid0(SALU_CYCLE_1)
	s_mov_b32 s0, exec_lo
	v_cmpx_gt_u32_e32 28, v0
	s_cbranch_execz .LBB299_42
; %bb.39:
	v_cmp_eq_f32_e64 s0, s2, 0
	v_mul_f32_e32 v1, s10, v6
	s_delay_alu instid0(VALU_DEP_2)
	s_and_b32 vcc_lo, exec_lo, s0
	s_mov_b32 s0, 0
	s_cbranch_vccz .LBB299_43
; %bb.40:
	s_delay_alu instid0(VALU_DEP_1) | instskip(SKIP_1) | instid1(VALU_DEP_1)
	v_mad_u64_u32 v[2:3], null, s8, 28, v[0:1]
	v_mov_b32_e32 v3, 0
	v_lshlrev_b64 v[2:3], 2, v[2:3]
	s_delay_alu instid0(VALU_DEP_1) | instskip(NEXT) | instid1(VALU_DEP_2)
	v_add_co_u32 v2, vcc_lo, s12, v2
	v_add_co_ci_u32_e32 v3, vcc_lo, s13, v3, vcc_lo
	global_store_b32 v[2:3], v1, off
	s_and_not1_b32 vcc_lo, exec_lo, s0
	s_cbranch_vccnz .LBB299_42
.LBB299_41:
	v_mad_u64_u32 v[2:3], null, s8, 28, v[0:1]
	v_mov_b32_e32 v3, 0
	s_delay_alu instid0(VALU_DEP_1) | instskip(NEXT) | instid1(VALU_DEP_1)
	v_lshlrev_b64 v[2:3], 2, v[2:3]
	v_add_co_u32 v2, vcc_lo, s12, v2
	s_delay_alu instid0(VALU_DEP_2)
	v_add_co_ci_u32_e32 v3, vcc_lo, s13, v3, vcc_lo
	global_load_b32 v0, v[2:3], off
	s_waitcnt vmcnt(0)
	v_fmac_f32_e32 v1, s2, v0
	global_store_b32 v[2:3], v1, off
.LBB299_42:
	s_nop 0
	s_sendmsg sendmsg(MSG_DEALLOC_VGPRS)
	s_endpgm
.LBB299_43:
	s_branch .LBB299_41
	.section	.rodata,"a",@progbits
	.p2align	6, 0x0
	.amdhsa_kernel _ZN9rocsparseL20bsrxmvn_17_32_kernelILj28EfiiDF16_DF16_fEEvT2_20rocsparse_direction_NS_24const_host_device_scalarIT0_EES1_PKS1_PKT1_SA_S7_PKT3_PKT4_S5_PT5_21rocsparse_index_base_b
		.amdhsa_group_segment_fixed_size 3136
		.amdhsa_private_segment_fixed_size 0
		.amdhsa_kernarg_size 96
		.amdhsa_user_sgpr_count 15
		.amdhsa_user_sgpr_dispatch_ptr 0
		.amdhsa_user_sgpr_queue_ptr 0
		.amdhsa_user_sgpr_kernarg_segment_ptr 1
		.amdhsa_user_sgpr_dispatch_id 0
		.amdhsa_user_sgpr_private_segment_size 0
		.amdhsa_wavefront_size32 1
		.amdhsa_uses_dynamic_stack 0
		.amdhsa_enable_private_segment 0
		.amdhsa_system_sgpr_workgroup_id_x 1
		.amdhsa_system_sgpr_workgroup_id_y 0
		.amdhsa_system_sgpr_workgroup_id_z 0
		.amdhsa_system_sgpr_workgroup_info 0
		.amdhsa_system_vgpr_workitem_id 0
		.amdhsa_next_free_vgpr 10
		.amdhsa_next_free_sgpr 18
		.amdhsa_reserve_vcc 1
		.amdhsa_float_round_mode_32 0
		.amdhsa_float_round_mode_16_64 0
		.amdhsa_float_denorm_mode_32 3
		.amdhsa_float_denorm_mode_16_64 3
		.amdhsa_dx10_clamp 1
		.amdhsa_ieee_mode 1
		.amdhsa_fp16_overflow 0
		.amdhsa_workgroup_processor_mode 1
		.amdhsa_memory_ordered 1
		.amdhsa_forward_progress 0
		.amdhsa_shared_vgpr_count 0
		.amdhsa_exception_fp_ieee_invalid_op 0
		.amdhsa_exception_fp_denorm_src 0
		.amdhsa_exception_fp_ieee_div_zero 0
		.amdhsa_exception_fp_ieee_overflow 0
		.amdhsa_exception_fp_ieee_underflow 0
		.amdhsa_exception_fp_ieee_inexact 0
		.amdhsa_exception_int_div_zero 0
	.end_amdhsa_kernel
	.section	.text._ZN9rocsparseL20bsrxmvn_17_32_kernelILj28EfiiDF16_DF16_fEEvT2_20rocsparse_direction_NS_24const_host_device_scalarIT0_EES1_PKS1_PKT1_SA_S7_PKT3_PKT4_S5_PT5_21rocsparse_index_base_b,"axG",@progbits,_ZN9rocsparseL20bsrxmvn_17_32_kernelILj28EfiiDF16_DF16_fEEvT2_20rocsparse_direction_NS_24const_host_device_scalarIT0_EES1_PKS1_PKT1_SA_S7_PKT3_PKT4_S5_PT5_21rocsparse_index_base_b,comdat
.Lfunc_end299:
	.size	_ZN9rocsparseL20bsrxmvn_17_32_kernelILj28EfiiDF16_DF16_fEEvT2_20rocsparse_direction_NS_24const_host_device_scalarIT0_EES1_PKS1_PKT1_SA_S7_PKT3_PKT4_S5_PT5_21rocsparse_index_base_b, .Lfunc_end299-_ZN9rocsparseL20bsrxmvn_17_32_kernelILj28EfiiDF16_DF16_fEEvT2_20rocsparse_direction_NS_24const_host_device_scalarIT0_EES1_PKS1_PKT1_SA_S7_PKT3_PKT4_S5_PT5_21rocsparse_index_base_b
                                        ; -- End function
	.section	.AMDGPU.csdata,"",@progbits
; Kernel info:
; codeLenInByte = 1524
; NumSgprs: 20
; NumVgprs: 10
; ScratchSize: 0
; MemoryBound: 0
; FloatMode: 240
; IeeeMode: 1
; LDSByteSize: 3136 bytes/workgroup (compile time only)
; SGPRBlocks: 2
; VGPRBlocks: 1
; NumSGPRsForWavesPerEU: 20
; NumVGPRsForWavesPerEU: 10
; Occupancy: 13
; WaveLimiterHint : 1
; COMPUTE_PGM_RSRC2:SCRATCH_EN: 0
; COMPUTE_PGM_RSRC2:USER_SGPR: 15
; COMPUTE_PGM_RSRC2:TRAP_HANDLER: 0
; COMPUTE_PGM_RSRC2:TGID_X_EN: 1
; COMPUTE_PGM_RSRC2:TGID_Y_EN: 0
; COMPUTE_PGM_RSRC2:TGID_Z_EN: 0
; COMPUTE_PGM_RSRC2:TIDIG_COMP_CNT: 0
	.section	.text._ZN9rocsparseL20bsrxmvn_17_32_kernelILj29EfiiDF16_DF16_fEEvT2_20rocsparse_direction_NS_24const_host_device_scalarIT0_EES1_PKS1_PKT1_SA_S7_PKT3_PKT4_S5_PT5_21rocsparse_index_base_b,"axG",@progbits,_ZN9rocsparseL20bsrxmvn_17_32_kernelILj29EfiiDF16_DF16_fEEvT2_20rocsparse_direction_NS_24const_host_device_scalarIT0_EES1_PKS1_PKT1_SA_S7_PKT3_PKT4_S5_PT5_21rocsparse_index_base_b,comdat
	.globl	_ZN9rocsparseL20bsrxmvn_17_32_kernelILj29EfiiDF16_DF16_fEEvT2_20rocsparse_direction_NS_24const_host_device_scalarIT0_EES1_PKS1_PKT1_SA_S7_PKT3_PKT4_S5_PT5_21rocsparse_index_base_b ; -- Begin function _ZN9rocsparseL20bsrxmvn_17_32_kernelILj29EfiiDF16_DF16_fEEvT2_20rocsparse_direction_NS_24const_host_device_scalarIT0_EES1_PKS1_PKT1_SA_S7_PKT3_PKT4_S5_PT5_21rocsparse_index_base_b
	.p2align	8
	.type	_ZN9rocsparseL20bsrxmvn_17_32_kernelILj29EfiiDF16_DF16_fEEvT2_20rocsparse_direction_NS_24const_host_device_scalarIT0_EES1_PKS1_PKT1_SA_S7_PKT3_PKT4_S5_PT5_21rocsparse_index_base_b,@function
_ZN9rocsparseL20bsrxmvn_17_32_kernelILj29EfiiDF16_DF16_fEEvT2_20rocsparse_direction_NS_24const_host_device_scalarIT0_EES1_PKS1_PKT1_SA_S7_PKT3_PKT4_S5_PT5_21rocsparse_index_base_b: ; @_ZN9rocsparseL20bsrxmvn_17_32_kernelILj29EfiiDF16_DF16_fEEvT2_20rocsparse_direction_NS_24const_host_device_scalarIT0_EES1_PKS1_PKT1_SA_S7_PKT3_PKT4_S5_PT5_21rocsparse_index_base_b
; %bb.0:
	s_mov_b32 s8, s15
	s_clause 0x2
	s_load_b64 s[14:15], s[0:1], 0x58
	s_load_b64 s[10:11], s[0:1], 0x8
	;; [unrolled: 1-line block ×3, first 2 shown]
	s_waitcnt lgkmcnt(0)
	s_bitcmp1_b32 s15, 0
	s_cselect_b32 s4, -1, 0
	s_delay_alu instid0(SALU_CYCLE_1)
	s_and_b32 vcc_lo, exec_lo, s4
	s_xor_b32 s4, s4, -1
	s_cbranch_vccnz .LBB300_2
; %bb.1:
	s_load_b32 s10, s[10:11], 0x0
.LBB300_2:
	s_and_not1_b32 vcc_lo, exec_lo, s4
	s_cbranch_vccnz .LBB300_4
; %bb.3:
	s_load_b32 s2, s[2:3], 0x0
.LBB300_4:
	s_waitcnt lgkmcnt(0)
	v_cmp_neq_f32_e64 s3, s10, 0
	v_cmp_neq_f32_e64 s4, s2, 1.0
	s_delay_alu instid0(VALU_DEP_1) | instskip(NEXT) | instid1(SALU_CYCLE_1)
	s_or_b32 s3, s3, s4
	s_and_not1_b32 vcc_lo, exec_lo, s3
	s_cbranch_vccnz .LBB300_42
; %bb.5:
	s_clause 0x1
	s_load_b128 s[4:7], s[0:1], 0x18
	s_load_b64 s[12:13], s[0:1], 0x28
	s_waitcnt lgkmcnt(0)
	s_cmp_eq_u64 s[4:5], 0
	s_cbranch_scc1 .LBB300_7
; %bb.6:
	s_ashr_i32 s9, s8, 31
	s_delay_alu instid0(SALU_CYCLE_1) | instskip(NEXT) | instid1(SALU_CYCLE_1)
	s_lshl_b64 s[8:9], s[8:9], 2
	s_add_u32 s4, s4, s8
	s_addc_u32 s5, s5, s9
	s_load_b32 s3, s[4:5], 0x0
	s_waitcnt lgkmcnt(0)
	s_sub_i32 s8, s3, s14
.LBB300_7:
	s_load_b32 s3, s[0:1], 0x4
	v_mul_u32_u24_e32 v1, 0x8d4, v0
	v_mov_b32_e32 v6, 0
	s_delay_alu instid0(VALU_DEP_2) | instskip(NEXT) | instid1(VALU_DEP_1)
	v_lshrrev_b32_e32 v1, 16, v1
	v_mul_lo_u16 v2, v1, 29
	s_delay_alu instid0(VALU_DEP_1)
	v_sub_nc_u16 v7, v0, v2
	s_waitcnt lgkmcnt(0)
	s_cmp_eq_u32 s3, 1
	s_cselect_b32 vcc_lo, -1, 0
	s_cmp_lg_u32 s3, 1
	s_cselect_b32 s3, -1, 0
	s_ashr_i32 s9, s8, 31
	s_delay_alu instid0(SALU_CYCLE_1) | instskip(NEXT) | instid1(SALU_CYCLE_1)
	s_lshl_b64 s[4:5], s[8:9], 2
	s_add_u32 s6, s6, s4
	s_addc_u32 s7, s7, s5
	s_add_u32 s9, s6, 4
	s_addc_u32 s11, s7, 0
	;; [unrolled: 2-line block ×3, first 2 shown]
	s_cmp_eq_u64 s[12:13], 0
	s_load_b64 s[12:13], s[0:1], 0x50
	s_cselect_b32 s5, s11, s5
	s_cselect_b32 s4, s9, s4
	s_load_b32 s9, s[6:7], 0x0
	s_load_b32 s11, s[4:5], 0x0
	s_waitcnt lgkmcnt(0)
	s_cmp_ge_i32 s9, s11
	s_cbranch_scc1 .LBB300_12
; %bb.8:
	s_clause 0x1
	s_load_b128 s[4:7], s[0:1], 0x30
	s_load_b64 s[16:17], s[0:1], 0x40
	v_dual_mov_b32 v6, 0 :: v_dual_and_b32 v1, 0xffff, v1
	v_cmp_gt_u32_e64 s0, 0x349, v0
	v_and_b32_e32 v3, 0xffff, v7
	s_sub_i32 s9, s9, s14
	s_delay_alu instid0(VALU_DEP_3) | instskip(SKIP_2) | instid1(VALU_DEP_1)
	v_subrev_nc_u32_e32 v2, 29, v1
	s_sub_i32 s1, s11, s14
	s_mul_i32 s11, s9, 0x692
	v_cndmask_b32_e64 v1, v2, v1, s0
	v_lshlrev_b32_e32 v2, 1, v0
	s_mul_hi_i32 s0, s9, 0x692
	s_delay_alu instid0(VALU_DEP_2)
	v_cndmask_b32_e32 v1, v3, v1, vcc_lo
	v_cmp_lt_u32_e32 vcc_lo, 0x348, v0
	s_waitcnt lgkmcnt(0)
	s_add_u32 s6, s6, s11
	s_addc_u32 s0, s7, s0
	v_add_co_u32 v2, s6, s6, v2
	s_delay_alu instid0(VALU_DEP_1)
	v_add_co_ci_u32_e64 v3, null, s0, 0, s6
	v_cndmask_b32_e64 v8, 0, 1, vcc_lo
	s_set_inst_prefetch_distance 0x1
	s_branch .LBB300_10
	.p2align	6
.LBB300_9:                              ;   in Loop: Header=BB300_10 Depth=1
	s_or_b32 exec_lo, exec_lo, s0
	s_add_i32 s9, s9, 1
	s_delay_alu instid0(SALU_CYCLE_1)
	s_cmp_lt_i32 s9, s1
	s_cbranch_scc0 .LBB300_12
.LBB300_10:                             ; =>This Inner Loop Header: Depth=1
	s_delay_alu instid0(VALU_DEP_1) | instskip(SKIP_1) | instid1(VALU_DEP_1)
	v_add_nc_u32_e32 v4, s9, v8
	s_mov_b32 s0, exec_lo
	v_cmpx_gt_i32_e64 s1, v4
	s_cbranch_execz .LBB300_9
; %bb.11:                               ;   in Loop: Header=BB300_10 Depth=1
	v_ashrrev_i32_e32 v5, 31, v4
	s_delay_alu instid0(VALU_DEP_1) | instskip(NEXT) | instid1(VALU_DEP_1)
	v_lshlrev_b64 v[4:5], 2, v[4:5]
	v_add_co_u32 v4, vcc_lo, s4, v4
	s_delay_alu instid0(VALU_DEP_2) | instskip(SKIP_3) | instid1(VALU_DEP_1)
	v_add_co_ci_u32_e32 v5, vcc_lo, s5, v5, vcc_lo
	global_load_b32 v4, v[4:5], off
	s_waitcnt vmcnt(0)
	v_subrev_nc_u32_e32 v9, s14, v4
	v_mad_u64_u32 v[4:5], null, v9, 29, v[1:2]
	s_delay_alu instid0(VALU_DEP_1) | instskip(NEXT) | instid1(VALU_DEP_1)
	v_ashrrev_i32_e32 v5, 31, v4
	v_lshlrev_b64 v[4:5], 1, v[4:5]
	s_delay_alu instid0(VALU_DEP_1) | instskip(NEXT) | instid1(VALU_DEP_2)
	v_add_co_u32 v4, vcc_lo, s16, v4
	v_add_co_ci_u32_e32 v5, vcc_lo, s17, v5, vcc_lo
	global_load_u16 v9, v[2:3], off
	global_load_u16 v4, v[4:5], off
	v_add_co_u32 v2, vcc_lo, 0x692, v2
	v_add_co_ci_u32_e32 v3, vcc_lo, 0, v3, vcc_lo
	s_waitcnt vmcnt(0)
	v_fma_mix_f32 v6, v9, v4, v6 op_sel_hi:[1,1,0]
	s_branch .LBB300_9
.LBB300_12:
	s_set_inst_prefetch_distance 0x2
	v_lshlrev_b32_e32 v1, 2, v0
	s_and_b32 vcc_lo, exec_lo, s3
	ds_store_b32 v1, v6
	s_waitcnt lgkmcnt(0)
	s_barrier
	buffer_gl0_inv
	s_cbranch_vccz .LBB300_24
; %bb.13:
	s_mov_b32 s0, exec_lo
	v_cmpx_gt_u16_e32 13, v7
	s_cbranch_execz .LBB300_15
; %bb.14:
	ds_load_2addr_b32 v[2:3], v1 offset1:16
	s_waitcnt lgkmcnt(0)
	v_add_f32_e32 v2, v3, v2
	ds_store_b32 v1, v2
.LBB300_15:
	s_or_b32 exec_lo, exec_lo, s0
	s_delay_alu instid0(SALU_CYCLE_1)
	s_mov_b32 s0, exec_lo
	s_waitcnt lgkmcnt(0)
	s_barrier
	buffer_gl0_inv
	v_cmpx_gt_u16_e32 8, v7
	s_cbranch_execz .LBB300_17
; %bb.16:
	ds_load_2addr_b32 v[2:3], v1 offset1:8
	s_waitcnt lgkmcnt(0)
	v_add_f32_e32 v2, v3, v2
	ds_store_b32 v1, v2
.LBB300_17:
	s_or_b32 exec_lo, exec_lo, s0
	s_delay_alu instid0(SALU_CYCLE_1)
	s_mov_b32 s0, exec_lo
	s_waitcnt lgkmcnt(0)
	s_barrier
	buffer_gl0_inv
	;; [unrolled: 14-line block ×3, first 2 shown]
	v_cmpx_gt_u16_e32 2, v7
	s_cbranch_execz .LBB300_21
; %bb.20:
	ds_load_2addr_b32 v[2:3], v1 offset1:2
	s_waitcnt lgkmcnt(0)
	v_add_f32_e32 v2, v3, v2
	ds_store_b32 v1, v2
.LBB300_21:
	s_or_b32 exec_lo, exec_lo, s0
	s_mov_b32 s1, 0
	s_mov_b32 s0, 0
	s_mov_b32 s3, exec_lo
	s_waitcnt lgkmcnt(0)
	s_barrier
	buffer_gl0_inv
                                        ; implicit-def: $vgpr2
                                        ; implicit-def: $vgpr3
	v_cmpx_gt_u32_e32 29, v0
	s_xor_b32 s3, exec_lo, s3
; %bb.22:
	v_mad_u32_u24 v2, v0, 29, 1
	v_mad_u32_u24 v3, 0x70, v0, v1
	s_mov_b32 s0, exec_lo
; %bb.23:
	s_or_b32 exec_lo, exec_lo, s3
	s_delay_alu instid0(SALU_CYCLE_1)
	s_and_b32 vcc_lo, exec_lo, s1
	s_cbranch_vccnz .LBB300_25
	s_branch .LBB300_36
.LBB300_24:
	s_mov_b32 s0, 0
                                        ; implicit-def: $vgpr2
                                        ; implicit-def: $vgpr3
	s_cbranch_execz .LBB300_36
.LBB300_25:
	s_mov_b32 s1, exec_lo
	v_cmpx_gt_u32_e32 0x179, v0
	s_cbranch_execz .LBB300_27
; %bb.26:
	ds_load_b32 v2, v1 offset:1856
	ds_load_b32 v3, v1
	s_waitcnt lgkmcnt(0)
	v_add_f32_e32 v2, v2, v3
	ds_store_b32 v1, v2
.LBB300_27:
	s_or_b32 exec_lo, exec_lo, s1
	s_delay_alu instid0(SALU_CYCLE_1)
	s_mov_b32 s1, exec_lo
	s_waitcnt lgkmcnt(0)
	s_barrier
	buffer_gl0_inv
	v_cmpx_gt_u32_e32 0xe8, v0
	s_cbranch_execz .LBB300_29
; %bb.28:
	ds_load_2addr_b32 v[2:3], v1 offset1:232
	s_waitcnt lgkmcnt(0)
	v_add_f32_e32 v2, v3, v2
	ds_store_b32 v1, v2
.LBB300_29:
	s_or_b32 exec_lo, exec_lo, s1
	s_delay_alu instid0(SALU_CYCLE_1)
	s_mov_b32 s1, exec_lo
	s_waitcnt lgkmcnt(0)
	s_barrier
	buffer_gl0_inv
	v_cmpx_gt_u32_e32 0x74, v0
	s_cbranch_execz .LBB300_31
; %bb.30:
	ds_load_2addr_b32 v[2:3], v1 offset1:116
	s_waitcnt lgkmcnt(0)
	v_add_f32_e32 v2, v3, v2
	ds_store_b32 v1, v2
.LBB300_31:
	;; [unrolled: 14-line block ×3, first 2 shown]
	s_or_b32 exec_lo, exec_lo, s1
	s_delay_alu instid0(SALU_CYCLE_1)
	s_mov_b32 s1, exec_lo
	s_waitcnt lgkmcnt(0)
	buffer_gl0_inv
                                        ; implicit-def: $vgpr2
	v_cmpx_gt_u32_e32 29, v0
; %bb.34:
	v_add_nc_u32_e32 v2, 29, v0
	s_or_b32 s0, s0, exec_lo
                                        ; implicit-def: $vgpr6
; %bb.35:
	s_or_b32 exec_lo, exec_lo, s1
	v_mov_b32_e32 v3, v1
.LBB300_36:
	s_and_saveexec_b32 s1, s0
	s_cbranch_execz .LBB300_38
; %bb.37:
	v_lshlrev_b32_e32 v1, 2, v2
	ds_load_b32 v2, v3
	ds_load_b32 v1, v1
	s_waitcnt lgkmcnt(0)
	v_add_f32_e32 v6, v2, v1
.LBB300_38:
	s_or_b32 exec_lo, exec_lo, s1
	s_delay_alu instid0(SALU_CYCLE_1)
	s_mov_b32 s0, exec_lo
	v_cmpx_gt_u32_e32 29, v0
	s_cbranch_execz .LBB300_42
; %bb.39:
	v_cmp_eq_f32_e64 s0, s2, 0
	v_mul_f32_e32 v1, s10, v6
	s_delay_alu instid0(VALU_DEP_2)
	s_and_b32 vcc_lo, exec_lo, s0
	s_mov_b32 s0, 0
	s_cbranch_vccz .LBB300_43
; %bb.40:
	s_delay_alu instid0(VALU_DEP_1) | instskip(SKIP_1) | instid1(VALU_DEP_1)
	v_mad_u64_u32 v[2:3], null, s8, 29, v[0:1]
	v_mov_b32_e32 v3, 0
	v_lshlrev_b64 v[2:3], 2, v[2:3]
	s_delay_alu instid0(VALU_DEP_1) | instskip(NEXT) | instid1(VALU_DEP_2)
	v_add_co_u32 v2, vcc_lo, s12, v2
	v_add_co_ci_u32_e32 v3, vcc_lo, s13, v3, vcc_lo
	global_store_b32 v[2:3], v1, off
	s_and_not1_b32 vcc_lo, exec_lo, s0
	s_cbranch_vccnz .LBB300_42
.LBB300_41:
	v_mad_u64_u32 v[2:3], null, s8, 29, v[0:1]
	v_mov_b32_e32 v3, 0
	s_delay_alu instid0(VALU_DEP_1) | instskip(NEXT) | instid1(VALU_DEP_1)
	v_lshlrev_b64 v[2:3], 2, v[2:3]
	v_add_co_u32 v2, vcc_lo, s12, v2
	s_delay_alu instid0(VALU_DEP_2)
	v_add_co_ci_u32_e32 v3, vcc_lo, s13, v3, vcc_lo
	global_load_b32 v0, v[2:3], off
	s_waitcnt vmcnt(0)
	v_fmac_f32_e32 v1, s2, v0
	global_store_b32 v[2:3], v1, off
.LBB300_42:
	s_nop 0
	s_sendmsg sendmsg(MSG_DEALLOC_VGPRS)
	s_endpgm
.LBB300_43:
	s_branch .LBB300_41
	.section	.rodata,"a",@progbits
	.p2align	6, 0x0
	.amdhsa_kernel _ZN9rocsparseL20bsrxmvn_17_32_kernelILj29EfiiDF16_DF16_fEEvT2_20rocsparse_direction_NS_24const_host_device_scalarIT0_EES1_PKS1_PKT1_SA_S7_PKT3_PKT4_S5_PT5_21rocsparse_index_base_b
		.amdhsa_group_segment_fixed_size 3364
		.amdhsa_private_segment_fixed_size 0
		.amdhsa_kernarg_size 96
		.amdhsa_user_sgpr_count 15
		.amdhsa_user_sgpr_dispatch_ptr 0
		.amdhsa_user_sgpr_queue_ptr 0
		.amdhsa_user_sgpr_kernarg_segment_ptr 1
		.amdhsa_user_sgpr_dispatch_id 0
		.amdhsa_user_sgpr_private_segment_size 0
		.amdhsa_wavefront_size32 1
		.amdhsa_uses_dynamic_stack 0
		.amdhsa_enable_private_segment 0
		.amdhsa_system_sgpr_workgroup_id_x 1
		.amdhsa_system_sgpr_workgroup_id_y 0
		.amdhsa_system_sgpr_workgroup_id_z 0
		.amdhsa_system_sgpr_workgroup_info 0
		.amdhsa_system_vgpr_workitem_id 0
		.amdhsa_next_free_vgpr 10
		.amdhsa_next_free_sgpr 18
		.amdhsa_reserve_vcc 1
		.amdhsa_float_round_mode_32 0
		.amdhsa_float_round_mode_16_64 0
		.amdhsa_float_denorm_mode_32 3
		.amdhsa_float_denorm_mode_16_64 3
		.amdhsa_dx10_clamp 1
		.amdhsa_ieee_mode 1
		.amdhsa_fp16_overflow 0
		.amdhsa_workgroup_processor_mode 1
		.amdhsa_memory_ordered 1
		.amdhsa_forward_progress 0
		.amdhsa_shared_vgpr_count 0
		.amdhsa_exception_fp_ieee_invalid_op 0
		.amdhsa_exception_fp_denorm_src 0
		.amdhsa_exception_fp_ieee_div_zero 0
		.amdhsa_exception_fp_ieee_overflow 0
		.amdhsa_exception_fp_ieee_underflow 0
		.amdhsa_exception_fp_ieee_inexact 0
		.amdhsa_exception_int_div_zero 0
	.end_amdhsa_kernel
	.section	.text._ZN9rocsparseL20bsrxmvn_17_32_kernelILj29EfiiDF16_DF16_fEEvT2_20rocsparse_direction_NS_24const_host_device_scalarIT0_EES1_PKS1_PKT1_SA_S7_PKT3_PKT4_S5_PT5_21rocsparse_index_base_b,"axG",@progbits,_ZN9rocsparseL20bsrxmvn_17_32_kernelILj29EfiiDF16_DF16_fEEvT2_20rocsparse_direction_NS_24const_host_device_scalarIT0_EES1_PKS1_PKT1_SA_S7_PKT3_PKT4_S5_PT5_21rocsparse_index_base_b,comdat
.Lfunc_end300:
	.size	_ZN9rocsparseL20bsrxmvn_17_32_kernelILj29EfiiDF16_DF16_fEEvT2_20rocsparse_direction_NS_24const_host_device_scalarIT0_EES1_PKS1_PKT1_SA_S7_PKT3_PKT4_S5_PT5_21rocsparse_index_base_b, .Lfunc_end300-_ZN9rocsparseL20bsrxmvn_17_32_kernelILj29EfiiDF16_DF16_fEEvT2_20rocsparse_direction_NS_24const_host_device_scalarIT0_EES1_PKS1_PKT1_SA_S7_PKT3_PKT4_S5_PT5_21rocsparse_index_base_b
                                        ; -- End function
	.section	.AMDGPU.csdata,"",@progbits
; Kernel info:
; codeLenInByte = 1528
; NumSgprs: 20
; NumVgprs: 10
; ScratchSize: 0
; MemoryBound: 0
; FloatMode: 240
; IeeeMode: 1
; LDSByteSize: 3364 bytes/workgroup (compile time only)
; SGPRBlocks: 2
; VGPRBlocks: 1
; NumSGPRsForWavesPerEU: 20
; NumVGPRsForWavesPerEU: 10
; Occupancy: 14
; WaveLimiterHint : 1
; COMPUTE_PGM_RSRC2:SCRATCH_EN: 0
; COMPUTE_PGM_RSRC2:USER_SGPR: 15
; COMPUTE_PGM_RSRC2:TRAP_HANDLER: 0
; COMPUTE_PGM_RSRC2:TGID_X_EN: 1
; COMPUTE_PGM_RSRC2:TGID_Y_EN: 0
; COMPUTE_PGM_RSRC2:TGID_Z_EN: 0
; COMPUTE_PGM_RSRC2:TIDIG_COMP_CNT: 0
	.section	.text._ZN9rocsparseL20bsrxmvn_17_32_kernelILj30EfiiDF16_DF16_fEEvT2_20rocsparse_direction_NS_24const_host_device_scalarIT0_EES1_PKS1_PKT1_SA_S7_PKT3_PKT4_S5_PT5_21rocsparse_index_base_b,"axG",@progbits,_ZN9rocsparseL20bsrxmvn_17_32_kernelILj30EfiiDF16_DF16_fEEvT2_20rocsparse_direction_NS_24const_host_device_scalarIT0_EES1_PKS1_PKT1_SA_S7_PKT3_PKT4_S5_PT5_21rocsparse_index_base_b,comdat
	.globl	_ZN9rocsparseL20bsrxmvn_17_32_kernelILj30EfiiDF16_DF16_fEEvT2_20rocsparse_direction_NS_24const_host_device_scalarIT0_EES1_PKS1_PKT1_SA_S7_PKT3_PKT4_S5_PT5_21rocsparse_index_base_b ; -- Begin function _ZN9rocsparseL20bsrxmvn_17_32_kernelILj30EfiiDF16_DF16_fEEvT2_20rocsparse_direction_NS_24const_host_device_scalarIT0_EES1_PKS1_PKT1_SA_S7_PKT3_PKT4_S5_PT5_21rocsparse_index_base_b
	.p2align	8
	.type	_ZN9rocsparseL20bsrxmvn_17_32_kernelILj30EfiiDF16_DF16_fEEvT2_20rocsparse_direction_NS_24const_host_device_scalarIT0_EES1_PKS1_PKT1_SA_S7_PKT3_PKT4_S5_PT5_21rocsparse_index_base_b,@function
_ZN9rocsparseL20bsrxmvn_17_32_kernelILj30EfiiDF16_DF16_fEEvT2_20rocsparse_direction_NS_24const_host_device_scalarIT0_EES1_PKS1_PKT1_SA_S7_PKT3_PKT4_S5_PT5_21rocsparse_index_base_b: ; @_ZN9rocsparseL20bsrxmvn_17_32_kernelILj30EfiiDF16_DF16_fEEvT2_20rocsparse_direction_NS_24const_host_device_scalarIT0_EES1_PKS1_PKT1_SA_S7_PKT3_PKT4_S5_PT5_21rocsparse_index_base_b
; %bb.0:
	s_mov_b32 s8, s15
	s_clause 0x2
	s_load_b64 s[14:15], s[0:1], 0x58
	s_load_b64 s[10:11], s[0:1], 0x8
	;; [unrolled: 1-line block ×3, first 2 shown]
	s_waitcnt lgkmcnt(0)
	s_bitcmp1_b32 s15, 0
	s_cselect_b32 s4, -1, 0
	s_delay_alu instid0(SALU_CYCLE_1)
	s_and_b32 vcc_lo, exec_lo, s4
	s_xor_b32 s4, s4, -1
	s_cbranch_vccnz .LBB301_2
; %bb.1:
	s_load_b32 s10, s[10:11], 0x0
.LBB301_2:
	s_and_not1_b32 vcc_lo, exec_lo, s4
	s_cbranch_vccnz .LBB301_4
; %bb.3:
	s_load_b32 s2, s[2:3], 0x0
.LBB301_4:
	s_waitcnt lgkmcnt(0)
	v_cmp_neq_f32_e64 s3, s10, 0
	v_cmp_neq_f32_e64 s4, s2, 1.0
	s_delay_alu instid0(VALU_DEP_1) | instskip(NEXT) | instid1(SALU_CYCLE_1)
	s_or_b32 s3, s3, s4
	s_and_not1_b32 vcc_lo, exec_lo, s3
	s_cbranch_vccnz .LBB301_42
; %bb.5:
	s_clause 0x1
	s_load_b128 s[4:7], s[0:1], 0x18
	s_load_b64 s[12:13], s[0:1], 0x28
	s_waitcnt lgkmcnt(0)
	s_cmp_eq_u64 s[4:5], 0
	s_cbranch_scc1 .LBB301_7
; %bb.6:
	s_ashr_i32 s9, s8, 31
	s_delay_alu instid0(SALU_CYCLE_1) | instskip(NEXT) | instid1(SALU_CYCLE_1)
	s_lshl_b64 s[8:9], s[8:9], 2
	s_add_u32 s4, s4, s8
	s_addc_u32 s5, s5, s9
	s_load_b32 s3, s[4:5], 0x0
	s_waitcnt lgkmcnt(0)
	s_sub_i32 s8, s3, s14
.LBB301_7:
	s_load_b32 s3, s[0:1], 0x4
	v_mul_u32_u24_e32 v1, 0x889, v0
	v_mov_b32_e32 v6, 0
	s_delay_alu instid0(VALU_DEP_2) | instskip(NEXT) | instid1(VALU_DEP_1)
	v_lshrrev_b32_e32 v1, 16, v1
	v_mul_lo_u16 v2, v1, 30
	s_delay_alu instid0(VALU_DEP_1)
	v_sub_nc_u16 v7, v0, v2
	s_waitcnt lgkmcnt(0)
	s_cmp_eq_u32 s3, 1
	s_cselect_b32 vcc_lo, -1, 0
	s_cmp_lg_u32 s3, 1
	s_cselect_b32 s3, -1, 0
	s_ashr_i32 s9, s8, 31
	s_delay_alu instid0(SALU_CYCLE_1) | instskip(NEXT) | instid1(SALU_CYCLE_1)
	s_lshl_b64 s[4:5], s[8:9], 2
	s_add_u32 s6, s6, s4
	s_addc_u32 s7, s7, s5
	s_add_u32 s9, s6, 4
	s_addc_u32 s11, s7, 0
	;; [unrolled: 2-line block ×3, first 2 shown]
	s_cmp_eq_u64 s[12:13], 0
	s_load_b64 s[12:13], s[0:1], 0x50
	s_cselect_b32 s5, s11, s5
	s_cselect_b32 s4, s9, s4
	s_load_b32 s9, s[6:7], 0x0
	s_load_b32 s11, s[4:5], 0x0
	s_waitcnt lgkmcnt(0)
	s_cmp_ge_i32 s9, s11
	s_cbranch_scc1 .LBB301_12
; %bb.8:
	s_clause 0x1
	s_load_b128 s[4:7], s[0:1], 0x30
	s_load_b64 s[16:17], s[0:1], 0x40
	v_dual_mov_b32 v6, 0 :: v_dual_and_b32 v1, 0xffff, v1
	v_cmp_gt_u32_e64 s0, 0x384, v0
	v_and_b32_e32 v3, 0xffff, v7
	s_sub_i32 s9, s9, s14
	s_delay_alu instid0(VALU_DEP_3) | instskip(SKIP_2) | instid1(VALU_DEP_1)
	v_subrev_nc_u32_e32 v2, 30, v1
	s_sub_i32 s1, s11, s14
	s_mul_i32 s11, s9, 0x708
	v_cndmask_b32_e64 v1, v2, v1, s0
	v_lshlrev_b32_e32 v2, 1, v0
	s_mul_hi_i32 s0, s9, 0x708
	s_delay_alu instid0(VALU_DEP_2)
	v_cndmask_b32_e32 v1, v3, v1, vcc_lo
	v_cmp_lt_u32_e32 vcc_lo, 0x383, v0
	s_waitcnt lgkmcnt(0)
	s_add_u32 s6, s6, s11
	s_addc_u32 s0, s7, s0
	v_add_co_u32 v2, s6, s6, v2
	s_delay_alu instid0(VALU_DEP_1)
	v_add_co_ci_u32_e64 v3, null, s0, 0, s6
	v_cndmask_b32_e64 v8, 0, 1, vcc_lo
	s_set_inst_prefetch_distance 0x1
	s_branch .LBB301_10
	.p2align	6
.LBB301_9:                              ;   in Loop: Header=BB301_10 Depth=1
	s_or_b32 exec_lo, exec_lo, s0
	s_add_i32 s9, s9, 1
	s_delay_alu instid0(SALU_CYCLE_1)
	s_cmp_lt_i32 s9, s1
	s_cbranch_scc0 .LBB301_12
.LBB301_10:                             ; =>This Inner Loop Header: Depth=1
	s_delay_alu instid0(VALU_DEP_1) | instskip(SKIP_1) | instid1(VALU_DEP_1)
	v_add_nc_u32_e32 v4, s9, v8
	s_mov_b32 s0, exec_lo
	v_cmpx_gt_i32_e64 s1, v4
	s_cbranch_execz .LBB301_9
; %bb.11:                               ;   in Loop: Header=BB301_10 Depth=1
	v_ashrrev_i32_e32 v5, 31, v4
	s_delay_alu instid0(VALU_DEP_1) | instskip(NEXT) | instid1(VALU_DEP_1)
	v_lshlrev_b64 v[4:5], 2, v[4:5]
	v_add_co_u32 v4, vcc_lo, s4, v4
	s_delay_alu instid0(VALU_DEP_2) | instskip(SKIP_3) | instid1(VALU_DEP_1)
	v_add_co_ci_u32_e32 v5, vcc_lo, s5, v5, vcc_lo
	global_load_b32 v4, v[4:5], off
	s_waitcnt vmcnt(0)
	v_subrev_nc_u32_e32 v9, s14, v4
	v_mad_u64_u32 v[4:5], null, v9, 30, v[1:2]
	s_delay_alu instid0(VALU_DEP_1) | instskip(NEXT) | instid1(VALU_DEP_1)
	v_ashrrev_i32_e32 v5, 31, v4
	v_lshlrev_b64 v[4:5], 1, v[4:5]
	s_delay_alu instid0(VALU_DEP_1) | instskip(NEXT) | instid1(VALU_DEP_2)
	v_add_co_u32 v4, vcc_lo, s16, v4
	v_add_co_ci_u32_e32 v5, vcc_lo, s17, v5, vcc_lo
	global_load_u16 v9, v[2:3], off
	global_load_u16 v4, v[4:5], off
	v_add_co_u32 v2, vcc_lo, 0x708, v2
	v_add_co_ci_u32_e32 v3, vcc_lo, 0, v3, vcc_lo
	s_waitcnt vmcnt(0)
	v_fma_mix_f32 v6, v9, v4, v6 op_sel_hi:[1,1,0]
	s_branch .LBB301_9
.LBB301_12:
	s_set_inst_prefetch_distance 0x2
	v_lshlrev_b32_e32 v1, 2, v0
	s_and_b32 vcc_lo, exec_lo, s3
	ds_store_b32 v1, v6
	s_waitcnt lgkmcnt(0)
	s_barrier
	buffer_gl0_inv
	s_cbranch_vccz .LBB301_24
; %bb.13:
	s_mov_b32 s0, exec_lo
	v_cmpx_gt_u16_e32 14, v7
	s_cbranch_execz .LBB301_15
; %bb.14:
	ds_load_2addr_b32 v[2:3], v1 offset1:16
	s_waitcnt lgkmcnt(0)
	v_add_f32_e32 v2, v3, v2
	ds_store_b32 v1, v2
.LBB301_15:
	s_or_b32 exec_lo, exec_lo, s0
	s_delay_alu instid0(SALU_CYCLE_1)
	s_mov_b32 s0, exec_lo
	s_waitcnt lgkmcnt(0)
	s_barrier
	buffer_gl0_inv
	v_cmpx_gt_u16_e32 8, v7
	s_cbranch_execz .LBB301_17
; %bb.16:
	ds_load_2addr_b32 v[2:3], v1 offset1:8
	s_waitcnt lgkmcnt(0)
	v_add_f32_e32 v2, v3, v2
	ds_store_b32 v1, v2
.LBB301_17:
	s_or_b32 exec_lo, exec_lo, s0
	s_delay_alu instid0(SALU_CYCLE_1)
	s_mov_b32 s0, exec_lo
	s_waitcnt lgkmcnt(0)
	s_barrier
	buffer_gl0_inv
	;; [unrolled: 14-line block ×3, first 2 shown]
	v_cmpx_gt_u16_e32 2, v7
	s_cbranch_execz .LBB301_21
; %bb.20:
	ds_load_2addr_b32 v[2:3], v1 offset1:2
	s_waitcnt lgkmcnt(0)
	v_add_f32_e32 v2, v3, v2
	ds_store_b32 v1, v2
.LBB301_21:
	s_or_b32 exec_lo, exec_lo, s0
	s_mov_b32 s1, 0
	s_mov_b32 s0, 0
	s_mov_b32 s3, exec_lo
	s_waitcnt lgkmcnt(0)
	s_barrier
	buffer_gl0_inv
                                        ; implicit-def: $vgpr2
                                        ; implicit-def: $vgpr3
	v_cmpx_gt_u32_e32 30, v0
	s_xor_b32 s3, exec_lo, s3
; %bb.22:
	v_mul_u32_u24_e32 v2, 30, v0
	v_mad_u32_u24 v3, 0x74, v0, v1
	s_mov_b32 s0, exec_lo
	s_delay_alu instid0(VALU_DEP_2)
	v_or_b32_e32 v2, 1, v2
; %bb.23:
	s_or_b32 exec_lo, exec_lo, s3
	s_delay_alu instid0(SALU_CYCLE_1)
	s_and_b32 vcc_lo, exec_lo, s1
	s_cbranch_vccnz .LBB301_25
	s_branch .LBB301_36
.LBB301_24:
	s_mov_b32 s0, 0
                                        ; implicit-def: $vgpr2
                                        ; implicit-def: $vgpr3
	s_cbranch_execz .LBB301_36
.LBB301_25:
	s_mov_b32 s1, exec_lo
	v_cmpx_gt_u32_e32 0x1a4, v0
	s_cbranch_execz .LBB301_27
; %bb.26:
	ds_load_b32 v2, v1 offset:1920
	ds_load_b32 v3, v1
	s_waitcnt lgkmcnt(0)
	v_add_f32_e32 v2, v2, v3
	ds_store_b32 v1, v2
.LBB301_27:
	s_or_b32 exec_lo, exec_lo, s1
	s_delay_alu instid0(SALU_CYCLE_1)
	s_mov_b32 s1, exec_lo
	s_waitcnt lgkmcnt(0)
	s_barrier
	buffer_gl0_inv
	v_cmpx_gt_u32_e32 0xf0, v0
	s_cbranch_execz .LBB301_29
; %bb.28:
	ds_load_2addr_b32 v[2:3], v1 offset1:240
	s_waitcnt lgkmcnt(0)
	v_add_f32_e32 v2, v3, v2
	ds_store_b32 v1, v2
.LBB301_29:
	s_or_b32 exec_lo, exec_lo, s1
	s_delay_alu instid0(SALU_CYCLE_1)
	s_mov_b32 s1, exec_lo
	s_waitcnt lgkmcnt(0)
	s_barrier
	buffer_gl0_inv
	v_cmpx_gt_u32_e32 0x78, v0
	s_cbranch_execz .LBB301_31
; %bb.30:
	ds_load_2addr_b32 v[2:3], v1 offset1:120
	s_waitcnt lgkmcnt(0)
	v_add_f32_e32 v2, v3, v2
	ds_store_b32 v1, v2
.LBB301_31:
	;; [unrolled: 14-line block ×3, first 2 shown]
	s_or_b32 exec_lo, exec_lo, s1
	s_delay_alu instid0(SALU_CYCLE_1)
	s_mov_b32 s1, exec_lo
	s_waitcnt lgkmcnt(0)
	buffer_gl0_inv
                                        ; implicit-def: $vgpr2
	v_cmpx_gt_u32_e32 30, v0
; %bb.34:
	v_add_nc_u32_e32 v2, 30, v0
	s_or_b32 s0, s0, exec_lo
                                        ; implicit-def: $vgpr6
; %bb.35:
	s_or_b32 exec_lo, exec_lo, s1
	v_mov_b32_e32 v3, v1
.LBB301_36:
	s_and_saveexec_b32 s1, s0
	s_cbranch_execz .LBB301_38
; %bb.37:
	v_lshlrev_b32_e32 v1, 2, v2
	ds_load_b32 v2, v3
	ds_load_b32 v1, v1
	s_waitcnt lgkmcnt(0)
	v_add_f32_e32 v6, v2, v1
.LBB301_38:
	s_or_b32 exec_lo, exec_lo, s1
	s_delay_alu instid0(SALU_CYCLE_1)
	s_mov_b32 s0, exec_lo
	v_cmpx_gt_u32_e32 30, v0
	s_cbranch_execz .LBB301_42
; %bb.39:
	v_cmp_eq_f32_e64 s0, s2, 0
	v_mul_f32_e32 v1, s10, v6
	s_delay_alu instid0(VALU_DEP_2)
	s_and_b32 vcc_lo, exec_lo, s0
	s_mov_b32 s0, 0
	s_cbranch_vccz .LBB301_43
; %bb.40:
	s_delay_alu instid0(VALU_DEP_1) | instskip(SKIP_1) | instid1(VALU_DEP_1)
	v_mad_u64_u32 v[2:3], null, s8, 30, v[0:1]
	v_mov_b32_e32 v3, 0
	v_lshlrev_b64 v[2:3], 2, v[2:3]
	s_delay_alu instid0(VALU_DEP_1) | instskip(NEXT) | instid1(VALU_DEP_2)
	v_add_co_u32 v2, vcc_lo, s12, v2
	v_add_co_ci_u32_e32 v3, vcc_lo, s13, v3, vcc_lo
	global_store_b32 v[2:3], v1, off
	s_and_not1_b32 vcc_lo, exec_lo, s0
	s_cbranch_vccnz .LBB301_42
.LBB301_41:
	v_mad_u64_u32 v[2:3], null, s8, 30, v[0:1]
	v_mov_b32_e32 v3, 0
	s_delay_alu instid0(VALU_DEP_1) | instskip(NEXT) | instid1(VALU_DEP_1)
	v_lshlrev_b64 v[2:3], 2, v[2:3]
	v_add_co_u32 v2, vcc_lo, s12, v2
	s_delay_alu instid0(VALU_DEP_2)
	v_add_co_ci_u32_e32 v3, vcc_lo, s13, v3, vcc_lo
	global_load_b32 v0, v[2:3], off
	s_waitcnt vmcnt(0)
	v_fmac_f32_e32 v1, s2, v0
	global_store_b32 v[2:3], v1, off
.LBB301_42:
	s_nop 0
	s_sendmsg sendmsg(MSG_DEALLOC_VGPRS)
	s_endpgm
.LBB301_43:
	s_branch .LBB301_41
	.section	.rodata,"a",@progbits
	.p2align	6, 0x0
	.amdhsa_kernel _ZN9rocsparseL20bsrxmvn_17_32_kernelILj30EfiiDF16_DF16_fEEvT2_20rocsparse_direction_NS_24const_host_device_scalarIT0_EES1_PKS1_PKT1_SA_S7_PKT3_PKT4_S5_PT5_21rocsparse_index_base_b
		.amdhsa_group_segment_fixed_size 3600
		.amdhsa_private_segment_fixed_size 0
		.amdhsa_kernarg_size 96
		.amdhsa_user_sgpr_count 15
		.amdhsa_user_sgpr_dispatch_ptr 0
		.amdhsa_user_sgpr_queue_ptr 0
		.amdhsa_user_sgpr_kernarg_segment_ptr 1
		.amdhsa_user_sgpr_dispatch_id 0
		.amdhsa_user_sgpr_private_segment_size 0
		.amdhsa_wavefront_size32 1
		.amdhsa_uses_dynamic_stack 0
		.amdhsa_enable_private_segment 0
		.amdhsa_system_sgpr_workgroup_id_x 1
		.amdhsa_system_sgpr_workgroup_id_y 0
		.amdhsa_system_sgpr_workgroup_id_z 0
		.amdhsa_system_sgpr_workgroup_info 0
		.amdhsa_system_vgpr_workitem_id 0
		.amdhsa_next_free_vgpr 10
		.amdhsa_next_free_sgpr 18
		.amdhsa_reserve_vcc 1
		.amdhsa_float_round_mode_32 0
		.amdhsa_float_round_mode_16_64 0
		.amdhsa_float_denorm_mode_32 3
		.amdhsa_float_denorm_mode_16_64 3
		.amdhsa_dx10_clamp 1
		.amdhsa_ieee_mode 1
		.amdhsa_fp16_overflow 0
		.amdhsa_workgroup_processor_mode 1
		.amdhsa_memory_ordered 1
		.amdhsa_forward_progress 0
		.amdhsa_shared_vgpr_count 0
		.amdhsa_exception_fp_ieee_invalid_op 0
		.amdhsa_exception_fp_denorm_src 0
		.amdhsa_exception_fp_ieee_div_zero 0
		.amdhsa_exception_fp_ieee_overflow 0
		.amdhsa_exception_fp_ieee_underflow 0
		.amdhsa_exception_fp_ieee_inexact 0
		.amdhsa_exception_int_div_zero 0
	.end_amdhsa_kernel
	.section	.text._ZN9rocsparseL20bsrxmvn_17_32_kernelILj30EfiiDF16_DF16_fEEvT2_20rocsparse_direction_NS_24const_host_device_scalarIT0_EES1_PKS1_PKT1_SA_S7_PKT3_PKT4_S5_PT5_21rocsparse_index_base_b,"axG",@progbits,_ZN9rocsparseL20bsrxmvn_17_32_kernelILj30EfiiDF16_DF16_fEEvT2_20rocsparse_direction_NS_24const_host_device_scalarIT0_EES1_PKS1_PKT1_SA_S7_PKT3_PKT4_S5_PT5_21rocsparse_index_base_b,comdat
.Lfunc_end301:
	.size	_ZN9rocsparseL20bsrxmvn_17_32_kernelILj30EfiiDF16_DF16_fEEvT2_20rocsparse_direction_NS_24const_host_device_scalarIT0_EES1_PKS1_PKT1_SA_S7_PKT3_PKT4_S5_PT5_21rocsparse_index_base_b, .Lfunc_end301-_ZN9rocsparseL20bsrxmvn_17_32_kernelILj30EfiiDF16_DF16_fEEvT2_20rocsparse_direction_NS_24const_host_device_scalarIT0_EES1_PKS1_PKT1_SA_S7_PKT3_PKT4_S5_PT5_21rocsparse_index_base_b
                                        ; -- End function
	.section	.AMDGPU.csdata,"",@progbits
; Kernel info:
; codeLenInByte = 1532
; NumSgprs: 20
; NumVgprs: 10
; ScratchSize: 0
; MemoryBound: 0
; FloatMode: 240
; IeeeMode: 1
; LDSByteSize: 3600 bytes/workgroup (compile time only)
; SGPRBlocks: 2
; VGPRBlocks: 1
; NumSGPRsForWavesPerEU: 20
; NumVGPRsForWavesPerEU: 10
; Occupancy: 15
; WaveLimiterHint : 1
; COMPUTE_PGM_RSRC2:SCRATCH_EN: 0
; COMPUTE_PGM_RSRC2:USER_SGPR: 15
; COMPUTE_PGM_RSRC2:TRAP_HANDLER: 0
; COMPUTE_PGM_RSRC2:TGID_X_EN: 1
; COMPUTE_PGM_RSRC2:TGID_Y_EN: 0
; COMPUTE_PGM_RSRC2:TGID_Z_EN: 0
; COMPUTE_PGM_RSRC2:TIDIG_COMP_CNT: 0
	.section	.text._ZN9rocsparseL20bsrxmvn_17_32_kernelILj31EfiiDF16_DF16_fEEvT2_20rocsparse_direction_NS_24const_host_device_scalarIT0_EES1_PKS1_PKT1_SA_S7_PKT3_PKT4_S5_PT5_21rocsparse_index_base_b,"axG",@progbits,_ZN9rocsparseL20bsrxmvn_17_32_kernelILj31EfiiDF16_DF16_fEEvT2_20rocsparse_direction_NS_24const_host_device_scalarIT0_EES1_PKS1_PKT1_SA_S7_PKT3_PKT4_S5_PT5_21rocsparse_index_base_b,comdat
	.globl	_ZN9rocsparseL20bsrxmvn_17_32_kernelILj31EfiiDF16_DF16_fEEvT2_20rocsparse_direction_NS_24const_host_device_scalarIT0_EES1_PKS1_PKT1_SA_S7_PKT3_PKT4_S5_PT5_21rocsparse_index_base_b ; -- Begin function _ZN9rocsparseL20bsrxmvn_17_32_kernelILj31EfiiDF16_DF16_fEEvT2_20rocsparse_direction_NS_24const_host_device_scalarIT0_EES1_PKS1_PKT1_SA_S7_PKT3_PKT4_S5_PT5_21rocsparse_index_base_b
	.p2align	8
	.type	_ZN9rocsparseL20bsrxmvn_17_32_kernelILj31EfiiDF16_DF16_fEEvT2_20rocsparse_direction_NS_24const_host_device_scalarIT0_EES1_PKS1_PKT1_SA_S7_PKT3_PKT4_S5_PT5_21rocsparse_index_base_b,@function
_ZN9rocsparseL20bsrxmvn_17_32_kernelILj31EfiiDF16_DF16_fEEvT2_20rocsparse_direction_NS_24const_host_device_scalarIT0_EES1_PKS1_PKT1_SA_S7_PKT3_PKT4_S5_PT5_21rocsparse_index_base_b: ; @_ZN9rocsparseL20bsrxmvn_17_32_kernelILj31EfiiDF16_DF16_fEEvT2_20rocsparse_direction_NS_24const_host_device_scalarIT0_EES1_PKS1_PKT1_SA_S7_PKT3_PKT4_S5_PT5_21rocsparse_index_base_b
; %bb.0:
	s_mov_b32 s8, s15
	s_clause 0x2
	s_load_b64 s[14:15], s[0:1], 0x58
	s_load_b64 s[10:11], s[0:1], 0x8
	;; [unrolled: 1-line block ×3, first 2 shown]
	s_waitcnt lgkmcnt(0)
	s_bitcmp1_b32 s15, 0
	s_cselect_b32 s4, -1, 0
	s_delay_alu instid0(SALU_CYCLE_1)
	s_and_b32 vcc_lo, exec_lo, s4
	s_xor_b32 s4, s4, -1
	s_cbranch_vccnz .LBB302_2
; %bb.1:
	s_load_b32 s10, s[10:11], 0x0
.LBB302_2:
	s_and_not1_b32 vcc_lo, exec_lo, s4
	s_cbranch_vccnz .LBB302_4
; %bb.3:
	s_load_b32 s2, s[2:3], 0x0
.LBB302_4:
	s_waitcnt lgkmcnt(0)
	v_cmp_neq_f32_e64 s3, s10, 0
	v_cmp_neq_f32_e64 s4, s2, 1.0
	s_delay_alu instid0(VALU_DEP_1) | instskip(NEXT) | instid1(SALU_CYCLE_1)
	s_or_b32 s3, s3, s4
	s_and_not1_b32 vcc_lo, exec_lo, s3
	s_cbranch_vccnz .LBB302_42
; %bb.5:
	s_clause 0x1
	s_load_b128 s[4:7], s[0:1], 0x18
	s_load_b64 s[12:13], s[0:1], 0x28
	s_waitcnt lgkmcnt(0)
	s_cmp_eq_u64 s[4:5], 0
	s_cbranch_scc1 .LBB302_7
; %bb.6:
	s_ashr_i32 s9, s8, 31
	s_delay_alu instid0(SALU_CYCLE_1) | instskip(NEXT) | instid1(SALU_CYCLE_1)
	s_lshl_b64 s[8:9], s[8:9], 2
	s_add_u32 s4, s4, s8
	s_addc_u32 s5, s5, s9
	s_load_b32 s3, s[4:5], 0x0
	s_waitcnt lgkmcnt(0)
	s_sub_i32 s8, s3, s14
.LBB302_7:
	s_load_b32 s3, s[0:1], 0x4
	v_mul_u32_u24_e32 v1, 0x843, v0
	v_mov_b32_e32 v6, 0
	s_delay_alu instid0(VALU_DEP_2) | instskip(NEXT) | instid1(VALU_DEP_1)
	v_lshrrev_b32_e32 v1, 16, v1
	v_mul_lo_u16 v2, v1, 31
	s_delay_alu instid0(VALU_DEP_1)
	v_sub_nc_u16 v7, v0, v2
	s_waitcnt lgkmcnt(0)
	s_cmp_eq_u32 s3, 1
	s_cselect_b32 vcc_lo, -1, 0
	s_cmp_lg_u32 s3, 1
	s_cselect_b32 s3, -1, 0
	s_ashr_i32 s9, s8, 31
	s_delay_alu instid0(SALU_CYCLE_1) | instskip(NEXT) | instid1(SALU_CYCLE_1)
	s_lshl_b64 s[4:5], s[8:9], 2
	s_add_u32 s6, s6, s4
	s_addc_u32 s7, s7, s5
	s_add_u32 s9, s6, 4
	s_addc_u32 s11, s7, 0
	;; [unrolled: 2-line block ×3, first 2 shown]
	s_cmp_eq_u64 s[12:13], 0
	s_load_b64 s[12:13], s[0:1], 0x50
	s_cselect_b32 s5, s11, s5
	s_cselect_b32 s4, s9, s4
	s_load_b32 s9, s[6:7], 0x0
	s_load_b32 s11, s[4:5], 0x0
	s_waitcnt lgkmcnt(0)
	s_cmp_ge_i32 s9, s11
	s_cbranch_scc1 .LBB302_12
; %bb.8:
	s_clause 0x1
	s_load_b128 s[4:7], s[0:1], 0x30
	s_load_b64 s[16:17], s[0:1], 0x40
	v_dual_mov_b32 v6, 0 :: v_dual_and_b32 v1, 0xffff, v1
	v_cmp_gt_u32_e64 s0, 0x3c1, v0
	v_and_b32_e32 v3, 0xffff, v7
	s_sub_i32 s9, s9, s14
	s_delay_alu instid0(VALU_DEP_3) | instskip(SKIP_2) | instid1(VALU_DEP_1)
	v_subrev_nc_u32_e32 v2, 31, v1
	s_sub_i32 s1, s11, s14
	s_mul_i32 s11, s9, 0x782
	v_cndmask_b32_e64 v1, v2, v1, s0
	v_lshlrev_b32_e32 v2, 1, v0
	s_mul_hi_i32 s0, s9, 0x782
	s_delay_alu instid0(VALU_DEP_2)
	v_cndmask_b32_e32 v1, v3, v1, vcc_lo
	v_cmp_lt_u32_e32 vcc_lo, 0x3c0, v0
	s_waitcnt lgkmcnt(0)
	s_add_u32 s6, s6, s11
	s_addc_u32 s0, s7, s0
	v_add_co_u32 v2, s6, s6, v2
	s_delay_alu instid0(VALU_DEP_1)
	v_add_co_ci_u32_e64 v3, null, s0, 0, s6
	v_cndmask_b32_e64 v8, 0, 1, vcc_lo
	s_set_inst_prefetch_distance 0x1
	s_branch .LBB302_10
	.p2align	6
.LBB302_9:                              ;   in Loop: Header=BB302_10 Depth=1
	s_or_b32 exec_lo, exec_lo, s0
	s_add_i32 s9, s9, 1
	s_delay_alu instid0(SALU_CYCLE_1)
	s_cmp_lt_i32 s9, s1
	s_cbranch_scc0 .LBB302_12
.LBB302_10:                             ; =>This Inner Loop Header: Depth=1
	s_delay_alu instid0(VALU_DEP_1) | instskip(SKIP_1) | instid1(VALU_DEP_1)
	v_add_nc_u32_e32 v4, s9, v8
	s_mov_b32 s0, exec_lo
	v_cmpx_gt_i32_e64 s1, v4
	s_cbranch_execz .LBB302_9
; %bb.11:                               ;   in Loop: Header=BB302_10 Depth=1
	v_ashrrev_i32_e32 v5, 31, v4
	s_delay_alu instid0(VALU_DEP_1) | instskip(NEXT) | instid1(VALU_DEP_1)
	v_lshlrev_b64 v[4:5], 2, v[4:5]
	v_add_co_u32 v4, vcc_lo, s4, v4
	s_delay_alu instid0(VALU_DEP_2) | instskip(SKIP_3) | instid1(VALU_DEP_1)
	v_add_co_ci_u32_e32 v5, vcc_lo, s5, v5, vcc_lo
	global_load_b32 v4, v[4:5], off
	s_waitcnt vmcnt(0)
	v_subrev_nc_u32_e32 v9, s14, v4
	v_mad_u64_u32 v[4:5], null, v9, 31, v[1:2]
	s_delay_alu instid0(VALU_DEP_1) | instskip(NEXT) | instid1(VALU_DEP_1)
	v_ashrrev_i32_e32 v5, 31, v4
	v_lshlrev_b64 v[4:5], 1, v[4:5]
	s_delay_alu instid0(VALU_DEP_1) | instskip(NEXT) | instid1(VALU_DEP_2)
	v_add_co_u32 v4, vcc_lo, s16, v4
	v_add_co_ci_u32_e32 v5, vcc_lo, s17, v5, vcc_lo
	global_load_u16 v9, v[2:3], off
	global_load_u16 v4, v[4:5], off
	v_add_co_u32 v2, vcc_lo, 0x782, v2
	v_add_co_ci_u32_e32 v3, vcc_lo, 0, v3, vcc_lo
	s_waitcnt vmcnt(0)
	v_fma_mix_f32 v6, v9, v4, v6 op_sel_hi:[1,1,0]
	s_branch .LBB302_9
.LBB302_12:
	s_set_inst_prefetch_distance 0x2
	v_lshlrev_b32_e32 v1, 2, v0
	s_and_b32 vcc_lo, exec_lo, s3
	ds_store_b32 v1, v6
	s_waitcnt lgkmcnt(0)
	s_barrier
	buffer_gl0_inv
	s_cbranch_vccz .LBB302_24
; %bb.13:
	s_mov_b32 s0, exec_lo
	v_cmpx_gt_u16_e32 15, v7
	s_cbranch_execz .LBB302_15
; %bb.14:
	ds_load_2addr_b32 v[2:3], v1 offset1:16
	s_waitcnt lgkmcnt(0)
	v_add_f32_e32 v2, v3, v2
	ds_store_b32 v1, v2
.LBB302_15:
	s_or_b32 exec_lo, exec_lo, s0
	s_delay_alu instid0(SALU_CYCLE_1)
	s_mov_b32 s0, exec_lo
	s_waitcnt lgkmcnt(0)
	s_barrier
	buffer_gl0_inv
	v_cmpx_gt_u16_e32 8, v7
	s_cbranch_execz .LBB302_17
; %bb.16:
	ds_load_2addr_b32 v[2:3], v1 offset1:8
	s_waitcnt lgkmcnt(0)
	v_add_f32_e32 v2, v3, v2
	ds_store_b32 v1, v2
.LBB302_17:
	s_or_b32 exec_lo, exec_lo, s0
	s_delay_alu instid0(SALU_CYCLE_1)
	s_mov_b32 s0, exec_lo
	s_waitcnt lgkmcnt(0)
	s_barrier
	buffer_gl0_inv
	;; [unrolled: 14-line block ×3, first 2 shown]
	v_cmpx_gt_u16_e32 2, v7
	s_cbranch_execz .LBB302_21
; %bb.20:
	ds_load_2addr_b32 v[2:3], v1 offset1:2
	s_waitcnt lgkmcnt(0)
	v_add_f32_e32 v2, v3, v2
	ds_store_b32 v1, v2
.LBB302_21:
	s_or_b32 exec_lo, exec_lo, s0
	s_mov_b32 s1, 0
	s_mov_b32 s0, 0
	s_mov_b32 s3, exec_lo
	s_waitcnt lgkmcnt(0)
	s_barrier
	buffer_gl0_inv
                                        ; implicit-def: $vgpr2
                                        ; implicit-def: $vgpr3
	v_cmpx_gt_u32_e32 31, v0
	s_xor_b32 s3, exec_lo, s3
; %bb.22:
	v_mad_u32_u24 v2, v0, 31, 1
	v_mad_u32_u24 v3, 0x78, v0, v1
	s_mov_b32 s0, exec_lo
; %bb.23:
	s_or_b32 exec_lo, exec_lo, s3
	s_delay_alu instid0(SALU_CYCLE_1)
	s_and_b32 vcc_lo, exec_lo, s1
	s_cbranch_vccnz .LBB302_25
	s_branch .LBB302_36
.LBB302_24:
	s_mov_b32 s0, 0
                                        ; implicit-def: $vgpr2
                                        ; implicit-def: $vgpr3
	s_cbranch_execz .LBB302_36
.LBB302_25:
	s_mov_b32 s1, exec_lo
	v_cmpx_gt_u32_e32 0x1d1, v0
	s_cbranch_execz .LBB302_27
; %bb.26:
	ds_load_b32 v2, v1 offset:1984
	ds_load_b32 v3, v1
	s_waitcnt lgkmcnt(0)
	v_add_f32_e32 v2, v2, v3
	ds_store_b32 v1, v2
.LBB302_27:
	s_or_b32 exec_lo, exec_lo, s1
	s_delay_alu instid0(SALU_CYCLE_1)
	s_mov_b32 s1, exec_lo
	s_waitcnt lgkmcnt(0)
	s_barrier
	buffer_gl0_inv
	v_cmpx_gt_u32_e32 0xf8, v0
	s_cbranch_execz .LBB302_29
; %bb.28:
	ds_load_2addr_b32 v[2:3], v1 offset1:248
	s_waitcnt lgkmcnt(0)
	v_add_f32_e32 v2, v3, v2
	ds_store_b32 v1, v2
.LBB302_29:
	s_or_b32 exec_lo, exec_lo, s1
	s_delay_alu instid0(SALU_CYCLE_1)
	s_mov_b32 s1, exec_lo
	s_waitcnt lgkmcnt(0)
	s_barrier
	buffer_gl0_inv
	v_cmpx_gt_u32_e32 0x7c, v0
	s_cbranch_execz .LBB302_31
; %bb.30:
	ds_load_2addr_b32 v[2:3], v1 offset1:124
	s_waitcnt lgkmcnt(0)
	v_add_f32_e32 v2, v3, v2
	ds_store_b32 v1, v2
.LBB302_31:
	;; [unrolled: 14-line block ×3, first 2 shown]
	s_or_b32 exec_lo, exec_lo, s1
	s_delay_alu instid0(SALU_CYCLE_1)
	s_mov_b32 s1, exec_lo
	s_waitcnt lgkmcnt(0)
	buffer_gl0_inv
                                        ; implicit-def: $vgpr2
	v_cmpx_gt_u32_e32 31, v0
; %bb.34:
	v_add_nc_u32_e32 v2, 31, v0
	s_or_b32 s0, s0, exec_lo
                                        ; implicit-def: $vgpr6
; %bb.35:
	s_or_b32 exec_lo, exec_lo, s1
	v_mov_b32_e32 v3, v1
.LBB302_36:
	s_and_saveexec_b32 s1, s0
	s_cbranch_execz .LBB302_38
; %bb.37:
	v_lshlrev_b32_e32 v1, 2, v2
	ds_load_b32 v2, v3
	ds_load_b32 v1, v1
	s_waitcnt lgkmcnt(0)
	v_add_f32_e32 v6, v2, v1
.LBB302_38:
	s_or_b32 exec_lo, exec_lo, s1
	s_delay_alu instid0(SALU_CYCLE_1)
	s_mov_b32 s0, exec_lo
	v_cmpx_gt_u32_e32 31, v0
	s_cbranch_execz .LBB302_42
; %bb.39:
	v_cmp_eq_f32_e64 s0, s2, 0
	v_mul_f32_e32 v1, s10, v6
	s_delay_alu instid0(VALU_DEP_2)
	s_and_b32 vcc_lo, exec_lo, s0
	s_mov_b32 s0, 0
	s_cbranch_vccz .LBB302_43
; %bb.40:
	s_delay_alu instid0(VALU_DEP_1) | instskip(SKIP_1) | instid1(VALU_DEP_1)
	v_mad_u64_u32 v[2:3], null, s8, 31, v[0:1]
	v_mov_b32_e32 v3, 0
	v_lshlrev_b64 v[2:3], 2, v[2:3]
	s_delay_alu instid0(VALU_DEP_1) | instskip(NEXT) | instid1(VALU_DEP_2)
	v_add_co_u32 v2, vcc_lo, s12, v2
	v_add_co_ci_u32_e32 v3, vcc_lo, s13, v3, vcc_lo
	global_store_b32 v[2:3], v1, off
	s_and_not1_b32 vcc_lo, exec_lo, s0
	s_cbranch_vccnz .LBB302_42
.LBB302_41:
	v_mad_u64_u32 v[2:3], null, s8, 31, v[0:1]
	v_mov_b32_e32 v3, 0
	s_delay_alu instid0(VALU_DEP_1) | instskip(NEXT) | instid1(VALU_DEP_1)
	v_lshlrev_b64 v[2:3], 2, v[2:3]
	v_add_co_u32 v2, vcc_lo, s12, v2
	s_delay_alu instid0(VALU_DEP_2)
	v_add_co_ci_u32_e32 v3, vcc_lo, s13, v3, vcc_lo
	global_load_b32 v0, v[2:3], off
	s_waitcnt vmcnt(0)
	v_fmac_f32_e32 v1, s2, v0
	global_store_b32 v[2:3], v1, off
.LBB302_42:
	s_nop 0
	s_sendmsg sendmsg(MSG_DEALLOC_VGPRS)
	s_endpgm
.LBB302_43:
	s_branch .LBB302_41
	.section	.rodata,"a",@progbits
	.p2align	6, 0x0
	.amdhsa_kernel _ZN9rocsparseL20bsrxmvn_17_32_kernelILj31EfiiDF16_DF16_fEEvT2_20rocsparse_direction_NS_24const_host_device_scalarIT0_EES1_PKS1_PKT1_SA_S7_PKT3_PKT4_S5_PT5_21rocsparse_index_base_b
		.amdhsa_group_segment_fixed_size 3844
		.amdhsa_private_segment_fixed_size 0
		.amdhsa_kernarg_size 96
		.amdhsa_user_sgpr_count 15
		.amdhsa_user_sgpr_dispatch_ptr 0
		.amdhsa_user_sgpr_queue_ptr 0
		.amdhsa_user_sgpr_kernarg_segment_ptr 1
		.amdhsa_user_sgpr_dispatch_id 0
		.amdhsa_user_sgpr_private_segment_size 0
		.amdhsa_wavefront_size32 1
		.amdhsa_uses_dynamic_stack 0
		.amdhsa_enable_private_segment 0
		.amdhsa_system_sgpr_workgroup_id_x 1
		.amdhsa_system_sgpr_workgroup_id_y 0
		.amdhsa_system_sgpr_workgroup_id_z 0
		.amdhsa_system_sgpr_workgroup_info 0
		.amdhsa_system_vgpr_workitem_id 0
		.amdhsa_next_free_vgpr 10
		.amdhsa_next_free_sgpr 18
		.amdhsa_reserve_vcc 1
		.amdhsa_float_round_mode_32 0
		.amdhsa_float_round_mode_16_64 0
		.amdhsa_float_denorm_mode_32 3
		.amdhsa_float_denorm_mode_16_64 3
		.amdhsa_dx10_clamp 1
		.amdhsa_ieee_mode 1
		.amdhsa_fp16_overflow 0
		.amdhsa_workgroup_processor_mode 1
		.amdhsa_memory_ordered 1
		.amdhsa_forward_progress 0
		.amdhsa_shared_vgpr_count 0
		.amdhsa_exception_fp_ieee_invalid_op 0
		.amdhsa_exception_fp_denorm_src 0
		.amdhsa_exception_fp_ieee_div_zero 0
		.amdhsa_exception_fp_ieee_overflow 0
		.amdhsa_exception_fp_ieee_underflow 0
		.amdhsa_exception_fp_ieee_inexact 0
		.amdhsa_exception_int_div_zero 0
	.end_amdhsa_kernel
	.section	.text._ZN9rocsparseL20bsrxmvn_17_32_kernelILj31EfiiDF16_DF16_fEEvT2_20rocsparse_direction_NS_24const_host_device_scalarIT0_EES1_PKS1_PKT1_SA_S7_PKT3_PKT4_S5_PT5_21rocsparse_index_base_b,"axG",@progbits,_ZN9rocsparseL20bsrxmvn_17_32_kernelILj31EfiiDF16_DF16_fEEvT2_20rocsparse_direction_NS_24const_host_device_scalarIT0_EES1_PKS1_PKT1_SA_S7_PKT3_PKT4_S5_PT5_21rocsparse_index_base_b,comdat
.Lfunc_end302:
	.size	_ZN9rocsparseL20bsrxmvn_17_32_kernelILj31EfiiDF16_DF16_fEEvT2_20rocsparse_direction_NS_24const_host_device_scalarIT0_EES1_PKS1_PKT1_SA_S7_PKT3_PKT4_S5_PT5_21rocsparse_index_base_b, .Lfunc_end302-_ZN9rocsparseL20bsrxmvn_17_32_kernelILj31EfiiDF16_DF16_fEEvT2_20rocsparse_direction_NS_24const_host_device_scalarIT0_EES1_PKS1_PKT1_SA_S7_PKT3_PKT4_S5_PT5_21rocsparse_index_base_b
                                        ; -- End function
	.section	.AMDGPU.csdata,"",@progbits
; Kernel info:
; codeLenInByte = 1528
; NumSgprs: 20
; NumVgprs: 10
; ScratchSize: 0
; MemoryBound: 0
; FloatMode: 240
; IeeeMode: 1
; LDSByteSize: 3844 bytes/workgroup (compile time only)
; SGPRBlocks: 2
; VGPRBlocks: 1
; NumSGPRsForWavesPerEU: 20
; NumVGPRsForWavesPerEU: 10
; Occupancy: 16
; WaveLimiterHint : 1
; COMPUTE_PGM_RSRC2:SCRATCH_EN: 0
; COMPUTE_PGM_RSRC2:USER_SGPR: 15
; COMPUTE_PGM_RSRC2:TRAP_HANDLER: 0
; COMPUTE_PGM_RSRC2:TGID_X_EN: 1
; COMPUTE_PGM_RSRC2:TGID_Y_EN: 0
; COMPUTE_PGM_RSRC2:TGID_Z_EN: 0
; COMPUTE_PGM_RSRC2:TIDIG_COMP_CNT: 0
	.section	.text._ZN9rocsparseL20bsrxmvn_17_32_kernelILj32EfiiDF16_DF16_fEEvT2_20rocsparse_direction_NS_24const_host_device_scalarIT0_EES1_PKS1_PKT1_SA_S7_PKT3_PKT4_S5_PT5_21rocsparse_index_base_b,"axG",@progbits,_ZN9rocsparseL20bsrxmvn_17_32_kernelILj32EfiiDF16_DF16_fEEvT2_20rocsparse_direction_NS_24const_host_device_scalarIT0_EES1_PKS1_PKT1_SA_S7_PKT3_PKT4_S5_PT5_21rocsparse_index_base_b,comdat
	.globl	_ZN9rocsparseL20bsrxmvn_17_32_kernelILj32EfiiDF16_DF16_fEEvT2_20rocsparse_direction_NS_24const_host_device_scalarIT0_EES1_PKS1_PKT1_SA_S7_PKT3_PKT4_S5_PT5_21rocsparse_index_base_b ; -- Begin function _ZN9rocsparseL20bsrxmvn_17_32_kernelILj32EfiiDF16_DF16_fEEvT2_20rocsparse_direction_NS_24const_host_device_scalarIT0_EES1_PKS1_PKT1_SA_S7_PKT3_PKT4_S5_PT5_21rocsparse_index_base_b
	.p2align	8
	.type	_ZN9rocsparseL20bsrxmvn_17_32_kernelILj32EfiiDF16_DF16_fEEvT2_20rocsparse_direction_NS_24const_host_device_scalarIT0_EES1_PKS1_PKT1_SA_S7_PKT3_PKT4_S5_PT5_21rocsparse_index_base_b,@function
_ZN9rocsparseL20bsrxmvn_17_32_kernelILj32EfiiDF16_DF16_fEEvT2_20rocsparse_direction_NS_24const_host_device_scalarIT0_EES1_PKS1_PKT1_SA_S7_PKT3_PKT4_S5_PT5_21rocsparse_index_base_b: ; @_ZN9rocsparseL20bsrxmvn_17_32_kernelILj32EfiiDF16_DF16_fEEvT2_20rocsparse_direction_NS_24const_host_device_scalarIT0_EES1_PKS1_PKT1_SA_S7_PKT3_PKT4_S5_PT5_21rocsparse_index_base_b
; %bb.0:
	s_clause 0x2
	s_load_b64 s[12:13], s[0:1], 0x58
	s_load_b64 s[10:11], s[0:1], 0x8
	;; [unrolled: 1-line block ×3, first 2 shown]
	s_mov_b32 s8, s15
	s_waitcnt lgkmcnt(0)
	s_bitcmp1_b32 s13, 0
	s_cselect_b32 s4, -1, 0
	s_delay_alu instid0(SALU_CYCLE_1)
	s_and_b32 vcc_lo, exec_lo, s4
	s_xor_b32 s4, s4, -1
	s_cbranch_vccnz .LBB303_2
; %bb.1:
	s_load_b32 s10, s[10:11], 0x0
.LBB303_2:
	s_and_not1_b32 vcc_lo, exec_lo, s4
	s_cbranch_vccnz .LBB303_4
; %bb.3:
	s_load_b32 s2, s[2:3], 0x0
.LBB303_4:
	s_waitcnt lgkmcnt(0)
	v_cmp_neq_f32_e64 s3, s10, 0
	v_cmp_neq_f32_e64 s4, s2, 1.0
	s_delay_alu instid0(VALU_DEP_1) | instskip(NEXT) | instid1(SALU_CYCLE_1)
	s_or_b32 s3, s3, s4
	s_and_not1_b32 vcc_lo, exec_lo, s3
	s_cbranch_vccnz .LBB303_40
; %bb.5:
	s_clause 0x1
	s_load_b128 s[4:7], s[0:1], 0x18
	s_load_b64 s[14:15], s[0:1], 0x28
	s_waitcnt lgkmcnt(0)
	s_cmp_eq_u64 s[4:5], 0
	s_cbranch_scc1 .LBB303_7
; %bb.6:
	s_ashr_i32 s9, s8, 31
	s_delay_alu instid0(SALU_CYCLE_1) | instskip(NEXT) | instid1(SALU_CYCLE_1)
	s_lshl_b64 s[8:9], s[8:9], 2
	s_add_u32 s4, s4, s8
	s_addc_u32 s5, s5, s9
	s_load_b32 s3, s[4:5], 0x0
	s_waitcnt lgkmcnt(0)
	s_sub_i32 s8, s3, s12
.LBB303_7:
	s_load_b32 s3, s[0:1], 0x4
	v_dual_mov_b32 v3, 0 :: v_dual_and_b32 v4, 31, v0
	s_waitcnt lgkmcnt(0)
	s_cmp_eq_u32 s3, 1
	s_cselect_b32 vcc_lo, -1, 0
	s_cmp_lg_u32 s3, 1
	s_cselect_b32 s3, -1, 0
	s_ashr_i32 s9, s8, 31
	s_delay_alu instid0(SALU_CYCLE_1) | instskip(NEXT) | instid1(SALU_CYCLE_1)
	s_lshl_b64 s[4:5], s[8:9], 2
	s_add_u32 s6, s6, s4
	s_addc_u32 s7, s7, s5
	s_add_u32 s9, s6, 4
	s_addc_u32 s11, s7, 0
	;; [unrolled: 2-line block ×3, first 2 shown]
	s_cmp_eq_u64 s[14:15], 0
	s_cselect_b32 s5, s11, s5
	s_cselect_b32 s4, s9, s4
	s_load_b32 s6, s[6:7], 0x0
	s_load_b32 s9, s[4:5], 0x0
	s_load_b64 s[4:5], s[0:1], 0x50
	s_waitcnt lgkmcnt(0)
	s_cmp_ge_i32 s6, s9
	s_cbranch_scc1 .LBB303_10
; %bb.8:
	s_clause 0x1
	s_load_b128 s[16:19], s[0:1], 0x30
	s_load_b64 s[0:1], s[0:1], 0x40
	s_sub_i32 s6, s6, s12
	v_lshrrev_b32_e32 v1, 5, v0
	s_ashr_i32 s7, s6, 31
	s_delay_alu instid0(SALU_CYCLE_1)
	s_lshl_b64 s[14:15], s[6:7], 11
	s_lshl_b64 s[20:21], s[6:7], 2
	v_lshl_or_b32 v2, v0, 1, s14
	v_mov_b32_e32 v3, s15
	v_cndmask_b32_e32 v5, v4, v1, vcc_lo
	s_sub_i32 s7, s9, s12
	s_waitcnt lgkmcnt(0)
	v_add_co_u32 v1, vcc_lo, s18, v2
	v_add_co_ci_u32_e32 v2, vcc_lo, s19, v3, vcc_lo
	v_mov_b32_e32 v3, 0
	s_add_u32 s14, s16, s20
	s_addc_u32 s15, s17, s21
	.p2align	6
.LBB303_9:                              ; =>This Inner Loop Header: Depth=1
	s_load_b32 s9, s[14:15], 0x0
	s_add_i32 s6, s6, 1
	s_waitcnt lgkmcnt(0)
	s_sub_i32 s9, s9, s12
	s_add_u32 s14, s14, 4
	v_lshl_or_b32 v6, s9, 5, v5
	s_addc_u32 s15, s15, 0
	s_cmp_lt_i32 s6, s7
	s_delay_alu instid0(VALU_DEP_1) | instskip(NEXT) | instid1(VALU_DEP_1)
	v_ashrrev_i32_e32 v7, 31, v6
	v_lshlrev_b64 v[6:7], 1, v[6:7]
	s_delay_alu instid0(VALU_DEP_1) | instskip(NEXT) | instid1(VALU_DEP_2)
	v_add_co_u32 v6, vcc_lo, s0, v6
	v_add_co_ci_u32_e32 v7, vcc_lo, s1, v7, vcc_lo
	global_load_u16 v8, v[1:2], off
	global_load_u16 v6, v[6:7], off
	v_add_co_u32 v1, vcc_lo, 0x800, v1
	v_add_co_ci_u32_e32 v2, vcc_lo, 0, v2, vcc_lo
	s_waitcnt vmcnt(0)
	v_fma_mix_f32 v3, v8, v6, v3 op_sel_hi:[1,1,0]
	s_cbranch_scc1 .LBB303_9
.LBB303_10:
	v_lshlrev_b32_e32 v1, 2, v0
	s_and_b32 vcc_lo, exec_lo, s3
	ds_store_b32 v1, v3
	s_waitcnt lgkmcnt(0)
	s_barrier
	buffer_gl0_inv
	s_cbranch_vccz .LBB303_22
; %bb.11:
	s_mov_b32 s0, exec_lo
	v_cmpx_gt_u32_e32 16, v4
	s_cbranch_execz .LBB303_13
; %bb.12:
	ds_load_2addr_b32 v[5:6], v1 offset1:16
	s_waitcnt lgkmcnt(0)
	v_add_f32_e32 v2, v6, v5
	ds_store_b32 v1, v2
.LBB303_13:
	s_or_b32 exec_lo, exec_lo, s0
	s_delay_alu instid0(SALU_CYCLE_1)
	s_mov_b32 s0, exec_lo
	s_waitcnt lgkmcnt(0)
	s_barrier
	buffer_gl0_inv
	v_cmpx_gt_u32_e32 8, v4
	s_cbranch_execz .LBB303_15
; %bb.14:
	ds_load_2addr_b32 v[5:6], v1 offset1:8
	s_waitcnt lgkmcnt(0)
	v_add_f32_e32 v2, v6, v5
	ds_store_b32 v1, v2
.LBB303_15:
	s_or_b32 exec_lo, exec_lo, s0
	s_delay_alu instid0(SALU_CYCLE_1)
	s_mov_b32 s0, exec_lo
	s_waitcnt lgkmcnt(0)
	s_barrier
	buffer_gl0_inv
	;; [unrolled: 14-line block ×3, first 2 shown]
	v_cmpx_gt_u32_e32 2, v4
	s_cbranch_execz .LBB303_19
; %bb.18:
	ds_load_2addr_b32 v[4:5], v1 offset1:2
	s_waitcnt lgkmcnt(0)
	v_add_f32_e32 v2, v5, v4
	ds_store_b32 v1, v2
.LBB303_19:
	s_or_b32 exec_lo, exec_lo, s0
	s_mov_b32 s1, 0
	s_mov_b32 s0, 0
	s_mov_b32 s3, exec_lo
	s_waitcnt lgkmcnt(0)
	s_barrier
	buffer_gl0_inv
                                        ; implicit-def: $vgpr2
                                        ; implicit-def: $vgpr4
	v_cmpx_gt_u32_e32 32, v0
	s_xor_b32 s3, exec_lo, s3
; %bb.20:
	v_lshl_or_b32 v2, v0, 5, 1
	v_mad_u32_u24 v4, 0x7c, v0, v1
	s_mov_b32 s0, exec_lo
; %bb.21:
	s_or_b32 exec_lo, exec_lo, s3
	s_delay_alu instid0(SALU_CYCLE_1)
	s_and_b32 vcc_lo, exec_lo, s1
	s_cbranch_vccnz .LBB303_23
	s_branch .LBB303_34
.LBB303_22:
	s_mov_b32 s0, 0
                                        ; implicit-def: $vgpr2
                                        ; implicit-def: $vgpr4
	s_cbranch_execz .LBB303_34
.LBB303_23:
	s_mov_b32 s1, exec_lo
	v_cmpx_gt_u32_e32 0x200, v0
	s_cbranch_execz .LBB303_25
; %bb.24:
	ds_load_2addr_stride64_b32 v[4:5], v1 offset1:8
	s_waitcnt lgkmcnt(0)
	v_add_f32_e32 v2, v5, v4
	ds_store_b32 v1, v2
.LBB303_25:
	s_or_b32 exec_lo, exec_lo, s1
	s_delay_alu instid0(SALU_CYCLE_1)
	s_mov_b32 s1, exec_lo
	s_waitcnt lgkmcnt(0)
	s_barrier
	buffer_gl0_inv
	v_cmpx_gt_u32_e32 0x100, v0
	s_cbranch_execz .LBB303_27
; %bb.26:
	ds_load_2addr_stride64_b32 v[4:5], v1 offset1:4
	s_waitcnt lgkmcnt(0)
	v_add_f32_e32 v2, v5, v4
	ds_store_b32 v1, v2
.LBB303_27:
	s_or_b32 exec_lo, exec_lo, s1
	s_delay_alu instid0(SALU_CYCLE_1)
	s_mov_b32 s1, exec_lo
	s_waitcnt lgkmcnt(0)
	s_barrier
	buffer_gl0_inv
	;; [unrolled: 14-line block ×3, first 2 shown]
	v_cmpx_gt_u32_e32 64, v0
	s_cbranch_execz .LBB303_31
; %bb.30:
	ds_load_2addr_stride64_b32 v[4:5], v1 offset1:1
	s_waitcnt lgkmcnt(0)
	v_add_f32_e32 v2, v5, v4
	ds_store_b32 v1, v2
.LBB303_31:
	s_or_b32 exec_lo, exec_lo, s1
	s_delay_alu instid0(SALU_CYCLE_1)
	s_mov_b32 s1, exec_lo
	s_waitcnt lgkmcnt(0)
	buffer_gl0_inv
                                        ; implicit-def: $vgpr2
	v_cmpx_gt_u32_e32 32, v0
; %bb.32:
	v_or_b32_e32 v2, 32, v0
	s_or_b32 s0, s0, exec_lo
                                        ; implicit-def: $vgpr3
; %bb.33:
	s_or_b32 exec_lo, exec_lo, s1
	v_mov_b32_e32 v4, v1
.LBB303_34:
	s_and_saveexec_b32 s1, s0
	s_cbranch_execz .LBB303_36
; %bb.35:
	v_lshlrev_b32_e32 v1, 2, v2
	ds_load_b32 v2, v4
	ds_load_b32 v1, v1
	s_waitcnt lgkmcnt(0)
	v_add_f32_e32 v3, v2, v1
.LBB303_36:
	s_or_b32 exec_lo, exec_lo, s1
	s_delay_alu instid0(SALU_CYCLE_1)
	s_mov_b32 s0, exec_lo
	v_cmpx_gt_u32_e32 32, v0
	s_cbranch_execz .LBB303_40
; %bb.37:
	v_cmp_eq_f32_e64 s0, s2, 0
	v_mul_f32_e32 v2, s10, v3
	v_lshl_or_b32 v0, s8, 5, v0
	s_delay_alu instid0(VALU_DEP_3)
	s_and_b32 vcc_lo, exec_lo, s0
	s_mov_b32 s0, 0
	s_cbranch_vccz .LBB303_41
; %bb.38:
	v_mov_b32_e32 v1, 0
	s_delay_alu instid0(VALU_DEP_1) | instskip(NEXT) | instid1(VALU_DEP_1)
	v_lshlrev_b64 v[3:4], 2, v[0:1]
	v_add_co_u32 v3, vcc_lo, s4, v3
	s_delay_alu instid0(VALU_DEP_2)
	v_add_co_ci_u32_e32 v4, vcc_lo, s5, v4, vcc_lo
	global_store_b32 v[3:4], v2, off
	s_and_not1_b32 vcc_lo, exec_lo, s0
	s_cbranch_vccnz .LBB303_40
.LBB303_39:
	v_mov_b32_e32 v1, 0
	s_delay_alu instid0(VALU_DEP_1) | instskip(NEXT) | instid1(VALU_DEP_1)
	v_lshlrev_b64 v[0:1], 2, v[0:1]
	v_add_co_u32 v0, vcc_lo, s4, v0
	s_delay_alu instid0(VALU_DEP_2)
	v_add_co_ci_u32_e32 v1, vcc_lo, s5, v1, vcc_lo
	global_load_b32 v3, v[0:1], off
	s_waitcnt vmcnt(0)
	v_fmac_f32_e32 v2, s2, v3
	global_store_b32 v[0:1], v2, off
.LBB303_40:
	s_nop 0
	s_sendmsg sendmsg(MSG_DEALLOC_VGPRS)
	s_endpgm
.LBB303_41:
	s_branch .LBB303_39
	.section	.rodata,"a",@progbits
	.p2align	6, 0x0
	.amdhsa_kernel _ZN9rocsparseL20bsrxmvn_17_32_kernelILj32EfiiDF16_DF16_fEEvT2_20rocsparse_direction_NS_24const_host_device_scalarIT0_EES1_PKS1_PKT1_SA_S7_PKT3_PKT4_S5_PT5_21rocsparse_index_base_b
		.amdhsa_group_segment_fixed_size 4096
		.amdhsa_private_segment_fixed_size 0
		.amdhsa_kernarg_size 96
		.amdhsa_user_sgpr_count 15
		.amdhsa_user_sgpr_dispatch_ptr 0
		.amdhsa_user_sgpr_queue_ptr 0
		.amdhsa_user_sgpr_kernarg_segment_ptr 1
		.amdhsa_user_sgpr_dispatch_id 0
		.amdhsa_user_sgpr_private_segment_size 0
		.amdhsa_wavefront_size32 1
		.amdhsa_uses_dynamic_stack 0
		.amdhsa_enable_private_segment 0
		.amdhsa_system_sgpr_workgroup_id_x 1
		.amdhsa_system_sgpr_workgroup_id_y 0
		.amdhsa_system_sgpr_workgroup_id_z 0
		.amdhsa_system_sgpr_workgroup_info 0
		.amdhsa_system_vgpr_workitem_id 0
		.amdhsa_next_free_vgpr 9
		.amdhsa_next_free_sgpr 22
		.amdhsa_reserve_vcc 1
		.amdhsa_float_round_mode_32 0
		.amdhsa_float_round_mode_16_64 0
		.amdhsa_float_denorm_mode_32 3
		.amdhsa_float_denorm_mode_16_64 3
		.amdhsa_dx10_clamp 1
		.amdhsa_ieee_mode 1
		.amdhsa_fp16_overflow 0
		.amdhsa_workgroup_processor_mode 1
		.amdhsa_memory_ordered 1
		.amdhsa_forward_progress 0
		.amdhsa_shared_vgpr_count 0
		.amdhsa_exception_fp_ieee_invalid_op 0
		.amdhsa_exception_fp_denorm_src 0
		.amdhsa_exception_fp_ieee_div_zero 0
		.amdhsa_exception_fp_ieee_overflow 0
		.amdhsa_exception_fp_ieee_underflow 0
		.amdhsa_exception_fp_ieee_inexact 0
		.amdhsa_exception_int_div_zero 0
	.end_amdhsa_kernel
	.section	.text._ZN9rocsparseL20bsrxmvn_17_32_kernelILj32EfiiDF16_DF16_fEEvT2_20rocsparse_direction_NS_24const_host_device_scalarIT0_EES1_PKS1_PKT1_SA_S7_PKT3_PKT4_S5_PT5_21rocsparse_index_base_b,"axG",@progbits,_ZN9rocsparseL20bsrxmvn_17_32_kernelILj32EfiiDF16_DF16_fEEvT2_20rocsparse_direction_NS_24const_host_device_scalarIT0_EES1_PKS1_PKT1_SA_S7_PKT3_PKT4_S5_PT5_21rocsparse_index_base_b,comdat
.Lfunc_end303:
	.size	_ZN9rocsparseL20bsrxmvn_17_32_kernelILj32EfiiDF16_DF16_fEEvT2_20rocsparse_direction_NS_24const_host_device_scalarIT0_EES1_PKS1_PKT1_SA_S7_PKT3_PKT4_S5_PT5_21rocsparse_index_base_b, .Lfunc_end303-_ZN9rocsparseL20bsrxmvn_17_32_kernelILj32EfiiDF16_DF16_fEEvT2_20rocsparse_direction_NS_24const_host_device_scalarIT0_EES1_PKS1_PKT1_SA_S7_PKT3_PKT4_S5_PT5_21rocsparse_index_base_b
                                        ; -- End function
	.section	.AMDGPU.csdata,"",@progbits
; Kernel info:
; codeLenInByte = 1348
; NumSgprs: 24
; NumVgprs: 9
; ScratchSize: 0
; MemoryBound: 0
; FloatMode: 240
; IeeeMode: 1
; LDSByteSize: 4096 bytes/workgroup (compile time only)
; SGPRBlocks: 2
; VGPRBlocks: 1
; NumSGPRsForWavesPerEU: 24
; NumVGPRsForWavesPerEU: 9
; Occupancy: 16
; WaveLimiterHint : 1
; COMPUTE_PGM_RSRC2:SCRATCH_EN: 0
; COMPUTE_PGM_RSRC2:USER_SGPR: 15
; COMPUTE_PGM_RSRC2:TRAP_HANDLER: 0
; COMPUTE_PGM_RSRC2:TGID_X_EN: 1
; COMPUTE_PGM_RSRC2:TGID_Y_EN: 0
; COMPUTE_PGM_RSRC2:TGID_Z_EN: 0
; COMPUTE_PGM_RSRC2:TIDIG_COMP_CNT: 0
	.section	.text._ZN9rocsparseL20bsrxmvn_17_32_kernelILj17EfliDF16_DF16_fEEvT2_20rocsparse_direction_NS_24const_host_device_scalarIT0_EES1_PKS1_PKT1_SA_S7_PKT3_PKT4_S5_PT5_21rocsparse_index_base_b,"axG",@progbits,_ZN9rocsparseL20bsrxmvn_17_32_kernelILj17EfliDF16_DF16_fEEvT2_20rocsparse_direction_NS_24const_host_device_scalarIT0_EES1_PKS1_PKT1_SA_S7_PKT3_PKT4_S5_PT5_21rocsparse_index_base_b,comdat
	.globl	_ZN9rocsparseL20bsrxmvn_17_32_kernelILj17EfliDF16_DF16_fEEvT2_20rocsparse_direction_NS_24const_host_device_scalarIT0_EES1_PKS1_PKT1_SA_S7_PKT3_PKT4_S5_PT5_21rocsparse_index_base_b ; -- Begin function _ZN9rocsparseL20bsrxmvn_17_32_kernelILj17EfliDF16_DF16_fEEvT2_20rocsparse_direction_NS_24const_host_device_scalarIT0_EES1_PKS1_PKT1_SA_S7_PKT3_PKT4_S5_PT5_21rocsparse_index_base_b
	.p2align	8
	.type	_ZN9rocsparseL20bsrxmvn_17_32_kernelILj17EfliDF16_DF16_fEEvT2_20rocsparse_direction_NS_24const_host_device_scalarIT0_EES1_PKS1_PKT1_SA_S7_PKT3_PKT4_S5_PT5_21rocsparse_index_base_b,@function
_ZN9rocsparseL20bsrxmvn_17_32_kernelILj17EfliDF16_DF16_fEEvT2_20rocsparse_direction_NS_24const_host_device_scalarIT0_EES1_PKS1_PKT1_SA_S7_PKT3_PKT4_S5_PT5_21rocsparse_index_base_b: ; @_ZN9rocsparseL20bsrxmvn_17_32_kernelILj17EfliDF16_DF16_fEEvT2_20rocsparse_direction_NS_24const_host_device_scalarIT0_EES1_PKS1_PKT1_SA_S7_PKT3_PKT4_S5_PT5_21rocsparse_index_base_b
; %bb.0:
	s_clause 0x2
	s_load_b64 s[16:17], s[0:1], 0x58
	s_load_b64 s[12:13], s[0:1], 0x8
	;; [unrolled: 1-line block ×3, first 2 shown]
	s_mov_b32 s10, s15
	s_waitcnt lgkmcnt(0)
	s_bitcmp1_b32 s17, 0
	s_cselect_b32 s2, -1, 0
	s_delay_alu instid0(SALU_CYCLE_1)
	s_and_b32 vcc_lo, exec_lo, s2
	s_xor_b32 s2, s2, -1
	s_cbranch_vccnz .LBB304_2
; %bb.1:
	s_load_b32 s12, s[12:13], 0x0
.LBB304_2:
	s_and_not1_b32 vcc_lo, exec_lo, s2
	s_cbranch_vccnz .LBB304_4
; %bb.3:
	s_load_b32 s8, s[8:9], 0x0
.LBB304_4:
	s_waitcnt lgkmcnt(0)
	v_cmp_neq_f32_e64 s2, s12, 0
	v_cmp_neq_f32_e64 s3, s8, 1.0
	s_delay_alu instid0(VALU_DEP_1) | instskip(NEXT) | instid1(SALU_CYCLE_1)
	s_or_b32 s2, s2, s3
	s_and_not1_b32 vcc_lo, exec_lo, s2
	s_cbranch_vccnz .LBB304_42
; %bb.5:
	s_clause 0x1
	s_load_b128 s[4:7], s[0:1], 0x18
	s_load_b64 s[14:15], s[0:1], 0x28
	s_waitcnt lgkmcnt(0)
	s_cmp_eq_u64 s[4:5], 0
	s_cbranch_scc1 .LBB304_7
; %bb.6:
	s_ashr_i32 s11, s10, 31
	s_delay_alu instid0(SALU_CYCLE_1) | instskip(NEXT) | instid1(SALU_CYCLE_1)
	s_lshl_b64 s[2:3], s[10:11], 2
	s_add_u32 s2, s4, s2
	s_addc_u32 s3, s5, s3
	s_load_b32 s2, s[2:3], 0x0
	s_waitcnt lgkmcnt(0)
	s_sub_i32 s10, s2, s16
.LBB304_7:
	s_load_b32 s3, s[0:1], 0x4
	v_mul_u32_u24_e32 v1, 0xf10, v0
	v_mov_b32_e32 v6, 0
	s_delay_alu instid0(VALU_DEP_2) | instskip(NEXT) | instid1(VALU_DEP_1)
	v_lshrrev_b32_e32 v1, 16, v1
	v_mul_lo_u16 v2, v1, 17
	s_delay_alu instid0(VALU_DEP_1)
	v_sub_nc_u16 v7, v0, v2
	s_waitcnt lgkmcnt(0)
	s_cmp_eq_u32 s3, 1
	s_cselect_b32 s2, -1, 0
	s_cmp_lg_u32 s3, 1
	s_cselect_b32 s3, -1, 0
	s_ashr_i32 s11, s10, 31
	s_delay_alu instid0(SALU_CYCLE_1) | instskip(NEXT) | instid1(SALU_CYCLE_1)
	s_lshl_b64 s[4:5], s[10:11], 3
	s_add_u32 s6, s6, s4
	s_addc_u32 s7, s7, s5
	s_add_u32 s9, s6, 8
	s_addc_u32 s11, s7, 0
	;; [unrolled: 2-line block ×3, first 2 shown]
	s_cmp_eq_u64 s[14:15], 0
	s_load_b64 s[14:15], s[0:1], 0x50
	s_cselect_b32 s5, s11, s5
	s_cselect_b32 s4, s9, s4
	s_load_b64 s[22:23], s[6:7], 0x0
	s_load_b64 s[18:19], s[4:5], 0x0
	s_waitcnt lgkmcnt(0)
	v_cmp_ge_i64_e64 s4, s[22:23], s[18:19]
	s_delay_alu instid0(VALU_DEP_1)
	s_and_b32 vcc_lo, exec_lo, s4
	s_cbranch_vccnz .LBB304_12
; %bb.8:
	v_mul_lo_u16 v2, v1, 31
	v_dual_mov_b32 v6, 0 :: v_dual_and_b32 v3, 0xffff, v0
	s_sub_u32 s18, s18, s16
	s_subb_u32 s19, s19, 0
	s_delay_alu instid0(VALU_DEP_2) | instskip(NEXT) | instid1(VALU_DEP_2)
	v_lshrrev_b16 v2, 9, v2
	v_mul_u32_u24_e32 v3, 0xe3, v3
	s_sub_u32 s20, s22, s16
	s_subb_u32 s21, s23, 0
	s_clause 0x1
	s_load_b128 s[4:7], s[0:1], 0x30
	s_load_b64 s[0:1], s[0:1], 0x40
	v_mul_lo_u16 v2, v2, 17
	v_lshrrev_b32_e32 v8, 16, v3
	s_mul_hi_u32 s9, s20, 0x242
	s_mul_i32 s11, s21, 0x242
	v_and_b32_e32 v4, 0xffff, v7
	v_sub_nc_u16 v1, v1, v2
	s_add_i32 s9, s9, s11
	v_add_co_u32 v2, s11, s22, v8
	s_delay_alu instid0(VALU_DEP_1) | instskip(NEXT) | instid1(VALU_DEP_3)
	v_add_co_ci_u32_e64 v3, null, s23, 0, s11
	v_and_b32_e32 v1, 0xff, v1
	s_delay_alu instid0(VALU_DEP_3) | instskip(NEXT) | instid1(VALU_DEP_3)
	v_sub_co_u32 v2, vcc_lo, v2, s16
	v_subrev_co_ci_u32_e32 v3, vcc_lo, 0, v3, vcc_lo
	s_delay_alu instid0(VALU_DEP_3) | instskip(SKIP_2) | instid1(VALU_DEP_3)
	v_cndmask_b32_e64 v1, v4, v1, s2
	v_lshlrev_b32_e32 v9, 1, v0
	s_mul_i32 s13, s20, 0x242
	v_lshlrev_b64 v[4:5], 2, v[2:3]
	s_waitcnt lgkmcnt(0)
	s_add_u32 s2, s6, s13
	s_addc_u32 s6, s7, s9
	v_add_co_u32 v2, s2, s2, v9
	s_delay_alu instid0(VALU_DEP_1)
	v_add_co_ci_u32_e64 v3, null, s6, 0, s2
	v_add_co_u32 v4, vcc_lo, s4, v4
	v_add_co_ci_u32_e32 v5, vcc_lo, s5, v5, vcc_lo
	s_set_inst_prefetch_distance 0x1
	s_branch .LBB304_10
	.p2align	6
.LBB304_9:                              ;   in Loop: Header=BB304_10 Depth=1
	s_or_b32 exec_lo, exec_lo, s2
	s_add_u32 s20, s20, 1
	s_addc_u32 s21, s21, 0
	v_add_co_u32 v4, vcc_lo, v4, 4
	v_cmp_lt_i64_e64 s2, s[20:21], s[18:19]
	v_add_co_ci_u32_e32 v5, vcc_lo, 0, v5, vcc_lo
	s_delay_alu instid0(VALU_DEP_2)
	s_and_b32 vcc_lo, exec_lo, s2
	s_cbranch_vccz .LBB304_12
.LBB304_10:                             ; =>This Inner Loop Header: Depth=1
	v_add_co_u32 v9, s2, v8, s20
	s_delay_alu instid0(VALU_DEP_1) | instskip(SKIP_1) | instid1(VALU_DEP_1)
	v_add_co_ci_u32_e64 v10, null, 0, s21, s2
	s_mov_b32 s2, exec_lo
	v_cmpx_gt_i64_e64 s[18:19], v[9:10]
	s_cbranch_execz .LBB304_9
; %bb.11:                               ;   in Loop: Header=BB304_10 Depth=1
	global_load_b32 v9, v[4:5], off
	s_waitcnt vmcnt(0)
	v_subrev_nc_u32_e32 v11, s16, v9
	s_delay_alu instid0(VALU_DEP_1) | instskip(NEXT) | instid1(VALU_DEP_1)
	v_mad_u64_u32 v[9:10], null, v11, 17, v[1:2]
	v_ashrrev_i32_e32 v10, 31, v9
	s_delay_alu instid0(VALU_DEP_1) | instskip(NEXT) | instid1(VALU_DEP_1)
	v_lshlrev_b64 v[9:10], 1, v[9:10]
	v_add_co_u32 v9, vcc_lo, s0, v9
	s_delay_alu instid0(VALU_DEP_2)
	v_add_co_ci_u32_e32 v10, vcc_lo, s1, v10, vcc_lo
	global_load_u16 v11, v[2:3], off
	global_load_u16 v9, v[9:10], off
	v_add_co_u32 v2, vcc_lo, 0x242, v2
	v_add_co_ci_u32_e32 v3, vcc_lo, 0, v3, vcc_lo
	s_waitcnt vmcnt(0)
	v_fma_mix_f32 v6, v11, v9, v6 op_sel_hi:[1,1,0]
	s_branch .LBB304_9
.LBB304_12:
	s_set_inst_prefetch_distance 0x2
	v_lshlrev_b32_e32 v1, 2, v0
	s_and_b32 vcc_lo, exec_lo, s3
	ds_store_b32 v1, v6
	s_waitcnt lgkmcnt(0)
	s_barrier
	buffer_gl0_inv
	s_cbranch_vccz .LBB304_24
; %bb.13:
	s_mov_b32 s0, exec_lo
	v_cmpx_eq_u16_e32 0, v7
	s_cbranch_execz .LBB304_15
; %bb.14:
	ds_load_2addr_b32 v[2:3], v1 offset1:16
	s_waitcnt lgkmcnt(0)
	v_add_f32_e32 v2, v3, v2
	ds_store_b32 v1, v2
.LBB304_15:
	s_or_b32 exec_lo, exec_lo, s0
	s_delay_alu instid0(SALU_CYCLE_1)
	s_mov_b32 s0, exec_lo
	s_waitcnt lgkmcnt(0)
	s_barrier
	buffer_gl0_inv
	v_cmpx_gt_u16_e32 8, v7
	s_cbranch_execz .LBB304_17
; %bb.16:
	ds_load_2addr_b32 v[2:3], v1 offset1:8
	s_waitcnt lgkmcnt(0)
	v_add_f32_e32 v2, v3, v2
	ds_store_b32 v1, v2
.LBB304_17:
	s_or_b32 exec_lo, exec_lo, s0
	s_delay_alu instid0(SALU_CYCLE_1)
	s_mov_b32 s0, exec_lo
	s_waitcnt lgkmcnt(0)
	s_barrier
	buffer_gl0_inv
	v_cmpx_gt_u16_e32 4, v7
	s_cbranch_execz .LBB304_19
; %bb.18:
	ds_load_2addr_b32 v[2:3], v1 offset1:4
	s_waitcnt lgkmcnt(0)
	v_add_f32_e32 v2, v3, v2
	ds_store_b32 v1, v2
.LBB304_19:
	s_or_b32 exec_lo, exec_lo, s0
	s_delay_alu instid0(SALU_CYCLE_1)
	s_mov_b32 s0, exec_lo
	s_waitcnt lgkmcnt(0)
	s_barrier
	buffer_gl0_inv
	v_cmpx_gt_u16_e32 2, v7
	s_cbranch_execz .LBB304_21
; %bb.20:
	ds_load_2addr_b32 v[2:3], v1 offset1:2
	s_waitcnt lgkmcnt(0)
	v_add_f32_e32 v2, v3, v2
	ds_store_b32 v1, v2
.LBB304_21:
	s_or_b32 exec_lo, exec_lo, s0
	s_mov_b32 s0, 0
	s_mov_b32 s1, 0
	s_mov_b32 s2, exec_lo
	s_waitcnt lgkmcnt(0)
	s_barrier
	buffer_gl0_inv
                                        ; implicit-def: $vgpr2
                                        ; implicit-def: $vgpr3
	v_cmpx_gt_u32_e32 17, v0
	s_xor_b32 s2, exec_lo, s2
; %bb.22:
	v_mad_u32_u24 v2, v0, 17, 1
	v_lshl_add_u32 v3, v0, 6, v1
	s_mov_b32 s1, exec_lo
; %bb.23:
	s_or_b32 exec_lo, exec_lo, s2
	s_delay_alu instid0(SALU_CYCLE_1)
	s_and_b32 vcc_lo, exec_lo, s0
	v_cmp_gt_u32_e64 s0, 17, v0
	s_cbranch_vccnz .LBB304_25
	s_branch .LBB304_36
.LBB304_24:
	s_mov_b32 s1, 0
                                        ; implicit-def: $vgpr2
                                        ; implicit-def: $vgpr3
	v_cmp_gt_u32_e64 s0, 17, v0
	s_cbranch_execz .LBB304_36
.LBB304_25:
	s_delay_alu instid0(VALU_DEP_1)
	s_and_saveexec_b32 s2, s0
	s_cbranch_execz .LBB304_27
; %bb.26:
	ds_load_b32 v2, v1 offset:1088
	ds_load_b32 v3, v1
	s_waitcnt lgkmcnt(0)
	v_add_f32_e32 v2, v2, v3
	ds_store_b32 v1, v2
.LBB304_27:
	s_or_b32 exec_lo, exec_lo, s2
	s_delay_alu instid0(SALU_CYCLE_1)
	s_mov_b32 s2, exec_lo
	s_waitcnt lgkmcnt(0)
	s_barrier
	buffer_gl0_inv
	v_cmpx_gt_u32_e32 0x88, v0
	s_cbranch_execz .LBB304_29
; %bb.28:
	ds_load_2addr_b32 v[2:3], v1 offset1:136
	s_waitcnt lgkmcnt(0)
	v_add_f32_e32 v2, v3, v2
	ds_store_b32 v1, v2
.LBB304_29:
	s_or_b32 exec_lo, exec_lo, s2
	s_delay_alu instid0(SALU_CYCLE_1)
	s_mov_b32 s2, exec_lo
	s_waitcnt lgkmcnt(0)
	s_barrier
	buffer_gl0_inv
	v_cmpx_gt_u32_e32 0x44, v0
	s_cbranch_execz .LBB304_31
; %bb.30:
	ds_load_2addr_b32 v[2:3], v1 offset1:68
	s_waitcnt lgkmcnt(0)
	v_add_f32_e32 v2, v3, v2
	ds_store_b32 v1, v2
.LBB304_31:
	;; [unrolled: 14-line block ×3, first 2 shown]
	s_or_b32 exec_lo, exec_lo, s2
	s_waitcnt lgkmcnt(0)
	buffer_gl0_inv
                                        ; implicit-def: $vgpr2
	s_and_saveexec_b32 s2, s0
; %bb.34:
	v_add_nc_u32_e32 v2, 17, v0
	s_or_b32 s1, s1, exec_lo
                                        ; implicit-def: $vgpr6
; %bb.35:
	s_or_b32 exec_lo, exec_lo, s2
	v_mov_b32_e32 v3, v1
.LBB304_36:
	s_and_saveexec_b32 s0, s1
	s_cbranch_execz .LBB304_38
; %bb.37:
	v_lshlrev_b32_e32 v1, 2, v2
	ds_load_b32 v2, v3
	ds_load_b32 v1, v1
	s_waitcnt lgkmcnt(0)
	v_add_f32_e32 v6, v2, v1
.LBB304_38:
	s_or_b32 exec_lo, exec_lo, s0
	s_delay_alu instid0(SALU_CYCLE_1)
	s_mov_b32 s0, exec_lo
	v_cmpx_gt_u32_e32 17, v0
	s_cbranch_execz .LBB304_42
; %bb.39:
	v_cmp_eq_f32_e64 s0, s8, 0
	v_mul_f32_e32 v1, s12, v6
	s_delay_alu instid0(VALU_DEP_2)
	s_and_b32 vcc_lo, exec_lo, s0
	s_mov_b32 s0, 0
	s_cbranch_vccz .LBB304_43
; %bb.40:
	s_delay_alu instid0(VALU_DEP_1) | instskip(SKIP_1) | instid1(VALU_DEP_1)
	v_mad_u64_u32 v[2:3], null, s10, 17, v[0:1]
	v_mov_b32_e32 v3, 0
	v_lshlrev_b64 v[2:3], 2, v[2:3]
	s_delay_alu instid0(VALU_DEP_1) | instskip(NEXT) | instid1(VALU_DEP_2)
	v_add_co_u32 v2, vcc_lo, s14, v2
	v_add_co_ci_u32_e32 v3, vcc_lo, s15, v3, vcc_lo
	global_store_b32 v[2:3], v1, off
	s_and_not1_b32 vcc_lo, exec_lo, s0
	s_cbranch_vccnz .LBB304_42
.LBB304_41:
	v_mad_u64_u32 v[2:3], null, s10, 17, v[0:1]
	v_mov_b32_e32 v3, 0
	s_delay_alu instid0(VALU_DEP_1) | instskip(NEXT) | instid1(VALU_DEP_1)
	v_lshlrev_b64 v[2:3], 2, v[2:3]
	v_add_co_u32 v2, vcc_lo, s14, v2
	s_delay_alu instid0(VALU_DEP_2)
	v_add_co_ci_u32_e32 v3, vcc_lo, s15, v3, vcc_lo
	global_load_b32 v0, v[2:3], off
	s_waitcnt vmcnt(0)
	v_fmac_f32_e32 v1, s8, v0
	global_store_b32 v[2:3], v1, off
.LBB304_42:
	s_nop 0
	s_sendmsg sendmsg(MSG_DEALLOC_VGPRS)
	s_endpgm
.LBB304_43:
	s_branch .LBB304_41
	.section	.rodata,"a",@progbits
	.p2align	6, 0x0
	.amdhsa_kernel _ZN9rocsparseL20bsrxmvn_17_32_kernelILj17EfliDF16_DF16_fEEvT2_20rocsparse_direction_NS_24const_host_device_scalarIT0_EES1_PKS1_PKT1_SA_S7_PKT3_PKT4_S5_PT5_21rocsparse_index_base_b
		.amdhsa_group_segment_fixed_size 1156
		.amdhsa_private_segment_fixed_size 0
		.amdhsa_kernarg_size 96
		.amdhsa_user_sgpr_count 15
		.amdhsa_user_sgpr_dispatch_ptr 0
		.amdhsa_user_sgpr_queue_ptr 0
		.amdhsa_user_sgpr_kernarg_segment_ptr 1
		.amdhsa_user_sgpr_dispatch_id 0
		.amdhsa_user_sgpr_private_segment_size 0
		.amdhsa_wavefront_size32 1
		.amdhsa_uses_dynamic_stack 0
		.amdhsa_enable_private_segment 0
		.amdhsa_system_sgpr_workgroup_id_x 1
		.amdhsa_system_sgpr_workgroup_id_y 0
		.amdhsa_system_sgpr_workgroup_id_z 0
		.amdhsa_system_sgpr_workgroup_info 0
		.amdhsa_system_vgpr_workitem_id 0
		.amdhsa_next_free_vgpr 12
		.amdhsa_next_free_sgpr 24
		.amdhsa_reserve_vcc 1
		.amdhsa_float_round_mode_32 0
		.amdhsa_float_round_mode_16_64 0
		.amdhsa_float_denorm_mode_32 3
		.amdhsa_float_denorm_mode_16_64 3
		.amdhsa_dx10_clamp 1
		.amdhsa_ieee_mode 1
		.amdhsa_fp16_overflow 0
		.amdhsa_workgroup_processor_mode 1
		.amdhsa_memory_ordered 1
		.amdhsa_forward_progress 0
		.amdhsa_shared_vgpr_count 0
		.amdhsa_exception_fp_ieee_invalid_op 0
		.amdhsa_exception_fp_denorm_src 0
		.amdhsa_exception_fp_ieee_div_zero 0
		.amdhsa_exception_fp_ieee_overflow 0
		.amdhsa_exception_fp_ieee_underflow 0
		.amdhsa_exception_fp_ieee_inexact 0
		.amdhsa_exception_int_div_zero 0
	.end_amdhsa_kernel
	.section	.text._ZN9rocsparseL20bsrxmvn_17_32_kernelILj17EfliDF16_DF16_fEEvT2_20rocsparse_direction_NS_24const_host_device_scalarIT0_EES1_PKS1_PKT1_SA_S7_PKT3_PKT4_S5_PT5_21rocsparse_index_base_b,"axG",@progbits,_ZN9rocsparseL20bsrxmvn_17_32_kernelILj17EfliDF16_DF16_fEEvT2_20rocsparse_direction_NS_24const_host_device_scalarIT0_EES1_PKS1_PKT1_SA_S7_PKT3_PKT4_S5_PT5_21rocsparse_index_base_b,comdat
.Lfunc_end304:
	.size	_ZN9rocsparseL20bsrxmvn_17_32_kernelILj17EfliDF16_DF16_fEEvT2_20rocsparse_direction_NS_24const_host_device_scalarIT0_EES1_PKS1_PKT1_SA_S7_PKT3_PKT4_S5_PT5_21rocsparse_index_base_b, .Lfunc_end304-_ZN9rocsparseL20bsrxmvn_17_32_kernelILj17EfliDF16_DF16_fEEvT2_20rocsparse_direction_NS_24const_host_device_scalarIT0_EES1_PKS1_PKT1_SA_S7_PKT3_PKT4_S5_PT5_21rocsparse_index_base_b
                                        ; -- End function
	.section	.AMDGPU.csdata,"",@progbits
; Kernel info:
; codeLenInByte = 1640
; NumSgprs: 26
; NumVgprs: 12
; ScratchSize: 0
; MemoryBound: 0
; FloatMode: 240
; IeeeMode: 1
; LDSByteSize: 1156 bytes/workgroup (compile time only)
; SGPRBlocks: 3
; VGPRBlocks: 1
; NumSGPRsForWavesPerEU: 26
; NumVGPRsForWavesPerEU: 12
; Occupancy: 15
; WaveLimiterHint : 1
; COMPUTE_PGM_RSRC2:SCRATCH_EN: 0
; COMPUTE_PGM_RSRC2:USER_SGPR: 15
; COMPUTE_PGM_RSRC2:TRAP_HANDLER: 0
; COMPUTE_PGM_RSRC2:TGID_X_EN: 1
; COMPUTE_PGM_RSRC2:TGID_Y_EN: 0
; COMPUTE_PGM_RSRC2:TGID_Z_EN: 0
; COMPUTE_PGM_RSRC2:TIDIG_COMP_CNT: 0
	.section	.text._ZN9rocsparseL20bsrxmvn_17_32_kernelILj18EfliDF16_DF16_fEEvT2_20rocsparse_direction_NS_24const_host_device_scalarIT0_EES1_PKS1_PKT1_SA_S7_PKT3_PKT4_S5_PT5_21rocsparse_index_base_b,"axG",@progbits,_ZN9rocsparseL20bsrxmvn_17_32_kernelILj18EfliDF16_DF16_fEEvT2_20rocsparse_direction_NS_24const_host_device_scalarIT0_EES1_PKS1_PKT1_SA_S7_PKT3_PKT4_S5_PT5_21rocsparse_index_base_b,comdat
	.globl	_ZN9rocsparseL20bsrxmvn_17_32_kernelILj18EfliDF16_DF16_fEEvT2_20rocsparse_direction_NS_24const_host_device_scalarIT0_EES1_PKS1_PKT1_SA_S7_PKT3_PKT4_S5_PT5_21rocsparse_index_base_b ; -- Begin function _ZN9rocsparseL20bsrxmvn_17_32_kernelILj18EfliDF16_DF16_fEEvT2_20rocsparse_direction_NS_24const_host_device_scalarIT0_EES1_PKS1_PKT1_SA_S7_PKT3_PKT4_S5_PT5_21rocsparse_index_base_b
	.p2align	8
	.type	_ZN9rocsparseL20bsrxmvn_17_32_kernelILj18EfliDF16_DF16_fEEvT2_20rocsparse_direction_NS_24const_host_device_scalarIT0_EES1_PKS1_PKT1_SA_S7_PKT3_PKT4_S5_PT5_21rocsparse_index_base_b,@function
_ZN9rocsparseL20bsrxmvn_17_32_kernelILj18EfliDF16_DF16_fEEvT2_20rocsparse_direction_NS_24const_host_device_scalarIT0_EES1_PKS1_PKT1_SA_S7_PKT3_PKT4_S5_PT5_21rocsparse_index_base_b: ; @_ZN9rocsparseL20bsrxmvn_17_32_kernelILj18EfliDF16_DF16_fEEvT2_20rocsparse_direction_NS_24const_host_device_scalarIT0_EES1_PKS1_PKT1_SA_S7_PKT3_PKT4_S5_PT5_21rocsparse_index_base_b
; %bb.0:
	s_clause 0x2
	s_load_b64 s[16:17], s[0:1], 0x58
	s_load_b64 s[12:13], s[0:1], 0x8
	;; [unrolled: 1-line block ×3, first 2 shown]
	s_mov_b32 s10, s15
	s_waitcnt lgkmcnt(0)
	s_bitcmp1_b32 s17, 0
	s_cselect_b32 s2, -1, 0
	s_delay_alu instid0(SALU_CYCLE_1)
	s_and_b32 vcc_lo, exec_lo, s2
	s_xor_b32 s2, s2, -1
	s_cbranch_vccnz .LBB305_2
; %bb.1:
	s_load_b32 s12, s[12:13], 0x0
.LBB305_2:
	s_and_not1_b32 vcc_lo, exec_lo, s2
	s_cbranch_vccnz .LBB305_4
; %bb.3:
	s_load_b32 s8, s[8:9], 0x0
.LBB305_4:
	s_waitcnt lgkmcnt(0)
	v_cmp_neq_f32_e64 s2, s12, 0
	v_cmp_neq_f32_e64 s3, s8, 1.0
	s_delay_alu instid0(VALU_DEP_1) | instskip(NEXT) | instid1(SALU_CYCLE_1)
	s_or_b32 s2, s2, s3
	s_and_not1_b32 vcc_lo, exec_lo, s2
	s_cbranch_vccnz .LBB305_42
; %bb.5:
	s_clause 0x1
	s_load_b128 s[4:7], s[0:1], 0x18
	s_load_b64 s[14:15], s[0:1], 0x28
	s_waitcnt lgkmcnt(0)
	s_cmp_eq_u64 s[4:5], 0
	s_cbranch_scc1 .LBB305_7
; %bb.6:
	s_ashr_i32 s11, s10, 31
	s_delay_alu instid0(SALU_CYCLE_1) | instskip(NEXT) | instid1(SALU_CYCLE_1)
	s_lshl_b64 s[2:3], s[10:11], 2
	s_add_u32 s2, s4, s2
	s_addc_u32 s3, s5, s3
	s_load_b32 s2, s[2:3], 0x0
	s_waitcnt lgkmcnt(0)
	s_sub_i32 s10, s2, s16
.LBB305_7:
	s_load_b32 s3, s[0:1], 0x4
	v_mul_u32_u24_e32 v1, 0xe39, v0
	v_mov_b32_e32 v6, 0
	s_delay_alu instid0(VALU_DEP_2) | instskip(NEXT) | instid1(VALU_DEP_1)
	v_lshrrev_b32_e32 v1, 16, v1
	v_mul_lo_u16 v2, v1, 18
	s_delay_alu instid0(VALU_DEP_1)
	v_sub_nc_u16 v7, v0, v2
	s_waitcnt lgkmcnt(0)
	s_cmp_eq_u32 s3, 1
	s_cselect_b32 s2, -1, 0
	s_cmp_lg_u32 s3, 1
	s_cselect_b32 s3, -1, 0
	s_ashr_i32 s11, s10, 31
	s_delay_alu instid0(SALU_CYCLE_1) | instskip(NEXT) | instid1(SALU_CYCLE_1)
	s_lshl_b64 s[4:5], s[10:11], 3
	s_add_u32 s6, s6, s4
	s_addc_u32 s7, s7, s5
	s_add_u32 s9, s6, 8
	s_addc_u32 s11, s7, 0
	;; [unrolled: 2-line block ×3, first 2 shown]
	s_cmp_eq_u64 s[14:15], 0
	s_load_b64 s[14:15], s[0:1], 0x50
	s_cselect_b32 s5, s11, s5
	s_cselect_b32 s4, s9, s4
	s_load_b64 s[22:23], s[6:7], 0x0
	s_load_b64 s[18:19], s[4:5], 0x0
	s_waitcnt lgkmcnt(0)
	v_cmp_ge_i64_e64 s4, s[22:23], s[18:19]
	s_delay_alu instid0(VALU_DEP_1)
	s_and_b32 vcc_lo, exec_lo, s4
	s_cbranch_vccnz .LBB305_12
; %bb.8:
	v_mul_lo_u16 v2, v1, 15
	v_dual_mov_b32 v6, 0 :: v_dual_and_b32 v3, 0xffff, v0
	s_sub_u32 s18, s18, s16
	s_subb_u32 s19, s19, 0
	s_delay_alu instid0(VALU_DEP_2) | instskip(NEXT) | instid1(VALU_DEP_2)
	v_lshrrev_b16 v2, 8, v2
	v_mul_u32_u24_e32 v3, 0x195, v3
	s_sub_u32 s20, s22, s16
	s_subb_u32 s21, s23, 0
	s_clause 0x1
	s_load_b128 s[4:7], s[0:1], 0x30
	s_load_b64 s[0:1], s[0:1], 0x40
	v_mul_lo_u16 v2, v2, 18
	v_lshrrev_b32_e32 v8, 17, v3
	s_mul_hi_u32 s9, s20, 0x288
	s_mul_i32 s11, s21, 0x288
	v_and_b32_e32 v4, 0xffff, v7
	v_sub_nc_u16 v1, v1, v2
	s_add_i32 s9, s9, s11
	v_add_co_u32 v2, s11, s22, v8
	s_delay_alu instid0(VALU_DEP_1) | instskip(NEXT) | instid1(VALU_DEP_3)
	v_add_co_ci_u32_e64 v3, null, s23, 0, s11
	v_and_b32_e32 v1, 0xff, v1
	s_delay_alu instid0(VALU_DEP_3) | instskip(NEXT) | instid1(VALU_DEP_3)
	v_sub_co_u32 v2, vcc_lo, v2, s16
	v_subrev_co_ci_u32_e32 v3, vcc_lo, 0, v3, vcc_lo
	s_delay_alu instid0(VALU_DEP_3) | instskip(SKIP_2) | instid1(VALU_DEP_3)
	v_cndmask_b32_e64 v1, v4, v1, s2
	v_lshlrev_b32_e32 v9, 1, v0
	s_mul_i32 s13, s20, 0x288
	v_lshlrev_b64 v[4:5], 2, v[2:3]
	s_waitcnt lgkmcnt(0)
	s_add_u32 s2, s6, s13
	s_addc_u32 s6, s7, s9
	v_add_co_u32 v2, s2, s2, v9
	s_delay_alu instid0(VALU_DEP_1)
	v_add_co_ci_u32_e64 v3, null, s6, 0, s2
	v_add_co_u32 v4, vcc_lo, s4, v4
	v_add_co_ci_u32_e32 v5, vcc_lo, s5, v5, vcc_lo
	s_set_inst_prefetch_distance 0x1
	s_branch .LBB305_10
	.p2align	6
.LBB305_9:                              ;   in Loop: Header=BB305_10 Depth=1
	s_or_b32 exec_lo, exec_lo, s2
	s_add_u32 s20, s20, 1
	s_addc_u32 s21, s21, 0
	v_add_co_u32 v4, vcc_lo, v4, 4
	v_cmp_lt_i64_e64 s2, s[20:21], s[18:19]
	v_add_co_ci_u32_e32 v5, vcc_lo, 0, v5, vcc_lo
	s_delay_alu instid0(VALU_DEP_2)
	s_and_b32 vcc_lo, exec_lo, s2
	s_cbranch_vccz .LBB305_12
.LBB305_10:                             ; =>This Inner Loop Header: Depth=1
	v_add_co_u32 v9, s2, v8, s20
	s_delay_alu instid0(VALU_DEP_1) | instskip(SKIP_1) | instid1(VALU_DEP_1)
	v_add_co_ci_u32_e64 v10, null, 0, s21, s2
	s_mov_b32 s2, exec_lo
	v_cmpx_gt_i64_e64 s[18:19], v[9:10]
	s_cbranch_execz .LBB305_9
; %bb.11:                               ;   in Loop: Header=BB305_10 Depth=1
	global_load_b32 v9, v[4:5], off
	s_waitcnt vmcnt(0)
	v_subrev_nc_u32_e32 v11, s16, v9
	s_delay_alu instid0(VALU_DEP_1) | instskip(NEXT) | instid1(VALU_DEP_1)
	v_mad_u64_u32 v[9:10], null, v11, 18, v[1:2]
	v_ashrrev_i32_e32 v10, 31, v9
	s_delay_alu instid0(VALU_DEP_1) | instskip(NEXT) | instid1(VALU_DEP_1)
	v_lshlrev_b64 v[9:10], 1, v[9:10]
	v_add_co_u32 v9, vcc_lo, s0, v9
	s_delay_alu instid0(VALU_DEP_2)
	v_add_co_ci_u32_e32 v10, vcc_lo, s1, v10, vcc_lo
	global_load_u16 v11, v[2:3], off
	global_load_u16 v9, v[9:10], off
	v_add_co_u32 v2, vcc_lo, 0x288, v2
	v_add_co_ci_u32_e32 v3, vcc_lo, 0, v3, vcc_lo
	s_waitcnt vmcnt(0)
	v_fma_mix_f32 v6, v11, v9, v6 op_sel_hi:[1,1,0]
	s_branch .LBB305_9
.LBB305_12:
	s_set_inst_prefetch_distance 0x2
	v_lshlrev_b32_e32 v1, 2, v0
	s_and_b32 vcc_lo, exec_lo, s3
	ds_store_b32 v1, v6
	s_waitcnt lgkmcnt(0)
	s_barrier
	buffer_gl0_inv
	s_cbranch_vccz .LBB305_24
; %bb.13:
	v_cmp_gt_u16_e32 vcc_lo, 2, v7
	s_and_saveexec_b32 s0, vcc_lo
	s_cbranch_execz .LBB305_15
; %bb.14:
	ds_load_2addr_b32 v[2:3], v1 offset1:16
	s_waitcnt lgkmcnt(0)
	v_add_f32_e32 v2, v3, v2
	ds_store_b32 v1, v2
.LBB305_15:
	s_or_b32 exec_lo, exec_lo, s0
	s_delay_alu instid0(SALU_CYCLE_1)
	s_mov_b32 s1, exec_lo
	s_waitcnt lgkmcnt(0)
	s_barrier
	buffer_gl0_inv
	v_cmpx_gt_u16_e32 8, v7
	s_cbranch_execz .LBB305_17
; %bb.16:
	ds_load_2addr_b32 v[2:3], v1 offset1:8
	s_waitcnt lgkmcnt(0)
	v_add_f32_e32 v2, v3, v2
	ds_store_b32 v1, v2
.LBB305_17:
	s_or_b32 exec_lo, exec_lo, s1
	s_delay_alu instid0(SALU_CYCLE_1)
	s_mov_b32 s1, exec_lo
	s_waitcnt lgkmcnt(0)
	s_barrier
	buffer_gl0_inv
	v_cmpx_gt_u16_e32 4, v7
	s_cbranch_execz .LBB305_19
; %bb.18:
	ds_load_2addr_b32 v[2:3], v1 offset1:4
	s_waitcnt lgkmcnt(0)
	v_add_f32_e32 v2, v3, v2
	ds_store_b32 v1, v2
.LBB305_19:
	s_or_b32 exec_lo, exec_lo, s1
	s_waitcnt lgkmcnt(0)
	s_barrier
	buffer_gl0_inv
	s_and_saveexec_b32 s0, vcc_lo
	s_cbranch_execz .LBB305_21
; %bb.20:
	ds_load_2addr_b32 v[2:3], v1 offset1:2
	s_waitcnt lgkmcnt(0)
	v_add_f32_e32 v2, v3, v2
	ds_store_b32 v1, v2
.LBB305_21:
	s_or_b32 exec_lo, exec_lo, s0
	s_mov_b32 s0, 0
	s_mov_b32 s1, 0
	s_mov_b32 s2, exec_lo
	s_waitcnt lgkmcnt(0)
	s_barrier
	buffer_gl0_inv
                                        ; implicit-def: $vgpr2
                                        ; implicit-def: $vgpr3
	v_cmpx_gt_u32_e32 18, v0
	s_xor_b32 s2, exec_lo, s2
; %bb.22:
	v_mul_u32_u24_e32 v2, 18, v0
	v_mad_u32_u24 v3, 0x44, v0, v1
	s_mov_b32 s1, exec_lo
	s_delay_alu instid0(VALU_DEP_2)
	v_or_b32_e32 v2, 1, v2
; %bb.23:
	s_or_b32 exec_lo, exec_lo, s2
	s_delay_alu instid0(SALU_CYCLE_1)
	s_and_b32 vcc_lo, exec_lo, s0
	s_cbranch_vccnz .LBB305_25
	s_branch .LBB305_36
.LBB305_24:
	s_mov_b32 s1, 0
                                        ; implicit-def: $vgpr2
                                        ; implicit-def: $vgpr3
	s_cbranch_execz .LBB305_36
.LBB305_25:
	v_cmp_gt_u32_e32 vcc_lo, 36, v0
	s_and_saveexec_b32 s0, vcc_lo
	s_cbranch_execz .LBB305_27
; %bb.26:
	ds_load_b32 v2, v1 offset:1152
	ds_load_b32 v3, v1
	s_waitcnt lgkmcnt(0)
	v_add_f32_e32 v2, v2, v3
	ds_store_b32 v1, v2
.LBB305_27:
	s_or_b32 exec_lo, exec_lo, s0
	s_delay_alu instid0(SALU_CYCLE_1)
	s_mov_b32 s2, exec_lo
	s_waitcnt lgkmcnt(0)
	s_barrier
	buffer_gl0_inv
	v_cmpx_gt_u32_e32 0x90, v0
	s_cbranch_execz .LBB305_29
; %bb.28:
	ds_load_2addr_b32 v[2:3], v1 offset1:144
	s_waitcnt lgkmcnt(0)
	v_add_f32_e32 v2, v3, v2
	ds_store_b32 v1, v2
.LBB305_29:
	s_or_b32 exec_lo, exec_lo, s2
	s_delay_alu instid0(SALU_CYCLE_1)
	s_mov_b32 s2, exec_lo
	s_waitcnt lgkmcnt(0)
	s_barrier
	buffer_gl0_inv
	v_cmpx_gt_u32_e32 0x48, v0
	s_cbranch_execz .LBB305_31
; %bb.30:
	ds_load_2addr_b32 v[2:3], v1 offset1:72
	s_waitcnt lgkmcnt(0)
	v_add_f32_e32 v2, v3, v2
	ds_store_b32 v1, v2
.LBB305_31:
	s_or_b32 exec_lo, exec_lo, s2
	s_waitcnt lgkmcnt(0)
	s_barrier
	buffer_gl0_inv
	s_and_saveexec_b32 s0, vcc_lo
	s_cbranch_execz .LBB305_33
; %bb.32:
	ds_load_2addr_b32 v[2:3], v1 offset1:36
	s_waitcnt lgkmcnt(0)
	v_add_f32_e32 v2, v3, v2
	ds_store_b32 v1, v2
.LBB305_33:
	s_or_b32 exec_lo, exec_lo, s0
	s_delay_alu instid0(SALU_CYCLE_1)
	s_mov_b32 s0, exec_lo
	s_waitcnt lgkmcnt(0)
	buffer_gl0_inv
                                        ; implicit-def: $vgpr2
	v_cmpx_gt_u32_e32 18, v0
; %bb.34:
	v_add_nc_u32_e32 v2, 18, v0
	s_or_b32 s1, s1, exec_lo
                                        ; implicit-def: $vgpr6
; %bb.35:
	s_or_b32 exec_lo, exec_lo, s0
	v_mov_b32_e32 v3, v1
.LBB305_36:
	s_and_saveexec_b32 s0, s1
	s_cbranch_execz .LBB305_38
; %bb.37:
	v_lshlrev_b32_e32 v1, 2, v2
	ds_load_b32 v2, v3
	ds_load_b32 v1, v1
	s_waitcnt lgkmcnt(0)
	v_add_f32_e32 v6, v2, v1
.LBB305_38:
	s_or_b32 exec_lo, exec_lo, s0
	s_delay_alu instid0(SALU_CYCLE_1)
	s_mov_b32 s0, exec_lo
	v_cmpx_gt_u32_e32 18, v0
	s_cbranch_execz .LBB305_42
; %bb.39:
	v_cmp_eq_f32_e64 s0, s8, 0
	v_mul_f32_e32 v1, s12, v6
	s_delay_alu instid0(VALU_DEP_2)
	s_and_b32 vcc_lo, exec_lo, s0
	s_mov_b32 s0, 0
	s_cbranch_vccz .LBB305_43
; %bb.40:
	s_delay_alu instid0(VALU_DEP_1) | instskip(SKIP_1) | instid1(VALU_DEP_1)
	v_mad_u64_u32 v[2:3], null, s10, 18, v[0:1]
	v_mov_b32_e32 v3, 0
	v_lshlrev_b64 v[2:3], 2, v[2:3]
	s_delay_alu instid0(VALU_DEP_1) | instskip(NEXT) | instid1(VALU_DEP_2)
	v_add_co_u32 v2, vcc_lo, s14, v2
	v_add_co_ci_u32_e32 v3, vcc_lo, s15, v3, vcc_lo
	global_store_b32 v[2:3], v1, off
	s_and_not1_b32 vcc_lo, exec_lo, s0
	s_cbranch_vccnz .LBB305_42
.LBB305_41:
	v_mad_u64_u32 v[2:3], null, s10, 18, v[0:1]
	v_mov_b32_e32 v3, 0
	s_delay_alu instid0(VALU_DEP_1) | instskip(NEXT) | instid1(VALU_DEP_1)
	v_lshlrev_b64 v[2:3], 2, v[2:3]
	v_add_co_u32 v2, vcc_lo, s14, v2
	s_delay_alu instid0(VALU_DEP_2)
	v_add_co_ci_u32_e32 v3, vcc_lo, s15, v3, vcc_lo
	global_load_b32 v0, v[2:3], off
	s_waitcnt vmcnt(0)
	v_fmac_f32_e32 v1, s8, v0
	global_store_b32 v[2:3], v1, off
.LBB305_42:
	s_nop 0
	s_sendmsg sendmsg(MSG_DEALLOC_VGPRS)
	s_endpgm
.LBB305_43:
	s_branch .LBB305_41
	.section	.rodata,"a",@progbits
	.p2align	6, 0x0
	.amdhsa_kernel _ZN9rocsparseL20bsrxmvn_17_32_kernelILj18EfliDF16_DF16_fEEvT2_20rocsparse_direction_NS_24const_host_device_scalarIT0_EES1_PKS1_PKT1_SA_S7_PKT3_PKT4_S5_PT5_21rocsparse_index_base_b
		.amdhsa_group_segment_fixed_size 1296
		.amdhsa_private_segment_fixed_size 0
		.amdhsa_kernarg_size 96
		.amdhsa_user_sgpr_count 15
		.amdhsa_user_sgpr_dispatch_ptr 0
		.amdhsa_user_sgpr_queue_ptr 0
		.amdhsa_user_sgpr_kernarg_segment_ptr 1
		.amdhsa_user_sgpr_dispatch_id 0
		.amdhsa_user_sgpr_private_segment_size 0
		.amdhsa_wavefront_size32 1
		.amdhsa_uses_dynamic_stack 0
		.amdhsa_enable_private_segment 0
		.amdhsa_system_sgpr_workgroup_id_x 1
		.amdhsa_system_sgpr_workgroup_id_y 0
		.amdhsa_system_sgpr_workgroup_id_z 0
		.amdhsa_system_sgpr_workgroup_info 0
		.amdhsa_system_vgpr_workitem_id 0
		.amdhsa_next_free_vgpr 12
		.amdhsa_next_free_sgpr 24
		.amdhsa_reserve_vcc 1
		.amdhsa_float_round_mode_32 0
		.amdhsa_float_round_mode_16_64 0
		.amdhsa_float_denorm_mode_32 3
		.amdhsa_float_denorm_mode_16_64 3
		.amdhsa_dx10_clamp 1
		.amdhsa_ieee_mode 1
		.amdhsa_fp16_overflow 0
		.amdhsa_workgroup_processor_mode 1
		.amdhsa_memory_ordered 1
		.amdhsa_forward_progress 0
		.amdhsa_shared_vgpr_count 0
		.amdhsa_exception_fp_ieee_invalid_op 0
		.amdhsa_exception_fp_denorm_src 0
		.amdhsa_exception_fp_ieee_div_zero 0
		.amdhsa_exception_fp_ieee_overflow 0
		.amdhsa_exception_fp_ieee_underflow 0
		.amdhsa_exception_fp_ieee_inexact 0
		.amdhsa_exception_int_div_zero 0
	.end_amdhsa_kernel
	.section	.text._ZN9rocsparseL20bsrxmvn_17_32_kernelILj18EfliDF16_DF16_fEEvT2_20rocsparse_direction_NS_24const_host_device_scalarIT0_EES1_PKS1_PKT1_SA_S7_PKT3_PKT4_S5_PT5_21rocsparse_index_base_b,"axG",@progbits,_ZN9rocsparseL20bsrxmvn_17_32_kernelILj18EfliDF16_DF16_fEEvT2_20rocsparse_direction_NS_24const_host_device_scalarIT0_EES1_PKS1_PKT1_SA_S7_PKT3_PKT4_S5_PT5_21rocsparse_index_base_b,comdat
.Lfunc_end305:
	.size	_ZN9rocsparseL20bsrxmvn_17_32_kernelILj18EfliDF16_DF16_fEEvT2_20rocsparse_direction_NS_24const_host_device_scalarIT0_EES1_PKS1_PKT1_SA_S7_PKT3_PKT4_S5_PT5_21rocsparse_index_base_b, .Lfunc_end305-_ZN9rocsparseL20bsrxmvn_17_32_kernelILj18EfliDF16_DF16_fEEvT2_20rocsparse_direction_NS_24const_host_device_scalarIT0_EES1_PKS1_PKT1_SA_S7_PKT3_PKT4_S5_PT5_21rocsparse_index_base_b
                                        ; -- End function
	.section	.AMDGPU.csdata,"",@progbits
; Kernel info:
; codeLenInByte = 1624
; NumSgprs: 26
; NumVgprs: 12
; ScratchSize: 0
; MemoryBound: 0
; FloatMode: 240
; IeeeMode: 1
; LDSByteSize: 1296 bytes/workgroup (compile time only)
; SGPRBlocks: 3
; VGPRBlocks: 1
; NumSGPRsForWavesPerEU: 26
; NumVGPRsForWavesPerEU: 12
; Occupancy: 14
; WaveLimiterHint : 1
; COMPUTE_PGM_RSRC2:SCRATCH_EN: 0
; COMPUTE_PGM_RSRC2:USER_SGPR: 15
; COMPUTE_PGM_RSRC2:TRAP_HANDLER: 0
; COMPUTE_PGM_RSRC2:TGID_X_EN: 1
; COMPUTE_PGM_RSRC2:TGID_Y_EN: 0
; COMPUTE_PGM_RSRC2:TGID_Z_EN: 0
; COMPUTE_PGM_RSRC2:TIDIG_COMP_CNT: 0
	.section	.text._ZN9rocsparseL20bsrxmvn_17_32_kernelILj19EfliDF16_DF16_fEEvT2_20rocsparse_direction_NS_24const_host_device_scalarIT0_EES1_PKS1_PKT1_SA_S7_PKT3_PKT4_S5_PT5_21rocsparse_index_base_b,"axG",@progbits,_ZN9rocsparseL20bsrxmvn_17_32_kernelILj19EfliDF16_DF16_fEEvT2_20rocsparse_direction_NS_24const_host_device_scalarIT0_EES1_PKS1_PKT1_SA_S7_PKT3_PKT4_S5_PT5_21rocsparse_index_base_b,comdat
	.globl	_ZN9rocsparseL20bsrxmvn_17_32_kernelILj19EfliDF16_DF16_fEEvT2_20rocsparse_direction_NS_24const_host_device_scalarIT0_EES1_PKS1_PKT1_SA_S7_PKT3_PKT4_S5_PT5_21rocsparse_index_base_b ; -- Begin function _ZN9rocsparseL20bsrxmvn_17_32_kernelILj19EfliDF16_DF16_fEEvT2_20rocsparse_direction_NS_24const_host_device_scalarIT0_EES1_PKS1_PKT1_SA_S7_PKT3_PKT4_S5_PT5_21rocsparse_index_base_b
	.p2align	8
	.type	_ZN9rocsparseL20bsrxmvn_17_32_kernelILj19EfliDF16_DF16_fEEvT2_20rocsparse_direction_NS_24const_host_device_scalarIT0_EES1_PKS1_PKT1_SA_S7_PKT3_PKT4_S5_PT5_21rocsparse_index_base_b,@function
_ZN9rocsparseL20bsrxmvn_17_32_kernelILj19EfliDF16_DF16_fEEvT2_20rocsparse_direction_NS_24const_host_device_scalarIT0_EES1_PKS1_PKT1_SA_S7_PKT3_PKT4_S5_PT5_21rocsparse_index_base_b: ; @_ZN9rocsparseL20bsrxmvn_17_32_kernelILj19EfliDF16_DF16_fEEvT2_20rocsparse_direction_NS_24const_host_device_scalarIT0_EES1_PKS1_PKT1_SA_S7_PKT3_PKT4_S5_PT5_21rocsparse_index_base_b
; %bb.0:
	s_clause 0x2
	s_load_b64 s[16:17], s[0:1], 0x58
	s_load_b64 s[12:13], s[0:1], 0x8
	;; [unrolled: 1-line block ×3, first 2 shown]
	s_mov_b32 s10, s15
	s_waitcnt lgkmcnt(0)
	s_bitcmp1_b32 s17, 0
	s_cselect_b32 s2, -1, 0
	s_delay_alu instid0(SALU_CYCLE_1)
	s_and_b32 vcc_lo, exec_lo, s2
	s_xor_b32 s2, s2, -1
	s_cbranch_vccnz .LBB306_2
; %bb.1:
	s_load_b32 s12, s[12:13], 0x0
.LBB306_2:
	s_and_not1_b32 vcc_lo, exec_lo, s2
	s_cbranch_vccnz .LBB306_4
; %bb.3:
	s_load_b32 s8, s[8:9], 0x0
.LBB306_4:
	s_waitcnt lgkmcnt(0)
	v_cmp_neq_f32_e64 s2, s12, 0
	v_cmp_neq_f32_e64 s3, s8, 1.0
	s_delay_alu instid0(VALU_DEP_1) | instskip(NEXT) | instid1(SALU_CYCLE_1)
	s_or_b32 s2, s2, s3
	s_and_not1_b32 vcc_lo, exec_lo, s2
	s_cbranch_vccnz .LBB306_42
; %bb.5:
	s_clause 0x1
	s_load_b128 s[4:7], s[0:1], 0x18
	s_load_b64 s[14:15], s[0:1], 0x28
	s_waitcnt lgkmcnt(0)
	s_cmp_eq_u64 s[4:5], 0
	s_cbranch_scc1 .LBB306_7
; %bb.6:
	s_ashr_i32 s11, s10, 31
	s_delay_alu instid0(SALU_CYCLE_1) | instskip(NEXT) | instid1(SALU_CYCLE_1)
	s_lshl_b64 s[2:3], s[10:11], 2
	s_add_u32 s2, s4, s2
	s_addc_u32 s3, s5, s3
	s_load_b32 s2, s[2:3], 0x0
	s_waitcnt lgkmcnt(0)
	s_sub_i32 s10, s2, s16
.LBB306_7:
	s_load_b32 s3, s[0:1], 0x4
	v_mul_u32_u24_e32 v1, 0xd7a, v0
	v_mov_b32_e32 v6, 0
	s_delay_alu instid0(VALU_DEP_2) | instskip(NEXT) | instid1(VALU_DEP_1)
	v_lshrrev_b32_e32 v1, 16, v1
	v_mul_lo_u16 v2, v1, 19
	s_delay_alu instid0(VALU_DEP_1)
	v_sub_nc_u16 v7, v0, v2
	s_waitcnt lgkmcnt(0)
	s_cmp_eq_u32 s3, 1
	s_cselect_b32 s2, -1, 0
	s_cmp_lg_u32 s3, 1
	s_cselect_b32 s3, -1, 0
	s_ashr_i32 s11, s10, 31
	s_delay_alu instid0(SALU_CYCLE_1) | instskip(NEXT) | instid1(SALU_CYCLE_1)
	s_lshl_b64 s[4:5], s[10:11], 3
	s_add_u32 s6, s6, s4
	s_addc_u32 s7, s7, s5
	s_add_u32 s9, s6, 8
	s_addc_u32 s11, s7, 0
	;; [unrolled: 2-line block ×3, first 2 shown]
	s_cmp_eq_u64 s[14:15], 0
	s_load_b64 s[14:15], s[0:1], 0x50
	s_cselect_b32 s5, s11, s5
	s_cselect_b32 s4, s9, s4
	s_load_b64 s[22:23], s[6:7], 0x0
	s_load_b64 s[18:19], s[4:5], 0x0
	s_waitcnt lgkmcnt(0)
	v_cmp_ge_i64_e64 s4, s[22:23], s[18:19]
	s_delay_alu instid0(VALU_DEP_1)
	s_and_b32 vcc_lo, exec_lo, s4
	s_cbranch_vccnz .LBB306_12
; %bb.8:
	v_mul_lo_u16 v2, v1, 14
	v_dual_mov_b32 v6, 0 :: v_dual_and_b32 v3, 0xffff, v0
	s_sub_u32 s18, s18, s16
	s_subb_u32 s19, s19, 0
	s_delay_alu instid0(VALU_DEP_2) | instskip(NEXT) | instid1(VALU_DEP_2)
	v_lshrrev_b16 v2, 8, v2
	v_mul_u32_u24_e32 v3, 0xb6, v3
	s_sub_u32 s20, s22, s16
	s_subb_u32 s21, s23, 0
	s_clause 0x1
	s_load_b128 s[4:7], s[0:1], 0x30
	s_load_b64 s[0:1], s[0:1], 0x40
	v_mul_lo_u16 v2, v2, 19
	v_lshrrev_b32_e32 v8, 16, v3
	s_mul_hi_u32 s9, s20, 0x2d2
	s_mul_i32 s11, s21, 0x2d2
	v_and_b32_e32 v4, 0xffff, v7
	v_sub_nc_u16 v1, v1, v2
	s_add_i32 s9, s9, s11
	v_add_co_u32 v2, s11, s22, v8
	s_delay_alu instid0(VALU_DEP_1) | instskip(NEXT) | instid1(VALU_DEP_3)
	v_add_co_ci_u32_e64 v3, null, s23, 0, s11
	v_and_b32_e32 v1, 0xff, v1
	s_delay_alu instid0(VALU_DEP_3) | instskip(NEXT) | instid1(VALU_DEP_3)
	v_sub_co_u32 v2, vcc_lo, v2, s16
	v_subrev_co_ci_u32_e32 v3, vcc_lo, 0, v3, vcc_lo
	s_delay_alu instid0(VALU_DEP_3) | instskip(SKIP_2) | instid1(VALU_DEP_3)
	v_cndmask_b32_e64 v1, v4, v1, s2
	v_lshlrev_b32_e32 v9, 1, v0
	s_mul_i32 s13, s20, 0x2d2
	v_lshlrev_b64 v[4:5], 2, v[2:3]
	s_waitcnt lgkmcnt(0)
	s_add_u32 s2, s6, s13
	s_addc_u32 s6, s7, s9
	v_add_co_u32 v2, s2, s2, v9
	s_delay_alu instid0(VALU_DEP_1)
	v_add_co_ci_u32_e64 v3, null, s6, 0, s2
	v_add_co_u32 v4, vcc_lo, s4, v4
	v_add_co_ci_u32_e32 v5, vcc_lo, s5, v5, vcc_lo
	s_set_inst_prefetch_distance 0x1
	s_branch .LBB306_10
	.p2align	6
.LBB306_9:                              ;   in Loop: Header=BB306_10 Depth=1
	s_or_b32 exec_lo, exec_lo, s2
	s_add_u32 s20, s20, 1
	s_addc_u32 s21, s21, 0
	v_add_co_u32 v4, vcc_lo, v4, 4
	v_cmp_lt_i64_e64 s2, s[20:21], s[18:19]
	v_add_co_ci_u32_e32 v5, vcc_lo, 0, v5, vcc_lo
	s_delay_alu instid0(VALU_DEP_2)
	s_and_b32 vcc_lo, exec_lo, s2
	s_cbranch_vccz .LBB306_12
.LBB306_10:                             ; =>This Inner Loop Header: Depth=1
	v_add_co_u32 v9, s2, v8, s20
	s_delay_alu instid0(VALU_DEP_1) | instskip(SKIP_1) | instid1(VALU_DEP_1)
	v_add_co_ci_u32_e64 v10, null, 0, s21, s2
	s_mov_b32 s2, exec_lo
	v_cmpx_gt_i64_e64 s[18:19], v[9:10]
	s_cbranch_execz .LBB306_9
; %bb.11:                               ;   in Loop: Header=BB306_10 Depth=1
	global_load_b32 v9, v[4:5], off
	s_waitcnt vmcnt(0)
	v_subrev_nc_u32_e32 v11, s16, v9
	s_delay_alu instid0(VALU_DEP_1) | instskip(NEXT) | instid1(VALU_DEP_1)
	v_mad_u64_u32 v[9:10], null, v11, 19, v[1:2]
	v_ashrrev_i32_e32 v10, 31, v9
	s_delay_alu instid0(VALU_DEP_1) | instskip(NEXT) | instid1(VALU_DEP_1)
	v_lshlrev_b64 v[9:10], 1, v[9:10]
	v_add_co_u32 v9, vcc_lo, s0, v9
	s_delay_alu instid0(VALU_DEP_2)
	v_add_co_ci_u32_e32 v10, vcc_lo, s1, v10, vcc_lo
	global_load_u16 v11, v[2:3], off
	global_load_u16 v9, v[9:10], off
	v_add_co_u32 v2, vcc_lo, 0x2d2, v2
	v_add_co_ci_u32_e32 v3, vcc_lo, 0, v3, vcc_lo
	s_waitcnt vmcnt(0)
	v_fma_mix_f32 v6, v11, v9, v6 op_sel_hi:[1,1,0]
	s_branch .LBB306_9
.LBB306_12:
	s_set_inst_prefetch_distance 0x2
	v_lshlrev_b32_e32 v1, 2, v0
	s_and_b32 vcc_lo, exec_lo, s3
	ds_store_b32 v1, v6
	s_waitcnt lgkmcnt(0)
	s_barrier
	buffer_gl0_inv
	s_cbranch_vccz .LBB306_24
; %bb.13:
	s_mov_b32 s0, exec_lo
	v_cmpx_gt_u16_e32 3, v7
	s_cbranch_execz .LBB306_15
; %bb.14:
	ds_load_2addr_b32 v[2:3], v1 offset1:16
	s_waitcnt lgkmcnt(0)
	v_add_f32_e32 v2, v3, v2
	ds_store_b32 v1, v2
.LBB306_15:
	s_or_b32 exec_lo, exec_lo, s0
	s_delay_alu instid0(SALU_CYCLE_1)
	s_mov_b32 s0, exec_lo
	s_waitcnt lgkmcnt(0)
	s_barrier
	buffer_gl0_inv
	v_cmpx_gt_u16_e32 8, v7
	s_cbranch_execz .LBB306_17
; %bb.16:
	ds_load_2addr_b32 v[2:3], v1 offset1:8
	s_waitcnt lgkmcnt(0)
	v_add_f32_e32 v2, v3, v2
	ds_store_b32 v1, v2
.LBB306_17:
	s_or_b32 exec_lo, exec_lo, s0
	s_delay_alu instid0(SALU_CYCLE_1)
	s_mov_b32 s0, exec_lo
	s_waitcnt lgkmcnt(0)
	s_barrier
	buffer_gl0_inv
	;; [unrolled: 14-line block ×3, first 2 shown]
	v_cmpx_gt_u16_e32 2, v7
	s_cbranch_execz .LBB306_21
; %bb.20:
	ds_load_2addr_b32 v[2:3], v1 offset1:2
	s_waitcnt lgkmcnt(0)
	v_add_f32_e32 v2, v3, v2
	ds_store_b32 v1, v2
.LBB306_21:
	s_or_b32 exec_lo, exec_lo, s0
	s_mov_b32 s1, 0
	s_mov_b32 s0, 0
	s_mov_b32 s2, exec_lo
	s_waitcnt lgkmcnt(0)
	s_barrier
	buffer_gl0_inv
                                        ; implicit-def: $vgpr2
                                        ; implicit-def: $vgpr3
	v_cmpx_gt_u32_e32 19, v0
	s_xor_b32 s2, exec_lo, s2
; %bb.22:
	v_mad_u32_u24 v2, v0, 19, 1
	v_mad_u32_u24 v3, 0x48, v0, v1
	s_mov_b32 s0, exec_lo
; %bb.23:
	s_or_b32 exec_lo, exec_lo, s2
	s_delay_alu instid0(SALU_CYCLE_1)
	s_and_b32 vcc_lo, exec_lo, s1
	s_cbranch_vccnz .LBB306_25
	s_branch .LBB306_36
.LBB306_24:
	s_mov_b32 s0, 0
                                        ; implicit-def: $vgpr2
                                        ; implicit-def: $vgpr3
	s_cbranch_execz .LBB306_36
.LBB306_25:
	s_mov_b32 s1, exec_lo
	v_cmpx_gt_u32_e32 57, v0
	s_cbranch_execz .LBB306_27
; %bb.26:
	ds_load_b32 v2, v1 offset:1216
	ds_load_b32 v3, v1
	s_waitcnt lgkmcnt(0)
	v_add_f32_e32 v2, v2, v3
	ds_store_b32 v1, v2
.LBB306_27:
	s_or_b32 exec_lo, exec_lo, s1
	s_delay_alu instid0(SALU_CYCLE_1)
	s_mov_b32 s1, exec_lo
	s_waitcnt lgkmcnt(0)
	s_barrier
	buffer_gl0_inv
	v_cmpx_gt_u32_e32 0x98, v0
	s_cbranch_execz .LBB306_29
; %bb.28:
	ds_load_2addr_b32 v[2:3], v1 offset1:152
	s_waitcnt lgkmcnt(0)
	v_add_f32_e32 v2, v3, v2
	ds_store_b32 v1, v2
.LBB306_29:
	s_or_b32 exec_lo, exec_lo, s1
	s_delay_alu instid0(SALU_CYCLE_1)
	s_mov_b32 s1, exec_lo
	s_waitcnt lgkmcnt(0)
	s_barrier
	buffer_gl0_inv
	v_cmpx_gt_u32_e32 0x4c, v0
	s_cbranch_execz .LBB306_31
; %bb.30:
	ds_load_2addr_b32 v[2:3], v1 offset1:76
	s_waitcnt lgkmcnt(0)
	v_add_f32_e32 v2, v3, v2
	ds_store_b32 v1, v2
.LBB306_31:
	s_or_b32 exec_lo, exec_lo, s1
	s_delay_alu instid0(SALU_CYCLE_1)
	s_mov_b32 s1, exec_lo
	s_waitcnt lgkmcnt(0)
	s_barrier
	buffer_gl0_inv
	v_cmpx_gt_u32_e32 38, v0
	s_cbranch_execz .LBB306_33
; %bb.32:
	ds_load_2addr_b32 v[2:3], v1 offset1:38
	s_waitcnt lgkmcnt(0)
	v_add_f32_e32 v2, v3, v2
	ds_store_b32 v1, v2
.LBB306_33:
	s_or_b32 exec_lo, exec_lo, s1
	s_delay_alu instid0(SALU_CYCLE_1)
	s_mov_b32 s1, exec_lo
	s_waitcnt lgkmcnt(0)
	buffer_gl0_inv
                                        ; implicit-def: $vgpr2
	v_cmpx_gt_u32_e32 19, v0
; %bb.34:
	v_add_nc_u32_e32 v2, 19, v0
	s_or_b32 s0, s0, exec_lo
                                        ; implicit-def: $vgpr6
; %bb.35:
	s_or_b32 exec_lo, exec_lo, s1
	v_mov_b32_e32 v3, v1
.LBB306_36:
	s_and_saveexec_b32 s1, s0
	s_cbranch_execz .LBB306_38
; %bb.37:
	v_lshlrev_b32_e32 v1, 2, v2
	ds_load_b32 v2, v3
	ds_load_b32 v1, v1
	s_waitcnt lgkmcnt(0)
	v_add_f32_e32 v6, v2, v1
.LBB306_38:
	s_or_b32 exec_lo, exec_lo, s1
	s_delay_alu instid0(SALU_CYCLE_1)
	s_mov_b32 s0, exec_lo
	v_cmpx_gt_u32_e32 19, v0
	s_cbranch_execz .LBB306_42
; %bb.39:
	v_cmp_eq_f32_e64 s0, s8, 0
	v_mul_f32_e32 v1, s12, v6
	s_delay_alu instid0(VALU_DEP_2)
	s_and_b32 vcc_lo, exec_lo, s0
	s_mov_b32 s0, 0
	s_cbranch_vccz .LBB306_43
; %bb.40:
	s_delay_alu instid0(VALU_DEP_1) | instskip(SKIP_1) | instid1(VALU_DEP_1)
	v_mad_u64_u32 v[2:3], null, s10, 19, v[0:1]
	v_mov_b32_e32 v3, 0
	v_lshlrev_b64 v[2:3], 2, v[2:3]
	s_delay_alu instid0(VALU_DEP_1) | instskip(NEXT) | instid1(VALU_DEP_2)
	v_add_co_u32 v2, vcc_lo, s14, v2
	v_add_co_ci_u32_e32 v3, vcc_lo, s15, v3, vcc_lo
	global_store_b32 v[2:3], v1, off
	s_and_not1_b32 vcc_lo, exec_lo, s0
	s_cbranch_vccnz .LBB306_42
.LBB306_41:
	v_mad_u64_u32 v[2:3], null, s10, 19, v[0:1]
	v_mov_b32_e32 v3, 0
	s_delay_alu instid0(VALU_DEP_1) | instskip(NEXT) | instid1(VALU_DEP_1)
	v_lshlrev_b64 v[2:3], 2, v[2:3]
	v_add_co_u32 v2, vcc_lo, s14, v2
	s_delay_alu instid0(VALU_DEP_2)
	v_add_co_ci_u32_e32 v3, vcc_lo, s15, v3, vcc_lo
	global_load_b32 v0, v[2:3], off
	s_waitcnt vmcnt(0)
	v_fmac_f32_e32 v1, s8, v0
	global_store_b32 v[2:3], v1, off
.LBB306_42:
	s_nop 0
	s_sendmsg sendmsg(MSG_DEALLOC_VGPRS)
	s_endpgm
.LBB306_43:
	s_branch .LBB306_41
	.section	.rodata,"a",@progbits
	.p2align	6, 0x0
	.amdhsa_kernel _ZN9rocsparseL20bsrxmvn_17_32_kernelILj19EfliDF16_DF16_fEEvT2_20rocsparse_direction_NS_24const_host_device_scalarIT0_EES1_PKS1_PKT1_SA_S7_PKT3_PKT4_S5_PT5_21rocsparse_index_base_b
		.amdhsa_group_segment_fixed_size 1444
		.amdhsa_private_segment_fixed_size 0
		.amdhsa_kernarg_size 96
		.amdhsa_user_sgpr_count 15
		.amdhsa_user_sgpr_dispatch_ptr 0
		.amdhsa_user_sgpr_queue_ptr 0
		.amdhsa_user_sgpr_kernarg_segment_ptr 1
		.amdhsa_user_sgpr_dispatch_id 0
		.amdhsa_user_sgpr_private_segment_size 0
		.amdhsa_wavefront_size32 1
		.amdhsa_uses_dynamic_stack 0
		.amdhsa_enable_private_segment 0
		.amdhsa_system_sgpr_workgroup_id_x 1
		.amdhsa_system_sgpr_workgroup_id_y 0
		.amdhsa_system_sgpr_workgroup_id_z 0
		.amdhsa_system_sgpr_workgroup_info 0
		.amdhsa_system_vgpr_workitem_id 0
		.amdhsa_next_free_vgpr 12
		.amdhsa_next_free_sgpr 24
		.amdhsa_reserve_vcc 1
		.amdhsa_float_round_mode_32 0
		.amdhsa_float_round_mode_16_64 0
		.amdhsa_float_denorm_mode_32 3
		.amdhsa_float_denorm_mode_16_64 3
		.amdhsa_dx10_clamp 1
		.amdhsa_ieee_mode 1
		.amdhsa_fp16_overflow 0
		.amdhsa_workgroup_processor_mode 1
		.amdhsa_memory_ordered 1
		.amdhsa_forward_progress 0
		.amdhsa_shared_vgpr_count 0
		.amdhsa_exception_fp_ieee_invalid_op 0
		.amdhsa_exception_fp_denorm_src 0
		.amdhsa_exception_fp_ieee_div_zero 0
		.amdhsa_exception_fp_ieee_overflow 0
		.amdhsa_exception_fp_ieee_underflow 0
		.amdhsa_exception_fp_ieee_inexact 0
		.amdhsa_exception_int_div_zero 0
	.end_amdhsa_kernel
	.section	.text._ZN9rocsparseL20bsrxmvn_17_32_kernelILj19EfliDF16_DF16_fEEvT2_20rocsparse_direction_NS_24const_host_device_scalarIT0_EES1_PKS1_PKT1_SA_S7_PKT3_PKT4_S5_PT5_21rocsparse_index_base_b,"axG",@progbits,_ZN9rocsparseL20bsrxmvn_17_32_kernelILj19EfliDF16_DF16_fEEvT2_20rocsparse_direction_NS_24const_host_device_scalarIT0_EES1_PKS1_PKT1_SA_S7_PKT3_PKT4_S5_PT5_21rocsparse_index_base_b,comdat
.Lfunc_end306:
	.size	_ZN9rocsparseL20bsrxmvn_17_32_kernelILj19EfliDF16_DF16_fEEvT2_20rocsparse_direction_NS_24const_host_device_scalarIT0_EES1_PKS1_PKT1_SA_S7_PKT3_PKT4_S5_PT5_21rocsparse_index_base_b, .Lfunc_end306-_ZN9rocsparseL20bsrxmvn_17_32_kernelILj19EfliDF16_DF16_fEEvT2_20rocsparse_direction_NS_24const_host_device_scalarIT0_EES1_PKS1_PKT1_SA_S7_PKT3_PKT4_S5_PT5_21rocsparse_index_base_b
                                        ; -- End function
	.section	.AMDGPU.csdata,"",@progbits
; Kernel info:
; codeLenInByte = 1636
; NumSgprs: 26
; NumVgprs: 12
; ScratchSize: 0
; MemoryBound: 0
; FloatMode: 240
; IeeeMode: 1
; LDSByteSize: 1444 bytes/workgroup (compile time only)
; SGPRBlocks: 3
; VGPRBlocks: 1
; NumSGPRsForWavesPerEU: 26
; NumVGPRsForWavesPerEU: 12
; Occupancy: 15
; WaveLimiterHint : 1
; COMPUTE_PGM_RSRC2:SCRATCH_EN: 0
; COMPUTE_PGM_RSRC2:USER_SGPR: 15
; COMPUTE_PGM_RSRC2:TRAP_HANDLER: 0
; COMPUTE_PGM_RSRC2:TGID_X_EN: 1
; COMPUTE_PGM_RSRC2:TGID_Y_EN: 0
; COMPUTE_PGM_RSRC2:TGID_Z_EN: 0
; COMPUTE_PGM_RSRC2:TIDIG_COMP_CNT: 0
	.section	.text._ZN9rocsparseL20bsrxmvn_17_32_kernelILj20EfliDF16_DF16_fEEvT2_20rocsparse_direction_NS_24const_host_device_scalarIT0_EES1_PKS1_PKT1_SA_S7_PKT3_PKT4_S5_PT5_21rocsparse_index_base_b,"axG",@progbits,_ZN9rocsparseL20bsrxmvn_17_32_kernelILj20EfliDF16_DF16_fEEvT2_20rocsparse_direction_NS_24const_host_device_scalarIT0_EES1_PKS1_PKT1_SA_S7_PKT3_PKT4_S5_PT5_21rocsparse_index_base_b,comdat
	.globl	_ZN9rocsparseL20bsrxmvn_17_32_kernelILj20EfliDF16_DF16_fEEvT2_20rocsparse_direction_NS_24const_host_device_scalarIT0_EES1_PKS1_PKT1_SA_S7_PKT3_PKT4_S5_PT5_21rocsparse_index_base_b ; -- Begin function _ZN9rocsparseL20bsrxmvn_17_32_kernelILj20EfliDF16_DF16_fEEvT2_20rocsparse_direction_NS_24const_host_device_scalarIT0_EES1_PKS1_PKT1_SA_S7_PKT3_PKT4_S5_PT5_21rocsparse_index_base_b
	.p2align	8
	.type	_ZN9rocsparseL20bsrxmvn_17_32_kernelILj20EfliDF16_DF16_fEEvT2_20rocsparse_direction_NS_24const_host_device_scalarIT0_EES1_PKS1_PKT1_SA_S7_PKT3_PKT4_S5_PT5_21rocsparse_index_base_b,@function
_ZN9rocsparseL20bsrxmvn_17_32_kernelILj20EfliDF16_DF16_fEEvT2_20rocsparse_direction_NS_24const_host_device_scalarIT0_EES1_PKS1_PKT1_SA_S7_PKT3_PKT4_S5_PT5_21rocsparse_index_base_b: ; @_ZN9rocsparseL20bsrxmvn_17_32_kernelILj20EfliDF16_DF16_fEEvT2_20rocsparse_direction_NS_24const_host_device_scalarIT0_EES1_PKS1_PKT1_SA_S7_PKT3_PKT4_S5_PT5_21rocsparse_index_base_b
; %bb.0:
	s_clause 0x2
	s_load_b64 s[16:17], s[0:1], 0x58
	s_load_b64 s[12:13], s[0:1], 0x8
	;; [unrolled: 1-line block ×3, first 2 shown]
	s_mov_b32 s10, s15
	s_waitcnt lgkmcnt(0)
	s_bitcmp1_b32 s17, 0
	s_cselect_b32 s2, -1, 0
	s_delay_alu instid0(SALU_CYCLE_1)
	s_and_b32 vcc_lo, exec_lo, s2
	s_xor_b32 s2, s2, -1
	s_cbranch_vccnz .LBB307_2
; %bb.1:
	s_load_b32 s12, s[12:13], 0x0
.LBB307_2:
	s_and_not1_b32 vcc_lo, exec_lo, s2
	s_cbranch_vccnz .LBB307_4
; %bb.3:
	s_load_b32 s8, s[8:9], 0x0
.LBB307_4:
	s_waitcnt lgkmcnt(0)
	v_cmp_neq_f32_e64 s2, s12, 0
	v_cmp_neq_f32_e64 s3, s8, 1.0
	s_delay_alu instid0(VALU_DEP_1) | instskip(NEXT) | instid1(SALU_CYCLE_1)
	s_or_b32 s2, s2, s3
	s_and_not1_b32 vcc_lo, exec_lo, s2
	s_cbranch_vccnz .LBB307_42
; %bb.5:
	s_clause 0x1
	s_load_b128 s[4:7], s[0:1], 0x18
	s_load_b64 s[14:15], s[0:1], 0x28
	s_waitcnt lgkmcnt(0)
	s_cmp_eq_u64 s[4:5], 0
	s_cbranch_scc1 .LBB307_7
; %bb.6:
	s_ashr_i32 s11, s10, 31
	s_delay_alu instid0(SALU_CYCLE_1) | instskip(NEXT) | instid1(SALU_CYCLE_1)
	s_lshl_b64 s[2:3], s[10:11], 2
	s_add_u32 s2, s4, s2
	s_addc_u32 s3, s5, s3
	s_load_b32 s2, s[2:3], 0x0
	s_waitcnt lgkmcnt(0)
	s_sub_i32 s10, s2, s16
.LBB307_7:
	s_load_b32 s3, s[0:1], 0x4
	v_mul_u32_u24_e32 v1, 0xccd, v0
	v_mov_b32_e32 v6, 0
	s_delay_alu instid0(VALU_DEP_2) | instskip(NEXT) | instid1(VALU_DEP_1)
	v_lshrrev_b32_e32 v1, 16, v1
	v_mul_lo_u16 v2, v1, 20
	s_delay_alu instid0(VALU_DEP_1)
	v_sub_nc_u16 v7, v0, v2
	s_waitcnt lgkmcnt(0)
	s_cmp_eq_u32 s3, 1
	s_cselect_b32 s2, -1, 0
	s_cmp_lg_u32 s3, 1
	s_cselect_b32 s3, -1, 0
	s_ashr_i32 s11, s10, 31
	s_delay_alu instid0(SALU_CYCLE_1) | instskip(NEXT) | instid1(SALU_CYCLE_1)
	s_lshl_b64 s[4:5], s[10:11], 3
	s_add_u32 s6, s6, s4
	s_addc_u32 s7, s7, s5
	s_add_u32 s9, s6, 8
	s_addc_u32 s11, s7, 0
	;; [unrolled: 2-line block ×3, first 2 shown]
	s_cmp_eq_u64 s[14:15], 0
	s_load_b64 s[14:15], s[0:1], 0x50
	s_cselect_b32 s5, s11, s5
	s_cselect_b32 s4, s9, s4
	s_load_b64 s[22:23], s[6:7], 0x0
	s_load_b64 s[18:19], s[4:5], 0x0
	s_waitcnt lgkmcnt(0)
	v_cmp_ge_i64_e64 s4, s[22:23], s[18:19]
	s_delay_alu instid0(VALU_DEP_1)
	s_and_b32 vcc_lo, exec_lo, s4
	s_cbranch_vccnz .LBB307_12
; %bb.8:
	v_mul_lo_u16 v2, v1, 13
	v_dual_mov_b32 v6, 0 :: v_dual_and_b32 v3, 0xffff, v0
	s_sub_u32 s18, s18, s16
	s_subb_u32 s19, s19, 0
	s_delay_alu instid0(VALU_DEP_2) | instskip(NEXT) | instid1(VALU_DEP_2)
	v_lshrrev_b16 v2, 8, v2
	v_mul_u32_u24_e32 v3, 0xa4, v3
	s_sub_u32 s20, s22, s16
	s_subb_u32 s21, s23, 0
	s_clause 0x1
	s_load_b128 s[4:7], s[0:1], 0x30
	s_load_b64 s[0:1], s[0:1], 0x40
	v_mul_lo_u16 v2, v2, 20
	v_lshrrev_b32_e32 v8, 16, v3
	s_mul_hi_u32 s9, s20, 0x320
	s_mul_i32 s11, s21, 0x320
	v_and_b32_e32 v4, 0xffff, v7
	v_sub_nc_u16 v1, v1, v2
	s_add_i32 s9, s9, s11
	v_add_co_u32 v2, s11, s22, v8
	s_delay_alu instid0(VALU_DEP_1) | instskip(NEXT) | instid1(VALU_DEP_3)
	v_add_co_ci_u32_e64 v3, null, s23, 0, s11
	v_and_b32_e32 v1, 0xff, v1
	s_delay_alu instid0(VALU_DEP_3) | instskip(NEXT) | instid1(VALU_DEP_3)
	v_sub_co_u32 v2, vcc_lo, v2, s16
	v_subrev_co_ci_u32_e32 v3, vcc_lo, 0, v3, vcc_lo
	s_delay_alu instid0(VALU_DEP_3) | instskip(SKIP_2) | instid1(VALU_DEP_3)
	v_cndmask_b32_e64 v1, v4, v1, s2
	v_lshlrev_b32_e32 v9, 1, v0
	s_mul_i32 s13, s20, 0x320
	v_lshlrev_b64 v[4:5], 2, v[2:3]
	s_waitcnt lgkmcnt(0)
	s_add_u32 s2, s6, s13
	s_addc_u32 s6, s7, s9
	v_add_co_u32 v2, s2, s2, v9
	s_delay_alu instid0(VALU_DEP_1)
	v_add_co_ci_u32_e64 v3, null, s6, 0, s2
	v_add_co_u32 v4, vcc_lo, s4, v4
	v_add_co_ci_u32_e32 v5, vcc_lo, s5, v5, vcc_lo
	s_set_inst_prefetch_distance 0x1
	s_branch .LBB307_10
	.p2align	6
.LBB307_9:                              ;   in Loop: Header=BB307_10 Depth=1
	s_or_b32 exec_lo, exec_lo, s2
	s_add_u32 s20, s20, 1
	s_addc_u32 s21, s21, 0
	v_add_co_u32 v4, vcc_lo, v4, 4
	v_cmp_lt_i64_e64 s2, s[20:21], s[18:19]
	v_add_co_ci_u32_e32 v5, vcc_lo, 0, v5, vcc_lo
	s_delay_alu instid0(VALU_DEP_2)
	s_and_b32 vcc_lo, exec_lo, s2
	s_cbranch_vccz .LBB307_12
.LBB307_10:                             ; =>This Inner Loop Header: Depth=1
	v_add_co_u32 v9, s2, v8, s20
	s_delay_alu instid0(VALU_DEP_1) | instskip(SKIP_1) | instid1(VALU_DEP_1)
	v_add_co_ci_u32_e64 v10, null, 0, s21, s2
	s_mov_b32 s2, exec_lo
	v_cmpx_gt_i64_e64 s[18:19], v[9:10]
	s_cbranch_execz .LBB307_9
; %bb.11:                               ;   in Loop: Header=BB307_10 Depth=1
	global_load_b32 v9, v[4:5], off
	s_waitcnt vmcnt(0)
	v_subrev_nc_u32_e32 v11, s16, v9
	s_delay_alu instid0(VALU_DEP_1) | instskip(NEXT) | instid1(VALU_DEP_1)
	v_mad_u64_u32 v[9:10], null, v11, 20, v[1:2]
	v_ashrrev_i32_e32 v10, 31, v9
	s_delay_alu instid0(VALU_DEP_1) | instskip(NEXT) | instid1(VALU_DEP_1)
	v_lshlrev_b64 v[9:10], 1, v[9:10]
	v_add_co_u32 v9, vcc_lo, s0, v9
	s_delay_alu instid0(VALU_DEP_2)
	v_add_co_ci_u32_e32 v10, vcc_lo, s1, v10, vcc_lo
	global_load_u16 v11, v[2:3], off
	global_load_u16 v9, v[9:10], off
	v_add_co_u32 v2, vcc_lo, 0x320, v2
	v_add_co_ci_u32_e32 v3, vcc_lo, 0, v3, vcc_lo
	s_waitcnt vmcnt(0)
	v_fma_mix_f32 v6, v11, v9, v6 op_sel_hi:[1,1,0]
	s_branch .LBB307_9
.LBB307_12:
	s_set_inst_prefetch_distance 0x2
	v_lshlrev_b32_e32 v1, 2, v0
	s_and_b32 vcc_lo, exec_lo, s3
	ds_store_b32 v1, v6
	s_waitcnt lgkmcnt(0)
	s_barrier
	buffer_gl0_inv
	s_cbranch_vccz .LBB307_24
; %bb.13:
	v_cmp_gt_u16_e32 vcc_lo, 4, v7
	s_and_saveexec_b32 s0, vcc_lo
	s_cbranch_execz .LBB307_15
; %bb.14:
	ds_load_2addr_b32 v[2:3], v1 offset1:16
	s_waitcnt lgkmcnt(0)
	v_add_f32_e32 v2, v3, v2
	ds_store_b32 v1, v2
.LBB307_15:
	s_or_b32 exec_lo, exec_lo, s0
	s_delay_alu instid0(SALU_CYCLE_1)
	s_mov_b32 s1, exec_lo
	s_waitcnt lgkmcnt(0)
	s_barrier
	buffer_gl0_inv
	v_cmpx_gt_u16_e32 8, v7
	s_cbranch_execz .LBB307_17
; %bb.16:
	ds_load_2addr_b32 v[2:3], v1 offset1:8
	s_waitcnt lgkmcnt(0)
	v_add_f32_e32 v2, v3, v2
	ds_store_b32 v1, v2
.LBB307_17:
	s_or_b32 exec_lo, exec_lo, s1
	s_waitcnt lgkmcnt(0)
	s_barrier
	buffer_gl0_inv
	s_and_saveexec_b32 s0, vcc_lo
	s_cbranch_execz .LBB307_19
; %bb.18:
	ds_load_2addr_b32 v[2:3], v1 offset1:4
	s_waitcnt lgkmcnt(0)
	v_add_f32_e32 v2, v3, v2
	ds_store_b32 v1, v2
.LBB307_19:
	s_or_b32 exec_lo, exec_lo, s0
	s_delay_alu instid0(SALU_CYCLE_1)
	s_mov_b32 s0, exec_lo
	s_waitcnt lgkmcnt(0)
	s_barrier
	buffer_gl0_inv
	v_cmpx_gt_u16_e32 2, v7
	s_cbranch_execz .LBB307_21
; %bb.20:
	ds_load_2addr_b32 v[2:3], v1 offset1:2
	s_waitcnt lgkmcnt(0)
	v_add_f32_e32 v2, v3, v2
	ds_store_b32 v1, v2
.LBB307_21:
	s_or_b32 exec_lo, exec_lo, s0
	s_mov_b32 s0, 0
	s_mov_b32 s1, 0
	s_mov_b32 s2, exec_lo
	s_waitcnt lgkmcnt(0)
	s_barrier
	buffer_gl0_inv
                                        ; implicit-def: $vgpr2
                                        ; implicit-def: $vgpr3
	v_cmpx_gt_u32_e32 20, v0
	s_xor_b32 s2, exec_lo, s2
; %bb.22:
	v_mul_u32_u24_e32 v2, 20, v0
	v_mad_u32_u24 v3, 0x4c, v0, v1
	s_mov_b32 s1, exec_lo
	s_delay_alu instid0(VALU_DEP_2)
	v_or_b32_e32 v2, 1, v2
; %bb.23:
	s_or_b32 exec_lo, exec_lo, s2
	s_delay_alu instid0(SALU_CYCLE_1)
	s_and_b32 vcc_lo, exec_lo, s0
	s_cbranch_vccnz .LBB307_25
	s_branch .LBB307_36
.LBB307_24:
	s_mov_b32 s1, 0
                                        ; implicit-def: $vgpr2
                                        ; implicit-def: $vgpr3
	s_cbranch_execz .LBB307_36
.LBB307_25:
	v_cmp_gt_u32_e32 vcc_lo, 0x50, v0
	s_and_saveexec_b32 s0, vcc_lo
	s_cbranch_execz .LBB307_27
; %bb.26:
	ds_load_2addr_stride64_b32 v[2:3], v1 offset1:5
	s_waitcnt lgkmcnt(0)
	v_add_f32_e32 v2, v3, v2
	ds_store_b32 v1, v2
.LBB307_27:
	s_or_b32 exec_lo, exec_lo, s0
	s_delay_alu instid0(SALU_CYCLE_1)
	s_mov_b32 s2, exec_lo
	s_waitcnt lgkmcnt(0)
	s_barrier
	buffer_gl0_inv
	v_cmpx_gt_u32_e32 0xa0, v0
	s_cbranch_execz .LBB307_29
; %bb.28:
	ds_load_2addr_b32 v[2:3], v1 offset1:160
	s_waitcnt lgkmcnt(0)
	v_add_f32_e32 v2, v3, v2
	ds_store_b32 v1, v2
.LBB307_29:
	s_or_b32 exec_lo, exec_lo, s2
	s_waitcnt lgkmcnt(0)
	s_barrier
	buffer_gl0_inv
	s_and_saveexec_b32 s0, vcc_lo
	s_cbranch_execz .LBB307_31
; %bb.30:
	ds_load_2addr_b32 v[2:3], v1 offset1:80
	s_waitcnt lgkmcnt(0)
	v_add_f32_e32 v2, v3, v2
	ds_store_b32 v1, v2
.LBB307_31:
	s_or_b32 exec_lo, exec_lo, s0
	s_delay_alu instid0(SALU_CYCLE_1)
	s_mov_b32 s0, exec_lo
	s_waitcnt lgkmcnt(0)
	s_barrier
	buffer_gl0_inv
	v_cmpx_gt_u32_e32 40, v0
	s_cbranch_execz .LBB307_33
; %bb.32:
	ds_load_2addr_b32 v[2:3], v1 offset1:40
	s_waitcnt lgkmcnt(0)
	v_add_f32_e32 v2, v3, v2
	ds_store_b32 v1, v2
.LBB307_33:
	s_or_b32 exec_lo, exec_lo, s0
	s_delay_alu instid0(SALU_CYCLE_1)
	s_mov_b32 s0, exec_lo
	s_waitcnt lgkmcnt(0)
	buffer_gl0_inv
                                        ; implicit-def: $vgpr2
	v_cmpx_gt_u32_e32 20, v0
; %bb.34:
	v_add_nc_u32_e32 v2, 20, v0
	s_or_b32 s1, s1, exec_lo
                                        ; implicit-def: $vgpr6
; %bb.35:
	s_or_b32 exec_lo, exec_lo, s0
	v_mov_b32_e32 v3, v1
.LBB307_36:
	s_and_saveexec_b32 s0, s1
	s_cbranch_execz .LBB307_38
; %bb.37:
	v_lshlrev_b32_e32 v1, 2, v2
	ds_load_b32 v2, v3
	ds_load_b32 v1, v1
	s_waitcnt lgkmcnt(0)
	v_add_f32_e32 v6, v2, v1
.LBB307_38:
	s_or_b32 exec_lo, exec_lo, s0
	s_delay_alu instid0(SALU_CYCLE_1)
	s_mov_b32 s0, exec_lo
	v_cmpx_gt_u32_e32 20, v0
	s_cbranch_execz .LBB307_42
; %bb.39:
	v_cmp_eq_f32_e64 s0, s8, 0
	v_mul_f32_e32 v1, s12, v6
	s_delay_alu instid0(VALU_DEP_2)
	s_and_b32 vcc_lo, exec_lo, s0
	s_mov_b32 s0, 0
	s_cbranch_vccz .LBB307_43
; %bb.40:
	s_delay_alu instid0(VALU_DEP_1) | instskip(SKIP_1) | instid1(VALU_DEP_1)
	v_mad_u64_u32 v[2:3], null, s10, 20, v[0:1]
	v_mov_b32_e32 v3, 0
	v_lshlrev_b64 v[2:3], 2, v[2:3]
	s_delay_alu instid0(VALU_DEP_1) | instskip(NEXT) | instid1(VALU_DEP_2)
	v_add_co_u32 v2, vcc_lo, s14, v2
	v_add_co_ci_u32_e32 v3, vcc_lo, s15, v3, vcc_lo
	global_store_b32 v[2:3], v1, off
	s_and_not1_b32 vcc_lo, exec_lo, s0
	s_cbranch_vccnz .LBB307_42
.LBB307_41:
	v_mad_u64_u32 v[2:3], null, s10, 20, v[0:1]
	v_mov_b32_e32 v3, 0
	s_delay_alu instid0(VALU_DEP_1) | instskip(NEXT) | instid1(VALU_DEP_1)
	v_lshlrev_b64 v[2:3], 2, v[2:3]
	v_add_co_u32 v2, vcc_lo, s14, v2
	s_delay_alu instid0(VALU_DEP_2)
	v_add_co_ci_u32_e32 v3, vcc_lo, s15, v3, vcc_lo
	global_load_b32 v0, v[2:3], off
	s_waitcnt vmcnt(0)
	v_fmac_f32_e32 v1, s8, v0
	global_store_b32 v[2:3], v1, off
.LBB307_42:
	s_nop 0
	s_sendmsg sendmsg(MSG_DEALLOC_VGPRS)
	s_endpgm
.LBB307_43:
	s_branch .LBB307_41
	.section	.rodata,"a",@progbits
	.p2align	6, 0x0
	.amdhsa_kernel _ZN9rocsparseL20bsrxmvn_17_32_kernelILj20EfliDF16_DF16_fEEvT2_20rocsparse_direction_NS_24const_host_device_scalarIT0_EES1_PKS1_PKT1_SA_S7_PKT3_PKT4_S5_PT5_21rocsparse_index_base_b
		.amdhsa_group_segment_fixed_size 1600
		.amdhsa_private_segment_fixed_size 0
		.amdhsa_kernarg_size 96
		.amdhsa_user_sgpr_count 15
		.amdhsa_user_sgpr_dispatch_ptr 0
		.amdhsa_user_sgpr_queue_ptr 0
		.amdhsa_user_sgpr_kernarg_segment_ptr 1
		.amdhsa_user_sgpr_dispatch_id 0
		.amdhsa_user_sgpr_private_segment_size 0
		.amdhsa_wavefront_size32 1
		.amdhsa_uses_dynamic_stack 0
		.amdhsa_enable_private_segment 0
		.amdhsa_system_sgpr_workgroup_id_x 1
		.amdhsa_system_sgpr_workgroup_id_y 0
		.amdhsa_system_sgpr_workgroup_id_z 0
		.amdhsa_system_sgpr_workgroup_info 0
		.amdhsa_system_vgpr_workitem_id 0
		.amdhsa_next_free_vgpr 12
		.amdhsa_next_free_sgpr 24
		.amdhsa_reserve_vcc 1
		.amdhsa_float_round_mode_32 0
		.amdhsa_float_round_mode_16_64 0
		.amdhsa_float_denorm_mode_32 3
		.amdhsa_float_denorm_mode_16_64 3
		.amdhsa_dx10_clamp 1
		.amdhsa_ieee_mode 1
		.amdhsa_fp16_overflow 0
		.amdhsa_workgroup_processor_mode 1
		.amdhsa_memory_ordered 1
		.amdhsa_forward_progress 0
		.amdhsa_shared_vgpr_count 0
		.amdhsa_exception_fp_ieee_invalid_op 0
		.amdhsa_exception_fp_denorm_src 0
		.amdhsa_exception_fp_ieee_div_zero 0
		.amdhsa_exception_fp_ieee_overflow 0
		.amdhsa_exception_fp_ieee_underflow 0
		.amdhsa_exception_fp_ieee_inexact 0
		.amdhsa_exception_int_div_zero 0
	.end_amdhsa_kernel
	.section	.text._ZN9rocsparseL20bsrxmvn_17_32_kernelILj20EfliDF16_DF16_fEEvT2_20rocsparse_direction_NS_24const_host_device_scalarIT0_EES1_PKS1_PKT1_SA_S7_PKT3_PKT4_S5_PT5_21rocsparse_index_base_b,"axG",@progbits,_ZN9rocsparseL20bsrxmvn_17_32_kernelILj20EfliDF16_DF16_fEEvT2_20rocsparse_direction_NS_24const_host_device_scalarIT0_EES1_PKS1_PKT1_SA_S7_PKT3_PKT4_S5_PT5_21rocsparse_index_base_b,comdat
.Lfunc_end307:
	.size	_ZN9rocsparseL20bsrxmvn_17_32_kernelILj20EfliDF16_DF16_fEEvT2_20rocsparse_direction_NS_24const_host_device_scalarIT0_EES1_PKS1_PKT1_SA_S7_PKT3_PKT4_S5_PT5_21rocsparse_index_base_b, .Lfunc_end307-_ZN9rocsparseL20bsrxmvn_17_32_kernelILj20EfliDF16_DF16_fEEvT2_20rocsparse_direction_NS_24const_host_device_scalarIT0_EES1_PKS1_PKT1_SA_S7_PKT3_PKT4_S5_PT5_21rocsparse_index_base_b
                                        ; -- End function
	.section	.AMDGPU.csdata,"",@progbits
; Kernel info:
; codeLenInByte = 1616
; NumSgprs: 26
; NumVgprs: 12
; ScratchSize: 0
; MemoryBound: 0
; FloatMode: 240
; IeeeMode: 1
; LDSByteSize: 1600 bytes/workgroup (compile time only)
; SGPRBlocks: 3
; VGPRBlocks: 1
; NumSGPRsForWavesPerEU: 26
; NumVGPRsForWavesPerEU: 12
; Occupancy: 13
; WaveLimiterHint : 1
; COMPUTE_PGM_RSRC2:SCRATCH_EN: 0
; COMPUTE_PGM_RSRC2:USER_SGPR: 15
; COMPUTE_PGM_RSRC2:TRAP_HANDLER: 0
; COMPUTE_PGM_RSRC2:TGID_X_EN: 1
; COMPUTE_PGM_RSRC2:TGID_Y_EN: 0
; COMPUTE_PGM_RSRC2:TGID_Z_EN: 0
; COMPUTE_PGM_RSRC2:TIDIG_COMP_CNT: 0
	.section	.text._ZN9rocsparseL20bsrxmvn_17_32_kernelILj21EfliDF16_DF16_fEEvT2_20rocsparse_direction_NS_24const_host_device_scalarIT0_EES1_PKS1_PKT1_SA_S7_PKT3_PKT4_S5_PT5_21rocsparse_index_base_b,"axG",@progbits,_ZN9rocsparseL20bsrxmvn_17_32_kernelILj21EfliDF16_DF16_fEEvT2_20rocsparse_direction_NS_24const_host_device_scalarIT0_EES1_PKS1_PKT1_SA_S7_PKT3_PKT4_S5_PT5_21rocsparse_index_base_b,comdat
	.globl	_ZN9rocsparseL20bsrxmvn_17_32_kernelILj21EfliDF16_DF16_fEEvT2_20rocsparse_direction_NS_24const_host_device_scalarIT0_EES1_PKS1_PKT1_SA_S7_PKT3_PKT4_S5_PT5_21rocsparse_index_base_b ; -- Begin function _ZN9rocsparseL20bsrxmvn_17_32_kernelILj21EfliDF16_DF16_fEEvT2_20rocsparse_direction_NS_24const_host_device_scalarIT0_EES1_PKS1_PKT1_SA_S7_PKT3_PKT4_S5_PT5_21rocsparse_index_base_b
	.p2align	8
	.type	_ZN9rocsparseL20bsrxmvn_17_32_kernelILj21EfliDF16_DF16_fEEvT2_20rocsparse_direction_NS_24const_host_device_scalarIT0_EES1_PKS1_PKT1_SA_S7_PKT3_PKT4_S5_PT5_21rocsparse_index_base_b,@function
_ZN9rocsparseL20bsrxmvn_17_32_kernelILj21EfliDF16_DF16_fEEvT2_20rocsparse_direction_NS_24const_host_device_scalarIT0_EES1_PKS1_PKT1_SA_S7_PKT3_PKT4_S5_PT5_21rocsparse_index_base_b: ; @_ZN9rocsparseL20bsrxmvn_17_32_kernelILj21EfliDF16_DF16_fEEvT2_20rocsparse_direction_NS_24const_host_device_scalarIT0_EES1_PKS1_PKT1_SA_S7_PKT3_PKT4_S5_PT5_21rocsparse_index_base_b
; %bb.0:
	s_clause 0x2
	s_load_b64 s[16:17], s[0:1], 0x58
	s_load_b64 s[12:13], s[0:1], 0x8
	;; [unrolled: 1-line block ×3, first 2 shown]
	s_mov_b32 s10, s15
	s_waitcnt lgkmcnt(0)
	s_bitcmp1_b32 s17, 0
	s_cselect_b32 s2, -1, 0
	s_delay_alu instid0(SALU_CYCLE_1)
	s_and_b32 vcc_lo, exec_lo, s2
	s_xor_b32 s2, s2, -1
	s_cbranch_vccnz .LBB308_2
; %bb.1:
	s_load_b32 s12, s[12:13], 0x0
.LBB308_2:
	s_and_not1_b32 vcc_lo, exec_lo, s2
	s_cbranch_vccnz .LBB308_4
; %bb.3:
	s_load_b32 s8, s[8:9], 0x0
.LBB308_4:
	s_waitcnt lgkmcnt(0)
	v_cmp_neq_f32_e64 s2, s12, 0
	v_cmp_neq_f32_e64 s3, s8, 1.0
	s_delay_alu instid0(VALU_DEP_1) | instskip(NEXT) | instid1(SALU_CYCLE_1)
	s_or_b32 s2, s2, s3
	s_and_not1_b32 vcc_lo, exec_lo, s2
	s_cbranch_vccnz .LBB308_42
; %bb.5:
	s_clause 0x1
	s_load_b128 s[4:7], s[0:1], 0x18
	s_load_b64 s[14:15], s[0:1], 0x28
	s_waitcnt lgkmcnt(0)
	s_cmp_eq_u64 s[4:5], 0
	s_cbranch_scc1 .LBB308_7
; %bb.6:
	s_ashr_i32 s11, s10, 31
	s_delay_alu instid0(SALU_CYCLE_1) | instskip(NEXT) | instid1(SALU_CYCLE_1)
	s_lshl_b64 s[2:3], s[10:11], 2
	s_add_u32 s2, s4, s2
	s_addc_u32 s3, s5, s3
	s_load_b32 s2, s[2:3], 0x0
	s_waitcnt lgkmcnt(0)
	s_sub_i32 s10, s2, s16
.LBB308_7:
	s_load_b32 s3, s[0:1], 0x4
	v_mul_u32_u24_e32 v1, 0xc31, v0
	v_mov_b32_e32 v6, 0
	s_delay_alu instid0(VALU_DEP_2) | instskip(NEXT) | instid1(VALU_DEP_1)
	v_lshrrev_b32_e32 v1, 16, v1
	v_mul_lo_u16 v2, v1, 21
	s_delay_alu instid0(VALU_DEP_1)
	v_sub_nc_u16 v7, v0, v2
	s_waitcnt lgkmcnt(0)
	s_cmp_eq_u32 s3, 1
	s_cselect_b32 s2, -1, 0
	s_cmp_lg_u32 s3, 1
	s_cselect_b32 s3, -1, 0
	s_ashr_i32 s11, s10, 31
	s_delay_alu instid0(SALU_CYCLE_1) | instskip(NEXT) | instid1(SALU_CYCLE_1)
	s_lshl_b64 s[4:5], s[10:11], 3
	s_add_u32 s6, s6, s4
	s_addc_u32 s7, s7, s5
	s_add_u32 s9, s6, 8
	s_addc_u32 s11, s7, 0
	;; [unrolled: 2-line block ×3, first 2 shown]
	s_cmp_eq_u64 s[14:15], 0
	s_load_b64 s[14:15], s[0:1], 0x50
	s_cselect_b32 s5, s11, s5
	s_cselect_b32 s4, s9, s4
	s_load_b64 s[22:23], s[6:7], 0x0
	s_load_b64 s[18:19], s[4:5], 0x0
	s_waitcnt lgkmcnt(0)
	v_cmp_ge_i64_e64 s4, s[22:23], s[18:19]
	s_delay_alu instid0(VALU_DEP_1)
	s_and_b32 vcc_lo, exec_lo, s4
	s_cbranch_vccnz .LBB308_12
; %bb.8:
	v_mul_lo_u16 v2, v1, 25
	v_dual_mov_b32 v6, 0 :: v_dual_and_b32 v3, 0xffff, v0
	s_sub_u32 s18, s18, s16
	s_subb_u32 s19, s19, 0
	s_delay_alu instid0(VALU_DEP_2) | instskip(NEXT) | instid1(VALU_DEP_2)
	v_lshrrev_b16 v2, 9, v2
	v_mul_u32_u24_e32 v3, 0x253, v3
	s_sub_u32 s20, s22, s16
	s_subb_u32 s21, s23, 0
	s_clause 0x1
	s_load_b128 s[4:7], s[0:1], 0x30
	s_load_b64 s[0:1], s[0:1], 0x40
	v_mul_lo_u16 v2, v2, 21
	v_lshrrev_b32_e32 v8, 18, v3
	s_mul_hi_u32 s9, s20, 0x372
	s_mul_i32 s11, s21, 0x372
	v_and_b32_e32 v4, 0xffff, v7
	v_sub_nc_u16 v1, v1, v2
	s_add_i32 s9, s9, s11
	v_add_co_u32 v2, s11, s22, v8
	s_delay_alu instid0(VALU_DEP_1) | instskip(NEXT) | instid1(VALU_DEP_3)
	v_add_co_ci_u32_e64 v3, null, s23, 0, s11
	v_and_b32_e32 v1, 0xff, v1
	s_delay_alu instid0(VALU_DEP_3) | instskip(NEXT) | instid1(VALU_DEP_3)
	v_sub_co_u32 v2, vcc_lo, v2, s16
	v_subrev_co_ci_u32_e32 v3, vcc_lo, 0, v3, vcc_lo
	s_delay_alu instid0(VALU_DEP_3) | instskip(SKIP_2) | instid1(VALU_DEP_3)
	v_cndmask_b32_e64 v1, v4, v1, s2
	v_lshlrev_b32_e32 v9, 1, v0
	s_mul_i32 s13, s20, 0x372
	v_lshlrev_b64 v[4:5], 2, v[2:3]
	s_waitcnt lgkmcnt(0)
	s_add_u32 s2, s6, s13
	s_addc_u32 s6, s7, s9
	v_add_co_u32 v2, s2, s2, v9
	s_delay_alu instid0(VALU_DEP_1)
	v_add_co_ci_u32_e64 v3, null, s6, 0, s2
	v_add_co_u32 v4, vcc_lo, s4, v4
	v_add_co_ci_u32_e32 v5, vcc_lo, s5, v5, vcc_lo
	s_set_inst_prefetch_distance 0x1
	s_branch .LBB308_10
	.p2align	6
.LBB308_9:                              ;   in Loop: Header=BB308_10 Depth=1
	s_or_b32 exec_lo, exec_lo, s2
	s_add_u32 s20, s20, 1
	s_addc_u32 s21, s21, 0
	v_add_co_u32 v4, vcc_lo, v4, 4
	v_cmp_lt_i64_e64 s2, s[20:21], s[18:19]
	v_add_co_ci_u32_e32 v5, vcc_lo, 0, v5, vcc_lo
	s_delay_alu instid0(VALU_DEP_2)
	s_and_b32 vcc_lo, exec_lo, s2
	s_cbranch_vccz .LBB308_12
.LBB308_10:                             ; =>This Inner Loop Header: Depth=1
	v_add_co_u32 v9, s2, v8, s20
	s_delay_alu instid0(VALU_DEP_1) | instskip(SKIP_1) | instid1(VALU_DEP_1)
	v_add_co_ci_u32_e64 v10, null, 0, s21, s2
	s_mov_b32 s2, exec_lo
	v_cmpx_gt_i64_e64 s[18:19], v[9:10]
	s_cbranch_execz .LBB308_9
; %bb.11:                               ;   in Loop: Header=BB308_10 Depth=1
	global_load_b32 v9, v[4:5], off
	s_waitcnt vmcnt(0)
	v_subrev_nc_u32_e32 v11, s16, v9
	s_delay_alu instid0(VALU_DEP_1) | instskip(NEXT) | instid1(VALU_DEP_1)
	v_mad_u64_u32 v[9:10], null, v11, 21, v[1:2]
	v_ashrrev_i32_e32 v10, 31, v9
	s_delay_alu instid0(VALU_DEP_1) | instskip(NEXT) | instid1(VALU_DEP_1)
	v_lshlrev_b64 v[9:10], 1, v[9:10]
	v_add_co_u32 v9, vcc_lo, s0, v9
	s_delay_alu instid0(VALU_DEP_2)
	v_add_co_ci_u32_e32 v10, vcc_lo, s1, v10, vcc_lo
	global_load_u16 v11, v[2:3], off
	global_load_u16 v9, v[9:10], off
	v_add_co_u32 v2, vcc_lo, 0x372, v2
	v_add_co_ci_u32_e32 v3, vcc_lo, 0, v3, vcc_lo
	s_waitcnt vmcnt(0)
	v_fma_mix_f32 v6, v11, v9, v6 op_sel_hi:[1,1,0]
	s_branch .LBB308_9
.LBB308_12:
	s_set_inst_prefetch_distance 0x2
	v_lshlrev_b32_e32 v1, 2, v0
	s_and_b32 vcc_lo, exec_lo, s3
	ds_store_b32 v1, v6
	s_waitcnt lgkmcnt(0)
	s_barrier
	buffer_gl0_inv
	s_cbranch_vccz .LBB308_24
; %bb.13:
	s_mov_b32 s0, exec_lo
	v_cmpx_gt_u16_e32 5, v7
	s_cbranch_execz .LBB308_15
; %bb.14:
	ds_load_2addr_b32 v[2:3], v1 offset1:16
	s_waitcnt lgkmcnt(0)
	v_add_f32_e32 v2, v3, v2
	ds_store_b32 v1, v2
.LBB308_15:
	s_or_b32 exec_lo, exec_lo, s0
	s_delay_alu instid0(SALU_CYCLE_1)
	s_mov_b32 s0, exec_lo
	s_waitcnt lgkmcnt(0)
	s_barrier
	buffer_gl0_inv
	v_cmpx_gt_u16_e32 8, v7
	s_cbranch_execz .LBB308_17
; %bb.16:
	ds_load_2addr_b32 v[2:3], v1 offset1:8
	s_waitcnt lgkmcnt(0)
	v_add_f32_e32 v2, v3, v2
	ds_store_b32 v1, v2
.LBB308_17:
	s_or_b32 exec_lo, exec_lo, s0
	s_delay_alu instid0(SALU_CYCLE_1)
	s_mov_b32 s0, exec_lo
	s_waitcnt lgkmcnt(0)
	s_barrier
	buffer_gl0_inv
	;; [unrolled: 14-line block ×3, first 2 shown]
	v_cmpx_gt_u16_e32 2, v7
	s_cbranch_execz .LBB308_21
; %bb.20:
	ds_load_2addr_b32 v[2:3], v1 offset1:2
	s_waitcnt lgkmcnt(0)
	v_add_f32_e32 v2, v3, v2
	ds_store_b32 v1, v2
.LBB308_21:
	s_or_b32 exec_lo, exec_lo, s0
	s_mov_b32 s1, 0
	s_mov_b32 s0, 0
	s_mov_b32 s2, exec_lo
	s_waitcnt lgkmcnt(0)
	s_barrier
	buffer_gl0_inv
                                        ; implicit-def: $vgpr2
                                        ; implicit-def: $vgpr3
	v_cmpx_gt_u32_e32 21, v0
	s_xor_b32 s2, exec_lo, s2
; %bb.22:
	v_mad_u32_u24 v2, v0, 21, 1
	v_mad_u32_u24 v3, 0x50, v0, v1
	s_mov_b32 s0, exec_lo
; %bb.23:
	s_or_b32 exec_lo, exec_lo, s2
	s_delay_alu instid0(SALU_CYCLE_1)
	s_and_b32 vcc_lo, exec_lo, s1
	s_cbranch_vccnz .LBB308_25
	s_branch .LBB308_36
.LBB308_24:
	s_mov_b32 s0, 0
                                        ; implicit-def: $vgpr2
                                        ; implicit-def: $vgpr3
	s_cbranch_execz .LBB308_36
.LBB308_25:
	s_mov_b32 s1, exec_lo
	v_cmpx_gt_u32_e32 0x69, v0
	s_cbranch_execz .LBB308_27
; %bb.26:
	ds_load_b32 v2, v1 offset:1344
	ds_load_b32 v3, v1
	s_waitcnt lgkmcnt(0)
	v_add_f32_e32 v2, v2, v3
	ds_store_b32 v1, v2
.LBB308_27:
	s_or_b32 exec_lo, exec_lo, s1
	s_delay_alu instid0(SALU_CYCLE_1)
	s_mov_b32 s1, exec_lo
	s_waitcnt lgkmcnt(0)
	s_barrier
	buffer_gl0_inv
	v_cmpx_gt_u32_e32 0xa8, v0
	s_cbranch_execz .LBB308_29
; %bb.28:
	ds_load_2addr_b32 v[2:3], v1 offset1:168
	s_waitcnt lgkmcnt(0)
	v_add_f32_e32 v2, v3, v2
	ds_store_b32 v1, v2
.LBB308_29:
	s_or_b32 exec_lo, exec_lo, s1
	s_delay_alu instid0(SALU_CYCLE_1)
	s_mov_b32 s1, exec_lo
	s_waitcnt lgkmcnt(0)
	s_barrier
	buffer_gl0_inv
	v_cmpx_gt_u32_e32 0x54, v0
	s_cbranch_execz .LBB308_31
; %bb.30:
	ds_load_2addr_b32 v[2:3], v1 offset1:84
	s_waitcnt lgkmcnt(0)
	v_add_f32_e32 v2, v3, v2
	ds_store_b32 v1, v2
.LBB308_31:
	;; [unrolled: 14-line block ×3, first 2 shown]
	s_or_b32 exec_lo, exec_lo, s1
	s_delay_alu instid0(SALU_CYCLE_1)
	s_mov_b32 s1, exec_lo
	s_waitcnt lgkmcnt(0)
	buffer_gl0_inv
                                        ; implicit-def: $vgpr2
	v_cmpx_gt_u32_e32 21, v0
; %bb.34:
	v_add_nc_u32_e32 v2, 21, v0
	s_or_b32 s0, s0, exec_lo
                                        ; implicit-def: $vgpr6
; %bb.35:
	s_or_b32 exec_lo, exec_lo, s1
	v_mov_b32_e32 v3, v1
.LBB308_36:
	s_and_saveexec_b32 s1, s0
	s_cbranch_execz .LBB308_38
; %bb.37:
	v_lshlrev_b32_e32 v1, 2, v2
	ds_load_b32 v2, v3
	ds_load_b32 v1, v1
	s_waitcnt lgkmcnt(0)
	v_add_f32_e32 v6, v2, v1
.LBB308_38:
	s_or_b32 exec_lo, exec_lo, s1
	s_delay_alu instid0(SALU_CYCLE_1)
	s_mov_b32 s0, exec_lo
	v_cmpx_gt_u32_e32 21, v0
	s_cbranch_execz .LBB308_42
; %bb.39:
	v_cmp_eq_f32_e64 s0, s8, 0
	v_mul_f32_e32 v1, s12, v6
	s_delay_alu instid0(VALU_DEP_2)
	s_and_b32 vcc_lo, exec_lo, s0
	s_mov_b32 s0, 0
	s_cbranch_vccz .LBB308_43
; %bb.40:
	s_delay_alu instid0(VALU_DEP_1) | instskip(SKIP_1) | instid1(VALU_DEP_1)
	v_mad_u64_u32 v[2:3], null, s10, 21, v[0:1]
	v_mov_b32_e32 v3, 0
	v_lshlrev_b64 v[2:3], 2, v[2:3]
	s_delay_alu instid0(VALU_DEP_1) | instskip(NEXT) | instid1(VALU_DEP_2)
	v_add_co_u32 v2, vcc_lo, s14, v2
	v_add_co_ci_u32_e32 v3, vcc_lo, s15, v3, vcc_lo
	global_store_b32 v[2:3], v1, off
	s_and_not1_b32 vcc_lo, exec_lo, s0
	s_cbranch_vccnz .LBB308_42
.LBB308_41:
	v_mad_u64_u32 v[2:3], null, s10, 21, v[0:1]
	v_mov_b32_e32 v3, 0
	s_delay_alu instid0(VALU_DEP_1) | instskip(NEXT) | instid1(VALU_DEP_1)
	v_lshlrev_b64 v[2:3], 2, v[2:3]
	v_add_co_u32 v2, vcc_lo, s14, v2
	s_delay_alu instid0(VALU_DEP_2)
	v_add_co_ci_u32_e32 v3, vcc_lo, s15, v3, vcc_lo
	global_load_b32 v0, v[2:3], off
	s_waitcnt vmcnt(0)
	v_fmac_f32_e32 v1, s8, v0
	global_store_b32 v[2:3], v1, off
.LBB308_42:
	s_nop 0
	s_sendmsg sendmsg(MSG_DEALLOC_VGPRS)
	s_endpgm
.LBB308_43:
	s_branch .LBB308_41
	.section	.rodata,"a",@progbits
	.p2align	6, 0x0
	.amdhsa_kernel _ZN9rocsparseL20bsrxmvn_17_32_kernelILj21EfliDF16_DF16_fEEvT2_20rocsparse_direction_NS_24const_host_device_scalarIT0_EES1_PKS1_PKT1_SA_S7_PKT3_PKT4_S5_PT5_21rocsparse_index_base_b
		.amdhsa_group_segment_fixed_size 1764
		.amdhsa_private_segment_fixed_size 0
		.amdhsa_kernarg_size 96
		.amdhsa_user_sgpr_count 15
		.amdhsa_user_sgpr_dispatch_ptr 0
		.amdhsa_user_sgpr_queue_ptr 0
		.amdhsa_user_sgpr_kernarg_segment_ptr 1
		.amdhsa_user_sgpr_dispatch_id 0
		.amdhsa_user_sgpr_private_segment_size 0
		.amdhsa_wavefront_size32 1
		.amdhsa_uses_dynamic_stack 0
		.amdhsa_enable_private_segment 0
		.amdhsa_system_sgpr_workgroup_id_x 1
		.amdhsa_system_sgpr_workgroup_id_y 0
		.amdhsa_system_sgpr_workgroup_id_z 0
		.amdhsa_system_sgpr_workgroup_info 0
		.amdhsa_system_vgpr_workitem_id 0
		.amdhsa_next_free_vgpr 12
		.amdhsa_next_free_sgpr 24
		.amdhsa_reserve_vcc 1
		.amdhsa_float_round_mode_32 0
		.amdhsa_float_round_mode_16_64 0
		.amdhsa_float_denorm_mode_32 3
		.amdhsa_float_denorm_mode_16_64 3
		.amdhsa_dx10_clamp 1
		.amdhsa_ieee_mode 1
		.amdhsa_fp16_overflow 0
		.amdhsa_workgroup_processor_mode 1
		.amdhsa_memory_ordered 1
		.amdhsa_forward_progress 0
		.amdhsa_shared_vgpr_count 0
		.amdhsa_exception_fp_ieee_invalid_op 0
		.amdhsa_exception_fp_denorm_src 0
		.amdhsa_exception_fp_ieee_div_zero 0
		.amdhsa_exception_fp_ieee_overflow 0
		.amdhsa_exception_fp_ieee_underflow 0
		.amdhsa_exception_fp_ieee_inexact 0
		.amdhsa_exception_int_div_zero 0
	.end_amdhsa_kernel
	.section	.text._ZN9rocsparseL20bsrxmvn_17_32_kernelILj21EfliDF16_DF16_fEEvT2_20rocsparse_direction_NS_24const_host_device_scalarIT0_EES1_PKS1_PKT1_SA_S7_PKT3_PKT4_S5_PT5_21rocsparse_index_base_b,"axG",@progbits,_ZN9rocsparseL20bsrxmvn_17_32_kernelILj21EfliDF16_DF16_fEEvT2_20rocsparse_direction_NS_24const_host_device_scalarIT0_EES1_PKS1_PKT1_SA_S7_PKT3_PKT4_S5_PT5_21rocsparse_index_base_b,comdat
.Lfunc_end308:
	.size	_ZN9rocsparseL20bsrxmvn_17_32_kernelILj21EfliDF16_DF16_fEEvT2_20rocsparse_direction_NS_24const_host_device_scalarIT0_EES1_PKS1_PKT1_SA_S7_PKT3_PKT4_S5_PT5_21rocsparse_index_base_b, .Lfunc_end308-_ZN9rocsparseL20bsrxmvn_17_32_kernelILj21EfliDF16_DF16_fEEvT2_20rocsparse_direction_NS_24const_host_device_scalarIT0_EES1_PKS1_PKT1_SA_S7_PKT3_PKT4_S5_PT5_21rocsparse_index_base_b
                                        ; -- End function
	.section	.AMDGPU.csdata,"",@progbits
; Kernel info:
; codeLenInByte = 1640
; NumSgprs: 26
; NumVgprs: 12
; ScratchSize: 0
; MemoryBound: 0
; FloatMode: 240
; IeeeMode: 1
; LDSByteSize: 1764 bytes/workgroup (compile time only)
; SGPRBlocks: 3
; VGPRBlocks: 1
; NumSGPRsForWavesPerEU: 26
; NumVGPRsForWavesPerEU: 12
; Occupancy: 14
; WaveLimiterHint : 1
; COMPUTE_PGM_RSRC2:SCRATCH_EN: 0
; COMPUTE_PGM_RSRC2:USER_SGPR: 15
; COMPUTE_PGM_RSRC2:TRAP_HANDLER: 0
; COMPUTE_PGM_RSRC2:TGID_X_EN: 1
; COMPUTE_PGM_RSRC2:TGID_Y_EN: 0
; COMPUTE_PGM_RSRC2:TGID_Z_EN: 0
; COMPUTE_PGM_RSRC2:TIDIG_COMP_CNT: 0
	.section	.text._ZN9rocsparseL20bsrxmvn_17_32_kernelILj22EfliDF16_DF16_fEEvT2_20rocsparse_direction_NS_24const_host_device_scalarIT0_EES1_PKS1_PKT1_SA_S7_PKT3_PKT4_S5_PT5_21rocsparse_index_base_b,"axG",@progbits,_ZN9rocsparseL20bsrxmvn_17_32_kernelILj22EfliDF16_DF16_fEEvT2_20rocsparse_direction_NS_24const_host_device_scalarIT0_EES1_PKS1_PKT1_SA_S7_PKT3_PKT4_S5_PT5_21rocsparse_index_base_b,comdat
	.globl	_ZN9rocsparseL20bsrxmvn_17_32_kernelILj22EfliDF16_DF16_fEEvT2_20rocsparse_direction_NS_24const_host_device_scalarIT0_EES1_PKS1_PKT1_SA_S7_PKT3_PKT4_S5_PT5_21rocsparse_index_base_b ; -- Begin function _ZN9rocsparseL20bsrxmvn_17_32_kernelILj22EfliDF16_DF16_fEEvT2_20rocsparse_direction_NS_24const_host_device_scalarIT0_EES1_PKS1_PKT1_SA_S7_PKT3_PKT4_S5_PT5_21rocsparse_index_base_b
	.p2align	8
	.type	_ZN9rocsparseL20bsrxmvn_17_32_kernelILj22EfliDF16_DF16_fEEvT2_20rocsparse_direction_NS_24const_host_device_scalarIT0_EES1_PKS1_PKT1_SA_S7_PKT3_PKT4_S5_PT5_21rocsparse_index_base_b,@function
_ZN9rocsparseL20bsrxmvn_17_32_kernelILj22EfliDF16_DF16_fEEvT2_20rocsparse_direction_NS_24const_host_device_scalarIT0_EES1_PKS1_PKT1_SA_S7_PKT3_PKT4_S5_PT5_21rocsparse_index_base_b: ; @_ZN9rocsparseL20bsrxmvn_17_32_kernelILj22EfliDF16_DF16_fEEvT2_20rocsparse_direction_NS_24const_host_device_scalarIT0_EES1_PKS1_PKT1_SA_S7_PKT3_PKT4_S5_PT5_21rocsparse_index_base_b
; %bb.0:
	s_clause 0x2
	s_load_b64 s[16:17], s[0:1], 0x58
	s_load_b64 s[12:13], s[0:1], 0x8
	;; [unrolled: 1-line block ×3, first 2 shown]
	s_mov_b32 s10, s15
	s_waitcnt lgkmcnt(0)
	s_bitcmp1_b32 s17, 0
	s_cselect_b32 s2, -1, 0
	s_delay_alu instid0(SALU_CYCLE_1)
	s_and_b32 vcc_lo, exec_lo, s2
	s_xor_b32 s2, s2, -1
	s_cbranch_vccnz .LBB309_2
; %bb.1:
	s_load_b32 s12, s[12:13], 0x0
.LBB309_2:
	s_and_not1_b32 vcc_lo, exec_lo, s2
	s_cbranch_vccnz .LBB309_4
; %bb.3:
	s_load_b32 s8, s[8:9], 0x0
.LBB309_4:
	s_waitcnt lgkmcnt(0)
	v_cmp_neq_f32_e64 s2, s12, 0
	v_cmp_neq_f32_e64 s3, s8, 1.0
	s_delay_alu instid0(VALU_DEP_1) | instskip(NEXT) | instid1(SALU_CYCLE_1)
	s_or_b32 s2, s2, s3
	s_and_not1_b32 vcc_lo, exec_lo, s2
	s_cbranch_vccnz .LBB309_42
; %bb.5:
	s_clause 0x1
	s_load_b128 s[4:7], s[0:1], 0x18
	s_load_b64 s[14:15], s[0:1], 0x28
	s_waitcnt lgkmcnt(0)
	s_cmp_eq_u64 s[4:5], 0
	s_cbranch_scc1 .LBB309_7
; %bb.6:
	s_ashr_i32 s11, s10, 31
	s_delay_alu instid0(SALU_CYCLE_1) | instskip(NEXT) | instid1(SALU_CYCLE_1)
	s_lshl_b64 s[2:3], s[10:11], 2
	s_add_u32 s2, s4, s2
	s_addc_u32 s3, s5, s3
	s_load_b32 s2, s[2:3], 0x0
	s_waitcnt lgkmcnt(0)
	s_sub_i32 s10, s2, s16
.LBB309_7:
	s_load_b32 s3, s[0:1], 0x4
	v_mul_u32_u24_e32 v1, 0xba3, v0
	v_mov_b32_e32 v6, 0
	s_delay_alu instid0(VALU_DEP_2) | instskip(NEXT) | instid1(VALU_DEP_1)
	v_lshrrev_b32_e32 v1, 16, v1
	v_mul_lo_u16 v2, v1, 22
	s_delay_alu instid0(VALU_DEP_1)
	v_sub_nc_u16 v7, v0, v2
	s_waitcnt lgkmcnt(0)
	s_cmp_eq_u32 s3, 1
	s_cselect_b32 s2, -1, 0
	s_cmp_lg_u32 s3, 1
	s_cselect_b32 s3, -1, 0
	s_ashr_i32 s11, s10, 31
	s_delay_alu instid0(SALU_CYCLE_1) | instskip(NEXT) | instid1(SALU_CYCLE_1)
	s_lshl_b64 s[4:5], s[10:11], 3
	s_add_u32 s6, s6, s4
	s_addc_u32 s7, s7, s5
	s_add_u32 s9, s6, 8
	s_addc_u32 s11, s7, 0
	;; [unrolled: 2-line block ×3, first 2 shown]
	s_cmp_eq_u64 s[14:15], 0
	s_load_b64 s[14:15], s[0:1], 0x50
	s_cselect_b32 s5, s11, s5
	s_cselect_b32 s4, s9, s4
	s_load_b64 s[22:23], s[6:7], 0x0
	s_load_b64 s[18:19], s[4:5], 0x0
	s_waitcnt lgkmcnt(0)
	v_cmp_ge_i64_e64 s4, s[22:23], s[18:19]
	s_delay_alu instid0(VALU_DEP_1)
	s_and_b32 vcc_lo, exec_lo, s4
	s_cbranch_vccnz .LBB309_12
; %bb.8:
	v_mul_lo_u16 v2, v1, 12
	v_dual_mov_b32 v6, 0 :: v_dual_and_b32 v3, 0xffff, v0
	s_sub_u32 s18, s18, s16
	s_subb_u32 s19, s19, 0
	s_delay_alu instid0(VALU_DEP_2) | instskip(NEXT) | instid1(VALU_DEP_2)
	v_lshrrev_b16 v2, 8, v2
	v_mul_u32_u24_e32 v3, 0x10f, v3
	s_sub_u32 s20, s22, s16
	s_subb_u32 s21, s23, 0
	s_clause 0x1
	s_load_b128 s[4:7], s[0:1], 0x30
	s_load_b64 s[0:1], s[0:1], 0x40
	v_mul_lo_u16 v2, v2, 22
	v_lshrrev_b32_e32 v8, 17, v3
	s_mul_hi_u32 s9, s20, 0x3c8
	s_mul_i32 s11, s21, 0x3c8
	v_and_b32_e32 v4, 0xffff, v7
	v_sub_nc_u16 v1, v1, v2
	s_add_i32 s9, s9, s11
	v_add_co_u32 v2, s11, s22, v8
	s_delay_alu instid0(VALU_DEP_1) | instskip(NEXT) | instid1(VALU_DEP_3)
	v_add_co_ci_u32_e64 v3, null, s23, 0, s11
	v_and_b32_e32 v1, 0xff, v1
	s_delay_alu instid0(VALU_DEP_3) | instskip(NEXT) | instid1(VALU_DEP_3)
	v_sub_co_u32 v2, vcc_lo, v2, s16
	v_subrev_co_ci_u32_e32 v3, vcc_lo, 0, v3, vcc_lo
	s_delay_alu instid0(VALU_DEP_3) | instskip(SKIP_2) | instid1(VALU_DEP_3)
	v_cndmask_b32_e64 v1, v4, v1, s2
	v_lshlrev_b32_e32 v9, 1, v0
	s_mul_i32 s13, s20, 0x3c8
	v_lshlrev_b64 v[4:5], 2, v[2:3]
	s_waitcnt lgkmcnt(0)
	s_add_u32 s2, s6, s13
	s_addc_u32 s6, s7, s9
	v_add_co_u32 v2, s2, s2, v9
	s_delay_alu instid0(VALU_DEP_1)
	v_add_co_ci_u32_e64 v3, null, s6, 0, s2
	v_add_co_u32 v4, vcc_lo, s4, v4
	v_add_co_ci_u32_e32 v5, vcc_lo, s5, v5, vcc_lo
	s_set_inst_prefetch_distance 0x1
	s_branch .LBB309_10
	.p2align	6
.LBB309_9:                              ;   in Loop: Header=BB309_10 Depth=1
	s_or_b32 exec_lo, exec_lo, s2
	s_add_u32 s20, s20, 1
	s_addc_u32 s21, s21, 0
	v_add_co_u32 v4, vcc_lo, v4, 4
	v_cmp_lt_i64_e64 s2, s[20:21], s[18:19]
	v_add_co_ci_u32_e32 v5, vcc_lo, 0, v5, vcc_lo
	s_delay_alu instid0(VALU_DEP_2)
	s_and_b32 vcc_lo, exec_lo, s2
	s_cbranch_vccz .LBB309_12
.LBB309_10:                             ; =>This Inner Loop Header: Depth=1
	v_add_co_u32 v9, s2, v8, s20
	s_delay_alu instid0(VALU_DEP_1) | instskip(SKIP_1) | instid1(VALU_DEP_1)
	v_add_co_ci_u32_e64 v10, null, 0, s21, s2
	s_mov_b32 s2, exec_lo
	v_cmpx_gt_i64_e64 s[18:19], v[9:10]
	s_cbranch_execz .LBB309_9
; %bb.11:                               ;   in Loop: Header=BB309_10 Depth=1
	global_load_b32 v9, v[4:5], off
	s_waitcnt vmcnt(0)
	v_subrev_nc_u32_e32 v11, s16, v9
	s_delay_alu instid0(VALU_DEP_1) | instskip(NEXT) | instid1(VALU_DEP_1)
	v_mad_u64_u32 v[9:10], null, v11, 22, v[1:2]
	v_ashrrev_i32_e32 v10, 31, v9
	s_delay_alu instid0(VALU_DEP_1) | instskip(NEXT) | instid1(VALU_DEP_1)
	v_lshlrev_b64 v[9:10], 1, v[9:10]
	v_add_co_u32 v9, vcc_lo, s0, v9
	s_delay_alu instid0(VALU_DEP_2)
	v_add_co_ci_u32_e32 v10, vcc_lo, s1, v10, vcc_lo
	global_load_u16 v11, v[2:3], off
	global_load_u16 v9, v[9:10], off
	v_add_co_u32 v2, vcc_lo, 0x3c8, v2
	v_add_co_ci_u32_e32 v3, vcc_lo, 0, v3, vcc_lo
	s_waitcnt vmcnt(0)
	v_fma_mix_f32 v6, v11, v9, v6 op_sel_hi:[1,1,0]
	s_branch .LBB309_9
.LBB309_12:
	s_set_inst_prefetch_distance 0x2
	v_lshlrev_b32_e32 v1, 2, v0
	s_and_b32 vcc_lo, exec_lo, s3
	ds_store_b32 v1, v6
	s_waitcnt lgkmcnt(0)
	s_barrier
	buffer_gl0_inv
	s_cbranch_vccz .LBB309_24
; %bb.13:
	s_mov_b32 s0, exec_lo
	v_cmpx_gt_u16_e32 6, v7
	s_cbranch_execz .LBB309_15
; %bb.14:
	ds_load_2addr_b32 v[2:3], v1 offset1:16
	s_waitcnt lgkmcnt(0)
	v_add_f32_e32 v2, v3, v2
	ds_store_b32 v1, v2
.LBB309_15:
	s_or_b32 exec_lo, exec_lo, s0
	s_delay_alu instid0(SALU_CYCLE_1)
	s_mov_b32 s0, exec_lo
	s_waitcnt lgkmcnt(0)
	s_barrier
	buffer_gl0_inv
	v_cmpx_gt_u16_e32 8, v7
	s_cbranch_execz .LBB309_17
; %bb.16:
	ds_load_2addr_b32 v[2:3], v1 offset1:8
	s_waitcnt lgkmcnt(0)
	v_add_f32_e32 v2, v3, v2
	ds_store_b32 v1, v2
.LBB309_17:
	s_or_b32 exec_lo, exec_lo, s0
	s_delay_alu instid0(SALU_CYCLE_1)
	s_mov_b32 s0, exec_lo
	s_waitcnt lgkmcnt(0)
	s_barrier
	buffer_gl0_inv
	;; [unrolled: 14-line block ×3, first 2 shown]
	v_cmpx_gt_u16_e32 2, v7
	s_cbranch_execz .LBB309_21
; %bb.20:
	ds_load_2addr_b32 v[2:3], v1 offset1:2
	s_waitcnt lgkmcnt(0)
	v_add_f32_e32 v2, v3, v2
	ds_store_b32 v1, v2
.LBB309_21:
	s_or_b32 exec_lo, exec_lo, s0
	s_mov_b32 s1, 0
	s_mov_b32 s0, 0
	s_mov_b32 s2, exec_lo
	s_waitcnt lgkmcnt(0)
	s_barrier
	buffer_gl0_inv
                                        ; implicit-def: $vgpr2
                                        ; implicit-def: $vgpr3
	v_cmpx_gt_u32_e32 22, v0
	s_xor_b32 s2, exec_lo, s2
; %bb.22:
	v_mul_u32_u24_e32 v2, 22, v0
	v_mad_u32_u24 v3, 0x54, v0, v1
	s_mov_b32 s0, exec_lo
	s_delay_alu instid0(VALU_DEP_2)
	v_or_b32_e32 v2, 1, v2
; %bb.23:
	s_or_b32 exec_lo, exec_lo, s2
	s_delay_alu instid0(SALU_CYCLE_1)
	s_and_b32 vcc_lo, exec_lo, s1
	s_cbranch_vccnz .LBB309_25
	s_branch .LBB309_36
.LBB309_24:
	s_mov_b32 s0, 0
                                        ; implicit-def: $vgpr2
                                        ; implicit-def: $vgpr3
	s_cbranch_execz .LBB309_36
.LBB309_25:
	s_mov_b32 s1, exec_lo
	v_cmpx_gt_u32_e32 0x84, v0
	s_cbranch_execz .LBB309_27
; %bb.26:
	ds_load_b32 v2, v1 offset:1408
	ds_load_b32 v3, v1
	s_waitcnt lgkmcnt(0)
	v_add_f32_e32 v2, v2, v3
	ds_store_b32 v1, v2
.LBB309_27:
	s_or_b32 exec_lo, exec_lo, s1
	s_delay_alu instid0(SALU_CYCLE_1)
	s_mov_b32 s1, exec_lo
	s_waitcnt lgkmcnt(0)
	s_barrier
	buffer_gl0_inv
	v_cmpx_gt_u32_e32 0xb0, v0
	s_cbranch_execz .LBB309_29
; %bb.28:
	ds_load_2addr_b32 v[2:3], v1 offset1:176
	s_waitcnt lgkmcnt(0)
	v_add_f32_e32 v2, v3, v2
	ds_store_b32 v1, v2
.LBB309_29:
	s_or_b32 exec_lo, exec_lo, s1
	s_delay_alu instid0(SALU_CYCLE_1)
	s_mov_b32 s1, exec_lo
	s_waitcnt lgkmcnt(0)
	s_barrier
	buffer_gl0_inv
	v_cmpx_gt_u32_e32 0x58, v0
	s_cbranch_execz .LBB309_31
; %bb.30:
	ds_load_2addr_b32 v[2:3], v1 offset1:88
	s_waitcnt lgkmcnt(0)
	v_add_f32_e32 v2, v3, v2
	ds_store_b32 v1, v2
.LBB309_31:
	;; [unrolled: 14-line block ×3, first 2 shown]
	s_or_b32 exec_lo, exec_lo, s1
	s_delay_alu instid0(SALU_CYCLE_1)
	s_mov_b32 s1, exec_lo
	s_waitcnt lgkmcnt(0)
	buffer_gl0_inv
                                        ; implicit-def: $vgpr2
	v_cmpx_gt_u32_e32 22, v0
; %bb.34:
	v_add_nc_u32_e32 v2, 22, v0
	s_or_b32 s0, s0, exec_lo
                                        ; implicit-def: $vgpr6
; %bb.35:
	s_or_b32 exec_lo, exec_lo, s1
	v_mov_b32_e32 v3, v1
.LBB309_36:
	s_and_saveexec_b32 s1, s0
	s_cbranch_execz .LBB309_38
; %bb.37:
	v_lshlrev_b32_e32 v1, 2, v2
	ds_load_b32 v2, v3
	ds_load_b32 v1, v1
	s_waitcnt lgkmcnt(0)
	v_add_f32_e32 v6, v2, v1
.LBB309_38:
	s_or_b32 exec_lo, exec_lo, s1
	s_delay_alu instid0(SALU_CYCLE_1)
	s_mov_b32 s0, exec_lo
	v_cmpx_gt_u32_e32 22, v0
	s_cbranch_execz .LBB309_42
; %bb.39:
	v_cmp_eq_f32_e64 s0, s8, 0
	v_mul_f32_e32 v1, s12, v6
	s_delay_alu instid0(VALU_DEP_2)
	s_and_b32 vcc_lo, exec_lo, s0
	s_mov_b32 s0, 0
	s_cbranch_vccz .LBB309_43
; %bb.40:
	s_delay_alu instid0(VALU_DEP_1) | instskip(SKIP_1) | instid1(VALU_DEP_1)
	v_mad_u64_u32 v[2:3], null, s10, 22, v[0:1]
	v_mov_b32_e32 v3, 0
	v_lshlrev_b64 v[2:3], 2, v[2:3]
	s_delay_alu instid0(VALU_DEP_1) | instskip(NEXT) | instid1(VALU_DEP_2)
	v_add_co_u32 v2, vcc_lo, s14, v2
	v_add_co_ci_u32_e32 v3, vcc_lo, s15, v3, vcc_lo
	global_store_b32 v[2:3], v1, off
	s_and_not1_b32 vcc_lo, exec_lo, s0
	s_cbranch_vccnz .LBB309_42
.LBB309_41:
	v_mad_u64_u32 v[2:3], null, s10, 22, v[0:1]
	v_mov_b32_e32 v3, 0
	s_delay_alu instid0(VALU_DEP_1) | instskip(NEXT) | instid1(VALU_DEP_1)
	v_lshlrev_b64 v[2:3], 2, v[2:3]
	v_add_co_u32 v2, vcc_lo, s14, v2
	s_delay_alu instid0(VALU_DEP_2)
	v_add_co_ci_u32_e32 v3, vcc_lo, s15, v3, vcc_lo
	global_load_b32 v0, v[2:3], off
	s_waitcnt vmcnt(0)
	v_fmac_f32_e32 v1, s8, v0
	global_store_b32 v[2:3], v1, off
.LBB309_42:
	s_nop 0
	s_sendmsg sendmsg(MSG_DEALLOC_VGPRS)
	s_endpgm
.LBB309_43:
	s_branch .LBB309_41
	.section	.rodata,"a",@progbits
	.p2align	6, 0x0
	.amdhsa_kernel _ZN9rocsparseL20bsrxmvn_17_32_kernelILj22EfliDF16_DF16_fEEvT2_20rocsparse_direction_NS_24const_host_device_scalarIT0_EES1_PKS1_PKT1_SA_S7_PKT3_PKT4_S5_PT5_21rocsparse_index_base_b
		.amdhsa_group_segment_fixed_size 1936
		.amdhsa_private_segment_fixed_size 0
		.amdhsa_kernarg_size 96
		.amdhsa_user_sgpr_count 15
		.amdhsa_user_sgpr_dispatch_ptr 0
		.amdhsa_user_sgpr_queue_ptr 0
		.amdhsa_user_sgpr_kernarg_segment_ptr 1
		.amdhsa_user_sgpr_dispatch_id 0
		.amdhsa_user_sgpr_private_segment_size 0
		.amdhsa_wavefront_size32 1
		.amdhsa_uses_dynamic_stack 0
		.amdhsa_enable_private_segment 0
		.amdhsa_system_sgpr_workgroup_id_x 1
		.amdhsa_system_sgpr_workgroup_id_y 0
		.amdhsa_system_sgpr_workgroup_id_z 0
		.amdhsa_system_sgpr_workgroup_info 0
		.amdhsa_system_vgpr_workitem_id 0
		.amdhsa_next_free_vgpr 12
		.amdhsa_next_free_sgpr 24
		.amdhsa_reserve_vcc 1
		.amdhsa_float_round_mode_32 0
		.amdhsa_float_round_mode_16_64 0
		.amdhsa_float_denorm_mode_32 3
		.amdhsa_float_denorm_mode_16_64 3
		.amdhsa_dx10_clamp 1
		.amdhsa_ieee_mode 1
		.amdhsa_fp16_overflow 0
		.amdhsa_workgroup_processor_mode 1
		.amdhsa_memory_ordered 1
		.amdhsa_forward_progress 0
		.amdhsa_shared_vgpr_count 0
		.amdhsa_exception_fp_ieee_invalid_op 0
		.amdhsa_exception_fp_denorm_src 0
		.amdhsa_exception_fp_ieee_div_zero 0
		.amdhsa_exception_fp_ieee_overflow 0
		.amdhsa_exception_fp_ieee_underflow 0
		.amdhsa_exception_fp_ieee_inexact 0
		.amdhsa_exception_int_div_zero 0
	.end_amdhsa_kernel
	.section	.text._ZN9rocsparseL20bsrxmvn_17_32_kernelILj22EfliDF16_DF16_fEEvT2_20rocsparse_direction_NS_24const_host_device_scalarIT0_EES1_PKS1_PKT1_SA_S7_PKT3_PKT4_S5_PT5_21rocsparse_index_base_b,"axG",@progbits,_ZN9rocsparseL20bsrxmvn_17_32_kernelILj22EfliDF16_DF16_fEEvT2_20rocsparse_direction_NS_24const_host_device_scalarIT0_EES1_PKS1_PKT1_SA_S7_PKT3_PKT4_S5_PT5_21rocsparse_index_base_b,comdat
.Lfunc_end309:
	.size	_ZN9rocsparseL20bsrxmvn_17_32_kernelILj22EfliDF16_DF16_fEEvT2_20rocsparse_direction_NS_24const_host_device_scalarIT0_EES1_PKS1_PKT1_SA_S7_PKT3_PKT4_S5_PT5_21rocsparse_index_base_b, .Lfunc_end309-_ZN9rocsparseL20bsrxmvn_17_32_kernelILj22EfliDF16_DF16_fEEvT2_20rocsparse_direction_NS_24const_host_device_scalarIT0_EES1_PKS1_PKT1_SA_S7_PKT3_PKT4_S5_PT5_21rocsparse_index_base_b
                                        ; -- End function
	.section	.AMDGPU.csdata,"",@progbits
; Kernel info:
; codeLenInByte = 1644
; NumSgprs: 26
; NumVgprs: 12
; ScratchSize: 0
; MemoryBound: 0
; FloatMode: 240
; IeeeMode: 1
; LDSByteSize: 1936 bytes/workgroup (compile time only)
; SGPRBlocks: 3
; VGPRBlocks: 1
; NumSGPRsForWavesPerEU: 26
; NumVGPRsForWavesPerEU: 12
; Occupancy: 16
; WaveLimiterHint : 1
; COMPUTE_PGM_RSRC2:SCRATCH_EN: 0
; COMPUTE_PGM_RSRC2:USER_SGPR: 15
; COMPUTE_PGM_RSRC2:TRAP_HANDLER: 0
; COMPUTE_PGM_RSRC2:TGID_X_EN: 1
; COMPUTE_PGM_RSRC2:TGID_Y_EN: 0
; COMPUTE_PGM_RSRC2:TGID_Z_EN: 0
; COMPUTE_PGM_RSRC2:TIDIG_COMP_CNT: 0
	.section	.text._ZN9rocsparseL20bsrxmvn_17_32_kernelILj23EfliDF16_DF16_fEEvT2_20rocsparse_direction_NS_24const_host_device_scalarIT0_EES1_PKS1_PKT1_SA_S7_PKT3_PKT4_S5_PT5_21rocsparse_index_base_b,"axG",@progbits,_ZN9rocsparseL20bsrxmvn_17_32_kernelILj23EfliDF16_DF16_fEEvT2_20rocsparse_direction_NS_24const_host_device_scalarIT0_EES1_PKS1_PKT1_SA_S7_PKT3_PKT4_S5_PT5_21rocsparse_index_base_b,comdat
	.globl	_ZN9rocsparseL20bsrxmvn_17_32_kernelILj23EfliDF16_DF16_fEEvT2_20rocsparse_direction_NS_24const_host_device_scalarIT0_EES1_PKS1_PKT1_SA_S7_PKT3_PKT4_S5_PT5_21rocsparse_index_base_b ; -- Begin function _ZN9rocsparseL20bsrxmvn_17_32_kernelILj23EfliDF16_DF16_fEEvT2_20rocsparse_direction_NS_24const_host_device_scalarIT0_EES1_PKS1_PKT1_SA_S7_PKT3_PKT4_S5_PT5_21rocsparse_index_base_b
	.p2align	8
	.type	_ZN9rocsparseL20bsrxmvn_17_32_kernelILj23EfliDF16_DF16_fEEvT2_20rocsparse_direction_NS_24const_host_device_scalarIT0_EES1_PKS1_PKT1_SA_S7_PKT3_PKT4_S5_PT5_21rocsparse_index_base_b,@function
_ZN9rocsparseL20bsrxmvn_17_32_kernelILj23EfliDF16_DF16_fEEvT2_20rocsparse_direction_NS_24const_host_device_scalarIT0_EES1_PKS1_PKT1_SA_S7_PKT3_PKT4_S5_PT5_21rocsparse_index_base_b: ; @_ZN9rocsparseL20bsrxmvn_17_32_kernelILj23EfliDF16_DF16_fEEvT2_20rocsparse_direction_NS_24const_host_device_scalarIT0_EES1_PKS1_PKT1_SA_S7_PKT3_PKT4_S5_PT5_21rocsparse_index_base_b
; %bb.0:
	s_mov_b32 s10, s15
	s_clause 0x2
	s_load_b64 s[14:15], s[0:1], 0x58
	s_load_b64 s[12:13], s[0:1], 0x8
	;; [unrolled: 1-line block ×3, first 2 shown]
	s_waitcnt lgkmcnt(0)
	s_bitcmp1_b32 s15, 0
	s_cselect_b32 s2, -1, 0
	s_delay_alu instid0(SALU_CYCLE_1)
	s_and_b32 vcc_lo, exec_lo, s2
	s_xor_b32 s2, s2, -1
	s_cbranch_vccnz .LBB310_2
; %bb.1:
	s_load_b32 s12, s[12:13], 0x0
.LBB310_2:
	s_and_not1_b32 vcc_lo, exec_lo, s2
	s_cbranch_vccnz .LBB310_4
; %bb.3:
	s_load_b32 s8, s[8:9], 0x0
.LBB310_4:
	s_waitcnt lgkmcnt(0)
	v_cmp_neq_f32_e64 s2, s12, 0
	v_cmp_neq_f32_e64 s3, s8, 1.0
	s_delay_alu instid0(VALU_DEP_1) | instskip(NEXT) | instid1(SALU_CYCLE_1)
	s_or_b32 s2, s2, s3
	s_and_not1_b32 vcc_lo, exec_lo, s2
	s_cbranch_vccnz .LBB310_42
; %bb.5:
	s_clause 0x1
	s_load_b128 s[4:7], s[0:1], 0x18
	s_load_b64 s[16:17], s[0:1], 0x28
	s_waitcnt lgkmcnt(0)
	s_cmp_eq_u64 s[4:5], 0
	s_cbranch_scc1 .LBB310_7
; %bb.6:
	s_ashr_i32 s11, s10, 31
	s_delay_alu instid0(SALU_CYCLE_1) | instskip(NEXT) | instid1(SALU_CYCLE_1)
	s_lshl_b64 s[2:3], s[10:11], 2
	s_add_u32 s2, s4, s2
	s_addc_u32 s3, s5, s3
	s_load_b32 s2, s[2:3], 0x0
	s_waitcnt lgkmcnt(0)
	s_sub_i32 s10, s2, s14
.LBB310_7:
	s_load_b32 s3, s[0:1], 0x4
	v_mul_u32_u24_e32 v1, 0xb22, v0
	v_mov_b32_e32 v6, 0
	s_delay_alu instid0(VALU_DEP_2) | instskip(NEXT) | instid1(VALU_DEP_1)
	v_lshrrev_b32_e32 v1, 16, v1
	v_mul_lo_u16 v2, v1, 23
	s_delay_alu instid0(VALU_DEP_1)
	v_sub_nc_u16 v7, v0, v2
	s_waitcnt lgkmcnt(0)
	s_cmp_eq_u32 s3, 1
	s_cselect_b32 s2, -1, 0
	s_cmp_lg_u32 s3, 1
	s_cselect_b32 s3, -1, 0
	s_ashr_i32 s11, s10, 31
	s_delay_alu instid0(SALU_CYCLE_1) | instskip(NEXT) | instid1(SALU_CYCLE_1)
	s_lshl_b64 s[4:5], s[10:11], 3
	s_add_u32 s6, s6, s4
	s_addc_u32 s7, s7, s5
	s_add_u32 s9, s6, 8
	s_addc_u32 s11, s7, 0
	;; [unrolled: 2-line block ×3, first 2 shown]
	s_cmp_eq_u64 s[16:17], 0
	s_cselect_b32 s5, s11, s5
	s_cselect_b32 s4, s9, s4
	s_load_b64 s[18:19], s[6:7], 0x0
	s_load_b64 s[6:7], s[4:5], 0x0
	;; [unrolled: 1-line block ×3, first 2 shown]
	s_waitcnt lgkmcnt(0)
	v_cmp_ge_i64_e64 s9, s[18:19], s[6:7]
	s_delay_alu instid0(VALU_DEP_1)
	s_and_b32 vcc_lo, exec_lo, s9
	s_cbranch_vccnz .LBB310_12
; %bb.8:
	v_and_b32_e32 v1, 0xffff, v1
	v_cmp_lt_u32_e32 vcc_lo, 0x210, v0
	s_clause 0x1
	s_load_b128 s[20:23], s[0:1], 0x30
	s_load_b64 s[0:1], s[0:1], 0x40
	s_sub_u32 s6, s6, s14
	s_subb_u32 s7, s7, 0
	v_subrev_nc_u32_e32 v3, 23, v1
	v_cndmask_b32_e64 v8, 0, 1, vcc_lo
	v_cmp_gt_u32_e32 vcc_lo, 0x211, v0
	v_and_b32_e32 v2, 0xffff, v7
	s_sub_u32 s16, s18, s14
	s_subb_u32 s17, s19, 0
	s_mul_hi_u32 s9, s16, 0x422
	v_cndmask_b32_e32 v1, v3, v1, vcc_lo
	s_mul_i32 s11, s17, 0x422
	v_lshlrev_b32_e32 v6, 1, v0
	s_add_i32 s9, s9, s11
	s_delay_alu instid0(VALU_DEP_2) | instskip(SKIP_1) | instid1(VALU_DEP_1)
	v_cndmask_b32_e64 v1, v2, v1, s2
	v_add_co_u32 v2, s2, s18, v8
	v_add_co_ci_u32_e64 v3, null, s19, 0, s2
	s_mul_i32 s2, s16, 0x422
	s_delay_alu instid0(VALU_DEP_2) | instskip(NEXT) | instid1(VALU_DEP_2)
	v_sub_co_u32 v2, vcc_lo, v2, s14
	v_subrev_co_ci_u32_e32 v3, vcc_lo, 0, v3, vcc_lo
	s_waitcnt lgkmcnt(0)
	s_add_u32 s2, s22, s2
	s_addc_u32 s9, s23, s9
	s_delay_alu instid0(VALU_DEP_1) | instskip(SKIP_1) | instid1(VALU_DEP_1)
	v_lshlrev_b64 v[4:5], 2, v[2:3]
	v_add_co_u32 v2, s2, s2, v6
	v_add_co_ci_u32_e64 v3, null, s9, 0, s2
	v_mov_b32_e32 v6, 0
	s_delay_alu instid0(VALU_DEP_4)
	v_add_co_u32 v4, vcc_lo, s20, v4
	v_add_co_ci_u32_e32 v5, vcc_lo, s21, v5, vcc_lo
	s_set_inst_prefetch_distance 0x1
	s_branch .LBB310_10
	.p2align	6
.LBB310_9:                              ;   in Loop: Header=BB310_10 Depth=1
	s_or_b32 exec_lo, exec_lo, s2
	s_add_u32 s16, s16, 1
	s_addc_u32 s17, s17, 0
	v_add_co_u32 v4, vcc_lo, v4, 4
	v_cmp_lt_i64_e64 s2, s[16:17], s[6:7]
	v_add_co_ci_u32_e32 v5, vcc_lo, 0, v5, vcc_lo
	s_delay_alu instid0(VALU_DEP_2)
	s_and_b32 vcc_lo, exec_lo, s2
	s_cbranch_vccz .LBB310_12
.LBB310_10:                             ; =>This Inner Loop Header: Depth=1
	v_add_co_u32 v9, s2, v8, s16
	s_delay_alu instid0(VALU_DEP_1) | instskip(SKIP_1) | instid1(VALU_DEP_1)
	v_add_co_ci_u32_e64 v10, null, 0, s17, s2
	s_mov_b32 s2, exec_lo
	v_cmpx_gt_i64_e64 s[6:7], v[9:10]
	s_cbranch_execz .LBB310_9
; %bb.11:                               ;   in Loop: Header=BB310_10 Depth=1
	global_load_b32 v9, v[4:5], off
	s_waitcnt vmcnt(0)
	v_subrev_nc_u32_e32 v11, s14, v9
	s_delay_alu instid0(VALU_DEP_1) | instskip(NEXT) | instid1(VALU_DEP_1)
	v_mad_u64_u32 v[9:10], null, v11, 23, v[1:2]
	v_ashrrev_i32_e32 v10, 31, v9
	s_delay_alu instid0(VALU_DEP_1) | instskip(NEXT) | instid1(VALU_DEP_1)
	v_lshlrev_b64 v[9:10], 1, v[9:10]
	v_add_co_u32 v9, vcc_lo, s0, v9
	s_delay_alu instid0(VALU_DEP_2)
	v_add_co_ci_u32_e32 v10, vcc_lo, s1, v10, vcc_lo
	global_load_u16 v11, v[2:3], off
	global_load_u16 v9, v[9:10], off
	v_add_co_u32 v2, vcc_lo, 0x422, v2
	v_add_co_ci_u32_e32 v3, vcc_lo, 0, v3, vcc_lo
	s_waitcnt vmcnt(0)
	v_fma_mix_f32 v6, v11, v9, v6 op_sel_hi:[1,1,0]
	s_branch .LBB310_9
.LBB310_12:
	s_set_inst_prefetch_distance 0x2
	v_lshlrev_b32_e32 v1, 2, v0
	s_and_b32 vcc_lo, exec_lo, s3
	ds_store_b32 v1, v6
	s_waitcnt lgkmcnt(0)
	s_barrier
	buffer_gl0_inv
	s_cbranch_vccz .LBB310_24
; %bb.13:
	s_mov_b32 s0, exec_lo
	v_cmpx_gt_u16_e32 7, v7
	s_cbranch_execz .LBB310_15
; %bb.14:
	ds_load_2addr_b32 v[2:3], v1 offset1:16
	s_waitcnt lgkmcnt(0)
	v_add_f32_e32 v2, v3, v2
	ds_store_b32 v1, v2
.LBB310_15:
	s_or_b32 exec_lo, exec_lo, s0
	s_delay_alu instid0(SALU_CYCLE_1)
	s_mov_b32 s0, exec_lo
	s_waitcnt lgkmcnt(0)
	s_barrier
	buffer_gl0_inv
	v_cmpx_gt_u16_e32 8, v7
	s_cbranch_execz .LBB310_17
; %bb.16:
	ds_load_2addr_b32 v[2:3], v1 offset1:8
	s_waitcnt lgkmcnt(0)
	v_add_f32_e32 v2, v3, v2
	ds_store_b32 v1, v2
.LBB310_17:
	s_or_b32 exec_lo, exec_lo, s0
	s_delay_alu instid0(SALU_CYCLE_1)
	s_mov_b32 s0, exec_lo
	s_waitcnt lgkmcnt(0)
	s_barrier
	buffer_gl0_inv
	;; [unrolled: 14-line block ×3, first 2 shown]
	v_cmpx_gt_u16_e32 2, v7
	s_cbranch_execz .LBB310_21
; %bb.20:
	ds_load_2addr_b32 v[2:3], v1 offset1:2
	s_waitcnt lgkmcnt(0)
	v_add_f32_e32 v2, v3, v2
	ds_store_b32 v1, v2
.LBB310_21:
	s_or_b32 exec_lo, exec_lo, s0
	s_mov_b32 s1, 0
	s_mov_b32 s0, 0
	s_mov_b32 s2, exec_lo
	s_waitcnt lgkmcnt(0)
	s_barrier
	buffer_gl0_inv
                                        ; implicit-def: $vgpr2
                                        ; implicit-def: $vgpr3
	v_cmpx_gt_u32_e32 23, v0
	s_xor_b32 s2, exec_lo, s2
; %bb.22:
	v_mad_u32_u24 v2, v0, 23, 1
	v_mad_u32_u24 v3, 0x58, v0, v1
	s_mov_b32 s0, exec_lo
; %bb.23:
	s_or_b32 exec_lo, exec_lo, s2
	s_delay_alu instid0(SALU_CYCLE_1)
	s_and_b32 vcc_lo, exec_lo, s1
	s_cbranch_vccnz .LBB310_25
	s_branch .LBB310_36
.LBB310_24:
	s_mov_b32 s0, 0
                                        ; implicit-def: $vgpr2
                                        ; implicit-def: $vgpr3
	s_cbranch_execz .LBB310_36
.LBB310_25:
	s_mov_b32 s1, exec_lo
	v_cmpx_gt_u32_e32 0xa1, v0
	s_cbranch_execz .LBB310_27
; %bb.26:
	ds_load_b32 v2, v1 offset:1472
	ds_load_b32 v3, v1
	s_waitcnt lgkmcnt(0)
	v_add_f32_e32 v2, v2, v3
	ds_store_b32 v1, v2
.LBB310_27:
	s_or_b32 exec_lo, exec_lo, s1
	s_delay_alu instid0(SALU_CYCLE_1)
	s_mov_b32 s1, exec_lo
	s_waitcnt lgkmcnt(0)
	s_barrier
	buffer_gl0_inv
	v_cmpx_gt_u32_e32 0xb8, v0
	s_cbranch_execz .LBB310_29
; %bb.28:
	ds_load_2addr_b32 v[2:3], v1 offset1:184
	s_waitcnt lgkmcnt(0)
	v_add_f32_e32 v2, v3, v2
	ds_store_b32 v1, v2
.LBB310_29:
	s_or_b32 exec_lo, exec_lo, s1
	s_delay_alu instid0(SALU_CYCLE_1)
	s_mov_b32 s1, exec_lo
	s_waitcnt lgkmcnt(0)
	s_barrier
	buffer_gl0_inv
	v_cmpx_gt_u32_e32 0x5c, v0
	s_cbranch_execz .LBB310_31
; %bb.30:
	ds_load_2addr_b32 v[2:3], v1 offset1:92
	s_waitcnt lgkmcnt(0)
	v_add_f32_e32 v2, v3, v2
	ds_store_b32 v1, v2
.LBB310_31:
	;; [unrolled: 14-line block ×3, first 2 shown]
	s_or_b32 exec_lo, exec_lo, s1
	s_delay_alu instid0(SALU_CYCLE_1)
	s_mov_b32 s1, exec_lo
	s_waitcnt lgkmcnt(0)
	buffer_gl0_inv
                                        ; implicit-def: $vgpr2
	v_cmpx_gt_u32_e32 23, v0
; %bb.34:
	v_add_nc_u32_e32 v2, 23, v0
	s_or_b32 s0, s0, exec_lo
                                        ; implicit-def: $vgpr6
; %bb.35:
	s_or_b32 exec_lo, exec_lo, s1
	v_mov_b32_e32 v3, v1
.LBB310_36:
	s_and_saveexec_b32 s1, s0
	s_cbranch_execz .LBB310_38
; %bb.37:
	v_lshlrev_b32_e32 v1, 2, v2
	ds_load_b32 v2, v3
	ds_load_b32 v1, v1
	s_waitcnt lgkmcnt(0)
	v_add_f32_e32 v6, v2, v1
.LBB310_38:
	s_or_b32 exec_lo, exec_lo, s1
	s_delay_alu instid0(SALU_CYCLE_1)
	s_mov_b32 s0, exec_lo
	v_cmpx_gt_u32_e32 23, v0
	s_cbranch_execz .LBB310_42
; %bb.39:
	v_cmp_eq_f32_e64 s0, s8, 0
	v_mul_f32_e32 v1, s12, v6
	s_delay_alu instid0(VALU_DEP_2)
	s_and_b32 vcc_lo, exec_lo, s0
	s_mov_b32 s0, 0
	s_cbranch_vccz .LBB310_43
; %bb.40:
	s_delay_alu instid0(VALU_DEP_1) | instskip(SKIP_1) | instid1(VALU_DEP_1)
	v_mad_u64_u32 v[2:3], null, s10, 23, v[0:1]
	v_mov_b32_e32 v3, 0
	v_lshlrev_b64 v[2:3], 2, v[2:3]
	s_delay_alu instid0(VALU_DEP_1) | instskip(NEXT) | instid1(VALU_DEP_2)
	v_add_co_u32 v2, vcc_lo, s4, v2
	v_add_co_ci_u32_e32 v3, vcc_lo, s5, v3, vcc_lo
	global_store_b32 v[2:3], v1, off
	s_and_not1_b32 vcc_lo, exec_lo, s0
	s_cbranch_vccnz .LBB310_42
.LBB310_41:
	v_mad_u64_u32 v[2:3], null, s10, 23, v[0:1]
	v_mov_b32_e32 v3, 0
	s_delay_alu instid0(VALU_DEP_1) | instskip(NEXT) | instid1(VALU_DEP_1)
	v_lshlrev_b64 v[2:3], 2, v[2:3]
	v_add_co_u32 v2, vcc_lo, s4, v2
	s_delay_alu instid0(VALU_DEP_2)
	v_add_co_ci_u32_e32 v3, vcc_lo, s5, v3, vcc_lo
	global_load_b32 v0, v[2:3], off
	s_waitcnt vmcnt(0)
	v_fmac_f32_e32 v1, s8, v0
	global_store_b32 v[2:3], v1, off
.LBB310_42:
	s_nop 0
	s_sendmsg sendmsg(MSG_DEALLOC_VGPRS)
	s_endpgm
.LBB310_43:
	s_branch .LBB310_41
	.section	.rodata,"a",@progbits
	.p2align	6, 0x0
	.amdhsa_kernel _ZN9rocsparseL20bsrxmvn_17_32_kernelILj23EfliDF16_DF16_fEEvT2_20rocsparse_direction_NS_24const_host_device_scalarIT0_EES1_PKS1_PKT1_SA_S7_PKT3_PKT4_S5_PT5_21rocsparse_index_base_b
		.amdhsa_group_segment_fixed_size 2116
		.amdhsa_private_segment_fixed_size 0
		.amdhsa_kernarg_size 96
		.amdhsa_user_sgpr_count 15
		.amdhsa_user_sgpr_dispatch_ptr 0
		.amdhsa_user_sgpr_queue_ptr 0
		.amdhsa_user_sgpr_kernarg_segment_ptr 1
		.amdhsa_user_sgpr_dispatch_id 0
		.amdhsa_user_sgpr_private_segment_size 0
		.amdhsa_wavefront_size32 1
		.amdhsa_uses_dynamic_stack 0
		.amdhsa_enable_private_segment 0
		.amdhsa_system_sgpr_workgroup_id_x 1
		.amdhsa_system_sgpr_workgroup_id_y 0
		.amdhsa_system_sgpr_workgroup_id_z 0
		.amdhsa_system_sgpr_workgroup_info 0
		.amdhsa_system_vgpr_workitem_id 0
		.amdhsa_next_free_vgpr 12
		.amdhsa_next_free_sgpr 24
		.amdhsa_reserve_vcc 1
		.amdhsa_float_round_mode_32 0
		.amdhsa_float_round_mode_16_64 0
		.amdhsa_float_denorm_mode_32 3
		.amdhsa_float_denorm_mode_16_64 3
		.amdhsa_dx10_clamp 1
		.amdhsa_ieee_mode 1
		.amdhsa_fp16_overflow 0
		.amdhsa_workgroup_processor_mode 1
		.amdhsa_memory_ordered 1
		.amdhsa_forward_progress 0
		.amdhsa_shared_vgpr_count 0
		.amdhsa_exception_fp_ieee_invalid_op 0
		.amdhsa_exception_fp_denorm_src 0
		.amdhsa_exception_fp_ieee_div_zero 0
		.amdhsa_exception_fp_ieee_overflow 0
		.amdhsa_exception_fp_ieee_underflow 0
		.amdhsa_exception_fp_ieee_inexact 0
		.amdhsa_exception_int_div_zero 0
	.end_amdhsa_kernel
	.section	.text._ZN9rocsparseL20bsrxmvn_17_32_kernelILj23EfliDF16_DF16_fEEvT2_20rocsparse_direction_NS_24const_host_device_scalarIT0_EES1_PKS1_PKT1_SA_S7_PKT3_PKT4_S5_PT5_21rocsparse_index_base_b,"axG",@progbits,_ZN9rocsparseL20bsrxmvn_17_32_kernelILj23EfliDF16_DF16_fEEvT2_20rocsparse_direction_NS_24const_host_device_scalarIT0_EES1_PKS1_PKT1_SA_S7_PKT3_PKT4_S5_PT5_21rocsparse_index_base_b,comdat
.Lfunc_end310:
	.size	_ZN9rocsparseL20bsrxmvn_17_32_kernelILj23EfliDF16_DF16_fEEvT2_20rocsparse_direction_NS_24const_host_device_scalarIT0_EES1_PKS1_PKT1_SA_S7_PKT3_PKT4_S5_PT5_21rocsparse_index_base_b, .Lfunc_end310-_ZN9rocsparseL20bsrxmvn_17_32_kernelILj23EfliDF16_DF16_fEEvT2_20rocsparse_direction_NS_24const_host_device_scalarIT0_EES1_PKS1_PKT1_SA_S7_PKT3_PKT4_S5_PT5_21rocsparse_index_base_b
                                        ; -- End function
	.section	.AMDGPU.csdata,"",@progbits
; Kernel info:
; codeLenInByte = 1616
; NumSgprs: 26
; NumVgprs: 12
; ScratchSize: 0
; MemoryBound: 0
; FloatMode: 240
; IeeeMode: 1
; LDSByteSize: 2116 bytes/workgroup (compile time only)
; SGPRBlocks: 3
; VGPRBlocks: 1
; NumSGPRsForWavesPerEU: 26
; NumVGPRsForWavesPerEU: 12
; Occupancy: 13
; WaveLimiterHint : 1
; COMPUTE_PGM_RSRC2:SCRATCH_EN: 0
; COMPUTE_PGM_RSRC2:USER_SGPR: 15
; COMPUTE_PGM_RSRC2:TRAP_HANDLER: 0
; COMPUTE_PGM_RSRC2:TGID_X_EN: 1
; COMPUTE_PGM_RSRC2:TGID_Y_EN: 0
; COMPUTE_PGM_RSRC2:TGID_Z_EN: 0
; COMPUTE_PGM_RSRC2:TIDIG_COMP_CNT: 0
	.section	.text._ZN9rocsparseL20bsrxmvn_17_32_kernelILj24EfliDF16_DF16_fEEvT2_20rocsparse_direction_NS_24const_host_device_scalarIT0_EES1_PKS1_PKT1_SA_S7_PKT3_PKT4_S5_PT5_21rocsparse_index_base_b,"axG",@progbits,_ZN9rocsparseL20bsrxmvn_17_32_kernelILj24EfliDF16_DF16_fEEvT2_20rocsparse_direction_NS_24const_host_device_scalarIT0_EES1_PKS1_PKT1_SA_S7_PKT3_PKT4_S5_PT5_21rocsparse_index_base_b,comdat
	.globl	_ZN9rocsparseL20bsrxmvn_17_32_kernelILj24EfliDF16_DF16_fEEvT2_20rocsparse_direction_NS_24const_host_device_scalarIT0_EES1_PKS1_PKT1_SA_S7_PKT3_PKT4_S5_PT5_21rocsparse_index_base_b ; -- Begin function _ZN9rocsparseL20bsrxmvn_17_32_kernelILj24EfliDF16_DF16_fEEvT2_20rocsparse_direction_NS_24const_host_device_scalarIT0_EES1_PKS1_PKT1_SA_S7_PKT3_PKT4_S5_PT5_21rocsparse_index_base_b
	.p2align	8
	.type	_ZN9rocsparseL20bsrxmvn_17_32_kernelILj24EfliDF16_DF16_fEEvT2_20rocsparse_direction_NS_24const_host_device_scalarIT0_EES1_PKS1_PKT1_SA_S7_PKT3_PKT4_S5_PT5_21rocsparse_index_base_b,@function
_ZN9rocsparseL20bsrxmvn_17_32_kernelILj24EfliDF16_DF16_fEEvT2_20rocsparse_direction_NS_24const_host_device_scalarIT0_EES1_PKS1_PKT1_SA_S7_PKT3_PKT4_S5_PT5_21rocsparse_index_base_b: ; @_ZN9rocsparseL20bsrxmvn_17_32_kernelILj24EfliDF16_DF16_fEEvT2_20rocsparse_direction_NS_24const_host_device_scalarIT0_EES1_PKS1_PKT1_SA_S7_PKT3_PKT4_S5_PT5_21rocsparse_index_base_b
; %bb.0:
	s_mov_b32 s10, s15
	s_clause 0x2
	s_load_b64 s[14:15], s[0:1], 0x58
	s_load_b64 s[12:13], s[0:1], 0x8
	s_load_b64 s[8:9], s[0:1], 0x48
	s_waitcnt lgkmcnt(0)
	s_bitcmp1_b32 s15, 0
	s_cselect_b32 s2, -1, 0
	s_delay_alu instid0(SALU_CYCLE_1)
	s_and_b32 vcc_lo, exec_lo, s2
	s_xor_b32 s2, s2, -1
	s_cbranch_vccnz .LBB311_2
; %bb.1:
	s_load_b32 s12, s[12:13], 0x0
.LBB311_2:
	s_and_not1_b32 vcc_lo, exec_lo, s2
	s_cbranch_vccnz .LBB311_4
; %bb.3:
	s_load_b32 s8, s[8:9], 0x0
.LBB311_4:
	s_waitcnt lgkmcnt(0)
	v_cmp_neq_f32_e64 s2, s12, 0
	v_cmp_neq_f32_e64 s3, s8, 1.0
	s_delay_alu instid0(VALU_DEP_1) | instskip(NEXT) | instid1(SALU_CYCLE_1)
	s_or_b32 s2, s2, s3
	s_and_not1_b32 vcc_lo, exec_lo, s2
	s_cbranch_vccnz .LBB311_42
; %bb.5:
	s_clause 0x1
	s_load_b128 s[4:7], s[0:1], 0x18
	s_load_b64 s[16:17], s[0:1], 0x28
	s_waitcnt lgkmcnt(0)
	s_cmp_eq_u64 s[4:5], 0
	s_cbranch_scc1 .LBB311_7
; %bb.6:
	s_ashr_i32 s11, s10, 31
	s_delay_alu instid0(SALU_CYCLE_1) | instskip(NEXT) | instid1(SALU_CYCLE_1)
	s_lshl_b64 s[2:3], s[10:11], 2
	s_add_u32 s2, s4, s2
	s_addc_u32 s3, s5, s3
	s_load_b32 s2, s[2:3], 0x0
	s_waitcnt lgkmcnt(0)
	s_sub_i32 s10, s2, s14
.LBB311_7:
	s_load_b32 s3, s[0:1], 0x4
	v_mul_u32_u24_e32 v1, 0xaab, v0
	v_mov_b32_e32 v6, 0
	s_delay_alu instid0(VALU_DEP_2) | instskip(NEXT) | instid1(VALU_DEP_1)
	v_lshrrev_b32_e32 v1, 16, v1
	v_mul_lo_u16 v2, v1, 24
	s_delay_alu instid0(VALU_DEP_1)
	v_sub_nc_u16 v7, v0, v2
	s_waitcnt lgkmcnt(0)
	s_cmp_eq_u32 s3, 1
	s_cselect_b32 s2, -1, 0
	s_cmp_lg_u32 s3, 1
	s_cselect_b32 s3, -1, 0
	s_ashr_i32 s11, s10, 31
	s_delay_alu instid0(SALU_CYCLE_1) | instskip(NEXT) | instid1(SALU_CYCLE_1)
	s_lshl_b64 s[4:5], s[10:11], 3
	s_add_u32 s6, s6, s4
	s_addc_u32 s7, s7, s5
	s_add_u32 s9, s6, 8
	s_addc_u32 s11, s7, 0
	;; [unrolled: 2-line block ×3, first 2 shown]
	s_cmp_eq_u64 s[16:17], 0
	s_cselect_b32 s5, s11, s5
	s_cselect_b32 s4, s9, s4
	s_load_b64 s[18:19], s[6:7], 0x0
	s_load_b64 s[6:7], s[4:5], 0x0
	;; [unrolled: 1-line block ×3, first 2 shown]
	s_waitcnt lgkmcnt(0)
	v_cmp_ge_i64_e64 s9, s[18:19], s[6:7]
	s_delay_alu instid0(VALU_DEP_1)
	s_and_b32 vcc_lo, exec_lo, s9
	s_cbranch_vccnz .LBB311_12
; %bb.8:
	v_and_b32_e32 v1, 0xffff, v1
	v_cmp_lt_u32_e32 vcc_lo, 0x23f, v0
	s_clause 0x1
	s_load_b128 s[20:23], s[0:1], 0x30
	s_load_b64 s[0:1], s[0:1], 0x40
	s_sub_u32 s6, s6, s14
	s_subb_u32 s7, s7, 0
	v_subrev_nc_u32_e32 v3, 24, v1
	v_cndmask_b32_e64 v8, 0, 1, vcc_lo
	v_cmp_gt_u32_e32 vcc_lo, 0x240, v0
	v_and_b32_e32 v2, 0xffff, v7
	s_sub_u32 s16, s18, s14
	s_subb_u32 s17, s19, 0
	s_mul_hi_u32 s9, s16, 0x480
	v_cndmask_b32_e32 v1, v3, v1, vcc_lo
	s_mul_i32 s11, s17, 0x480
	v_lshlrev_b32_e32 v6, 1, v0
	s_add_i32 s9, s9, s11
	s_delay_alu instid0(VALU_DEP_2) | instskip(SKIP_1) | instid1(VALU_DEP_1)
	v_cndmask_b32_e64 v1, v2, v1, s2
	v_add_co_u32 v2, s2, s18, v8
	v_add_co_ci_u32_e64 v3, null, s19, 0, s2
	s_mul_i32 s2, s16, 0x480
	s_delay_alu instid0(VALU_DEP_2) | instskip(NEXT) | instid1(VALU_DEP_2)
	v_sub_co_u32 v2, vcc_lo, v2, s14
	v_subrev_co_ci_u32_e32 v3, vcc_lo, 0, v3, vcc_lo
	s_waitcnt lgkmcnt(0)
	s_add_u32 s2, s22, s2
	s_addc_u32 s9, s23, s9
	s_delay_alu instid0(VALU_DEP_1) | instskip(SKIP_1) | instid1(VALU_DEP_1)
	v_lshlrev_b64 v[4:5], 2, v[2:3]
	v_add_co_u32 v2, s2, s2, v6
	v_add_co_ci_u32_e64 v3, null, s9, 0, s2
	v_mov_b32_e32 v6, 0
	s_delay_alu instid0(VALU_DEP_4)
	v_add_co_u32 v4, vcc_lo, s20, v4
	v_add_co_ci_u32_e32 v5, vcc_lo, s21, v5, vcc_lo
	s_set_inst_prefetch_distance 0x1
	s_branch .LBB311_10
	.p2align	6
.LBB311_9:                              ;   in Loop: Header=BB311_10 Depth=1
	s_or_b32 exec_lo, exec_lo, s2
	s_add_u32 s16, s16, 1
	s_addc_u32 s17, s17, 0
	v_add_co_u32 v4, vcc_lo, v4, 4
	v_cmp_lt_i64_e64 s2, s[16:17], s[6:7]
	v_add_co_ci_u32_e32 v5, vcc_lo, 0, v5, vcc_lo
	s_delay_alu instid0(VALU_DEP_2)
	s_and_b32 vcc_lo, exec_lo, s2
	s_cbranch_vccz .LBB311_12
.LBB311_10:                             ; =>This Inner Loop Header: Depth=1
	v_add_co_u32 v9, s2, v8, s16
	s_delay_alu instid0(VALU_DEP_1) | instskip(SKIP_1) | instid1(VALU_DEP_1)
	v_add_co_ci_u32_e64 v10, null, 0, s17, s2
	s_mov_b32 s2, exec_lo
	v_cmpx_gt_i64_e64 s[6:7], v[9:10]
	s_cbranch_execz .LBB311_9
; %bb.11:                               ;   in Loop: Header=BB311_10 Depth=1
	global_load_b32 v9, v[4:5], off
	s_waitcnt vmcnt(0)
	v_subrev_nc_u32_e32 v11, s14, v9
	s_delay_alu instid0(VALU_DEP_1) | instskip(NEXT) | instid1(VALU_DEP_1)
	v_mad_u64_u32 v[9:10], null, v11, 24, v[1:2]
	v_ashrrev_i32_e32 v10, 31, v9
	s_delay_alu instid0(VALU_DEP_1) | instskip(NEXT) | instid1(VALU_DEP_1)
	v_lshlrev_b64 v[9:10], 1, v[9:10]
	v_add_co_u32 v9, vcc_lo, s0, v9
	s_delay_alu instid0(VALU_DEP_2)
	v_add_co_ci_u32_e32 v10, vcc_lo, s1, v10, vcc_lo
	global_load_u16 v11, v[2:3], off
	global_load_u16 v9, v[9:10], off
	v_add_co_u32 v2, vcc_lo, 0x480, v2
	v_add_co_ci_u32_e32 v3, vcc_lo, 0, v3, vcc_lo
	s_waitcnt vmcnt(0)
	v_fma_mix_f32 v6, v11, v9, v6 op_sel_hi:[1,1,0]
	s_branch .LBB311_9
.LBB311_12:
	s_set_inst_prefetch_distance 0x2
	v_lshlrev_b32_e32 v1, 2, v0
	s_and_b32 vcc_lo, exec_lo, s3
	ds_store_b32 v1, v6
	s_waitcnt lgkmcnt(0)
	s_barrier
	buffer_gl0_inv
	s_cbranch_vccz .LBB311_24
; %bb.13:
	v_cmp_gt_u16_e32 vcc_lo, 8, v7
	s_and_saveexec_b32 s0, vcc_lo
	s_cbranch_execz .LBB311_15
; %bb.14:
	ds_load_2addr_b32 v[2:3], v1 offset1:16
	s_waitcnt lgkmcnt(0)
	v_add_f32_e32 v2, v3, v2
	ds_store_b32 v1, v2
.LBB311_15:
	s_or_b32 exec_lo, exec_lo, s0
	s_waitcnt lgkmcnt(0)
	s_barrier
	buffer_gl0_inv
	s_and_saveexec_b32 s0, vcc_lo
	s_cbranch_execz .LBB311_17
; %bb.16:
	ds_load_2addr_b32 v[2:3], v1 offset1:8
	s_waitcnt lgkmcnt(0)
	v_add_f32_e32 v2, v3, v2
	ds_store_b32 v1, v2
.LBB311_17:
	s_or_b32 exec_lo, exec_lo, s0
	s_delay_alu instid0(SALU_CYCLE_1)
	s_mov_b32 s0, exec_lo
	s_waitcnt lgkmcnt(0)
	s_barrier
	buffer_gl0_inv
	v_cmpx_gt_u16_e32 4, v7
	s_cbranch_execz .LBB311_19
; %bb.18:
	ds_load_2addr_b32 v[2:3], v1 offset1:4
	s_waitcnt lgkmcnt(0)
	v_add_f32_e32 v2, v3, v2
	ds_store_b32 v1, v2
.LBB311_19:
	s_or_b32 exec_lo, exec_lo, s0
	s_delay_alu instid0(SALU_CYCLE_1)
	s_mov_b32 s0, exec_lo
	s_waitcnt lgkmcnt(0)
	s_barrier
	buffer_gl0_inv
	v_cmpx_gt_u16_e32 2, v7
	s_cbranch_execz .LBB311_21
; %bb.20:
	ds_load_2addr_b32 v[2:3], v1 offset1:2
	s_waitcnt lgkmcnt(0)
	v_add_f32_e32 v2, v3, v2
	ds_store_b32 v1, v2
.LBB311_21:
	s_or_b32 exec_lo, exec_lo, s0
	s_mov_b32 s1, 0
	s_mov_b32 s0, 0
	s_mov_b32 s2, exec_lo
	s_waitcnt lgkmcnt(0)
	s_barrier
	buffer_gl0_inv
                                        ; implicit-def: $vgpr2
                                        ; implicit-def: $vgpr3
	v_cmpx_gt_u32_e32 24, v0
	s_xor_b32 s2, exec_lo, s2
; %bb.22:
	v_mul_u32_u24_e32 v2, 24, v0
	v_mad_u32_u24 v3, 0x5c, v0, v1
	s_mov_b32 s0, exec_lo
	s_delay_alu instid0(VALU_DEP_2)
	v_or_b32_e32 v2, 1, v2
; %bb.23:
	s_or_b32 exec_lo, exec_lo, s2
	s_delay_alu instid0(SALU_CYCLE_1)
	s_and_b32 vcc_lo, exec_lo, s1
	s_cbranch_vccnz .LBB311_25
	s_branch .LBB311_36
.LBB311_24:
	s_mov_b32 s0, 0
                                        ; implicit-def: $vgpr2
                                        ; implicit-def: $vgpr3
	s_cbranch_execz .LBB311_36
.LBB311_25:
	v_cmp_gt_u32_e32 vcc_lo, 0xc0, v0
	s_and_saveexec_b32 s1, vcc_lo
	s_cbranch_execz .LBB311_27
; %bb.26:
	ds_load_2addr_stride64_b32 v[2:3], v1 offset1:6
	s_waitcnt lgkmcnt(0)
	v_add_f32_e32 v2, v3, v2
	ds_store_b32 v1, v2
.LBB311_27:
	s_or_b32 exec_lo, exec_lo, s1
	s_waitcnt lgkmcnt(0)
	s_barrier
	buffer_gl0_inv
	s_and_saveexec_b32 s1, vcc_lo
	s_cbranch_execz .LBB311_29
; %bb.28:
	ds_load_2addr_stride64_b32 v[2:3], v1 offset1:3
	s_waitcnt lgkmcnt(0)
	v_add_f32_e32 v2, v3, v2
	ds_store_b32 v1, v2
.LBB311_29:
	s_or_b32 exec_lo, exec_lo, s1
	s_delay_alu instid0(SALU_CYCLE_1)
	s_mov_b32 s1, exec_lo
	s_waitcnt lgkmcnt(0)
	s_barrier
	buffer_gl0_inv
	v_cmpx_gt_u32_e32 0x60, v0
	s_cbranch_execz .LBB311_31
; %bb.30:
	ds_load_2addr_b32 v[2:3], v1 offset1:96
	s_waitcnt lgkmcnt(0)
	v_add_f32_e32 v2, v3, v2
	ds_store_b32 v1, v2
.LBB311_31:
	s_or_b32 exec_lo, exec_lo, s1
	s_delay_alu instid0(SALU_CYCLE_1)
	s_mov_b32 s1, exec_lo
	s_waitcnt lgkmcnt(0)
	s_barrier
	buffer_gl0_inv
	v_cmpx_gt_u32_e32 48, v0
	s_cbranch_execz .LBB311_33
; %bb.32:
	ds_load_2addr_b32 v[2:3], v1 offset1:48
	s_waitcnt lgkmcnt(0)
	v_add_f32_e32 v2, v3, v2
	ds_store_b32 v1, v2
.LBB311_33:
	s_or_b32 exec_lo, exec_lo, s1
	s_delay_alu instid0(SALU_CYCLE_1)
	s_mov_b32 s1, exec_lo
	s_waitcnt lgkmcnt(0)
	buffer_gl0_inv
                                        ; implicit-def: $vgpr2
	v_cmpx_gt_u32_e32 24, v0
; %bb.34:
	v_add_nc_u32_e32 v2, 24, v0
	s_or_b32 s0, s0, exec_lo
                                        ; implicit-def: $vgpr6
; %bb.35:
	s_or_b32 exec_lo, exec_lo, s1
	v_mov_b32_e32 v3, v1
.LBB311_36:
	s_and_saveexec_b32 s1, s0
	s_cbranch_execz .LBB311_38
; %bb.37:
	v_lshlrev_b32_e32 v1, 2, v2
	ds_load_b32 v2, v3
	ds_load_b32 v1, v1
	s_waitcnt lgkmcnt(0)
	v_add_f32_e32 v6, v2, v1
.LBB311_38:
	s_or_b32 exec_lo, exec_lo, s1
	s_delay_alu instid0(SALU_CYCLE_1)
	s_mov_b32 s0, exec_lo
	v_cmpx_gt_u32_e32 24, v0
	s_cbranch_execz .LBB311_42
; %bb.39:
	v_cmp_eq_f32_e64 s0, s8, 0
	v_mul_f32_e32 v1, s12, v6
	s_delay_alu instid0(VALU_DEP_2)
	s_and_b32 vcc_lo, exec_lo, s0
	s_mov_b32 s0, 0
	s_cbranch_vccz .LBB311_43
; %bb.40:
	s_delay_alu instid0(VALU_DEP_1) | instskip(SKIP_1) | instid1(VALU_DEP_1)
	v_mad_u64_u32 v[2:3], null, s10, 24, v[0:1]
	v_mov_b32_e32 v3, 0
	v_lshlrev_b64 v[2:3], 2, v[2:3]
	s_delay_alu instid0(VALU_DEP_1) | instskip(NEXT) | instid1(VALU_DEP_2)
	v_add_co_u32 v2, vcc_lo, s4, v2
	v_add_co_ci_u32_e32 v3, vcc_lo, s5, v3, vcc_lo
	global_store_b32 v[2:3], v1, off
	s_and_not1_b32 vcc_lo, exec_lo, s0
	s_cbranch_vccnz .LBB311_42
.LBB311_41:
	v_mad_u64_u32 v[2:3], null, s10, 24, v[0:1]
	v_mov_b32_e32 v3, 0
	s_delay_alu instid0(VALU_DEP_1) | instskip(NEXT) | instid1(VALU_DEP_1)
	v_lshlrev_b64 v[2:3], 2, v[2:3]
	v_add_co_u32 v2, vcc_lo, s4, v2
	s_delay_alu instid0(VALU_DEP_2)
	v_add_co_ci_u32_e32 v3, vcc_lo, s5, v3, vcc_lo
	global_load_b32 v0, v[2:3], off
	s_waitcnt vmcnt(0)
	v_fmac_f32_e32 v1, s8, v0
	global_store_b32 v[2:3], v1, off
.LBB311_42:
	s_nop 0
	s_sendmsg sendmsg(MSG_DEALLOC_VGPRS)
	s_endpgm
.LBB311_43:
	s_branch .LBB311_41
	.section	.rodata,"a",@progbits
	.p2align	6, 0x0
	.amdhsa_kernel _ZN9rocsparseL20bsrxmvn_17_32_kernelILj24EfliDF16_DF16_fEEvT2_20rocsparse_direction_NS_24const_host_device_scalarIT0_EES1_PKS1_PKT1_SA_S7_PKT3_PKT4_S5_PT5_21rocsparse_index_base_b
		.amdhsa_group_segment_fixed_size 2304
		.amdhsa_private_segment_fixed_size 0
		.amdhsa_kernarg_size 96
		.amdhsa_user_sgpr_count 15
		.amdhsa_user_sgpr_dispatch_ptr 0
		.amdhsa_user_sgpr_queue_ptr 0
		.amdhsa_user_sgpr_kernarg_segment_ptr 1
		.amdhsa_user_sgpr_dispatch_id 0
		.amdhsa_user_sgpr_private_segment_size 0
		.amdhsa_wavefront_size32 1
		.amdhsa_uses_dynamic_stack 0
		.amdhsa_enable_private_segment 0
		.amdhsa_system_sgpr_workgroup_id_x 1
		.amdhsa_system_sgpr_workgroup_id_y 0
		.amdhsa_system_sgpr_workgroup_id_z 0
		.amdhsa_system_sgpr_workgroup_info 0
		.amdhsa_system_vgpr_workitem_id 0
		.amdhsa_next_free_vgpr 12
		.amdhsa_next_free_sgpr 24
		.amdhsa_reserve_vcc 1
		.amdhsa_float_round_mode_32 0
		.amdhsa_float_round_mode_16_64 0
		.amdhsa_float_denorm_mode_32 3
		.amdhsa_float_denorm_mode_16_64 3
		.amdhsa_dx10_clamp 1
		.amdhsa_ieee_mode 1
		.amdhsa_fp16_overflow 0
		.amdhsa_workgroup_processor_mode 1
		.amdhsa_memory_ordered 1
		.amdhsa_forward_progress 0
		.amdhsa_shared_vgpr_count 0
		.amdhsa_exception_fp_ieee_invalid_op 0
		.amdhsa_exception_fp_denorm_src 0
		.amdhsa_exception_fp_ieee_div_zero 0
		.amdhsa_exception_fp_ieee_overflow 0
		.amdhsa_exception_fp_ieee_underflow 0
		.amdhsa_exception_fp_ieee_inexact 0
		.amdhsa_exception_int_div_zero 0
	.end_amdhsa_kernel
	.section	.text._ZN9rocsparseL20bsrxmvn_17_32_kernelILj24EfliDF16_DF16_fEEvT2_20rocsparse_direction_NS_24const_host_device_scalarIT0_EES1_PKS1_PKT1_SA_S7_PKT3_PKT4_S5_PT5_21rocsparse_index_base_b,"axG",@progbits,_ZN9rocsparseL20bsrxmvn_17_32_kernelILj24EfliDF16_DF16_fEEvT2_20rocsparse_direction_NS_24const_host_device_scalarIT0_EES1_PKS1_PKT1_SA_S7_PKT3_PKT4_S5_PT5_21rocsparse_index_base_b,comdat
.Lfunc_end311:
	.size	_ZN9rocsparseL20bsrxmvn_17_32_kernelILj24EfliDF16_DF16_fEEvT2_20rocsparse_direction_NS_24const_host_device_scalarIT0_EES1_PKS1_PKT1_SA_S7_PKT3_PKT4_S5_PT5_21rocsparse_index_base_b, .Lfunc_end311-_ZN9rocsparseL20bsrxmvn_17_32_kernelILj24EfliDF16_DF16_fEEvT2_20rocsparse_direction_NS_24const_host_device_scalarIT0_EES1_PKS1_PKT1_SA_S7_PKT3_PKT4_S5_PT5_21rocsparse_index_base_b
                                        ; -- End function
	.section	.AMDGPU.csdata,"",@progbits
; Kernel info:
; codeLenInByte = 1592
; NumSgprs: 26
; NumVgprs: 12
; ScratchSize: 0
; MemoryBound: 0
; FloatMode: 240
; IeeeMode: 1
; LDSByteSize: 2304 bytes/workgroup (compile time only)
; SGPRBlocks: 3
; VGPRBlocks: 1
; NumSGPRsForWavesPerEU: 26
; NumVGPRsForWavesPerEU: 12
; Occupancy: 14
; WaveLimiterHint : 1
; COMPUTE_PGM_RSRC2:SCRATCH_EN: 0
; COMPUTE_PGM_RSRC2:USER_SGPR: 15
; COMPUTE_PGM_RSRC2:TRAP_HANDLER: 0
; COMPUTE_PGM_RSRC2:TGID_X_EN: 1
; COMPUTE_PGM_RSRC2:TGID_Y_EN: 0
; COMPUTE_PGM_RSRC2:TGID_Z_EN: 0
; COMPUTE_PGM_RSRC2:TIDIG_COMP_CNT: 0
	.section	.text._ZN9rocsparseL20bsrxmvn_17_32_kernelILj25EfliDF16_DF16_fEEvT2_20rocsparse_direction_NS_24const_host_device_scalarIT0_EES1_PKS1_PKT1_SA_S7_PKT3_PKT4_S5_PT5_21rocsparse_index_base_b,"axG",@progbits,_ZN9rocsparseL20bsrxmvn_17_32_kernelILj25EfliDF16_DF16_fEEvT2_20rocsparse_direction_NS_24const_host_device_scalarIT0_EES1_PKS1_PKT1_SA_S7_PKT3_PKT4_S5_PT5_21rocsparse_index_base_b,comdat
	.globl	_ZN9rocsparseL20bsrxmvn_17_32_kernelILj25EfliDF16_DF16_fEEvT2_20rocsparse_direction_NS_24const_host_device_scalarIT0_EES1_PKS1_PKT1_SA_S7_PKT3_PKT4_S5_PT5_21rocsparse_index_base_b ; -- Begin function _ZN9rocsparseL20bsrxmvn_17_32_kernelILj25EfliDF16_DF16_fEEvT2_20rocsparse_direction_NS_24const_host_device_scalarIT0_EES1_PKS1_PKT1_SA_S7_PKT3_PKT4_S5_PT5_21rocsparse_index_base_b
	.p2align	8
	.type	_ZN9rocsparseL20bsrxmvn_17_32_kernelILj25EfliDF16_DF16_fEEvT2_20rocsparse_direction_NS_24const_host_device_scalarIT0_EES1_PKS1_PKT1_SA_S7_PKT3_PKT4_S5_PT5_21rocsparse_index_base_b,@function
_ZN9rocsparseL20bsrxmvn_17_32_kernelILj25EfliDF16_DF16_fEEvT2_20rocsparse_direction_NS_24const_host_device_scalarIT0_EES1_PKS1_PKT1_SA_S7_PKT3_PKT4_S5_PT5_21rocsparse_index_base_b: ; @_ZN9rocsparseL20bsrxmvn_17_32_kernelILj25EfliDF16_DF16_fEEvT2_20rocsparse_direction_NS_24const_host_device_scalarIT0_EES1_PKS1_PKT1_SA_S7_PKT3_PKT4_S5_PT5_21rocsparse_index_base_b
; %bb.0:
	s_mov_b32 s10, s15
	s_clause 0x2
	s_load_b64 s[14:15], s[0:1], 0x58
	s_load_b64 s[12:13], s[0:1], 0x8
	;; [unrolled: 1-line block ×3, first 2 shown]
	s_waitcnt lgkmcnt(0)
	s_bitcmp1_b32 s15, 0
	s_cselect_b32 s2, -1, 0
	s_delay_alu instid0(SALU_CYCLE_1)
	s_and_b32 vcc_lo, exec_lo, s2
	s_xor_b32 s2, s2, -1
	s_cbranch_vccnz .LBB312_2
; %bb.1:
	s_load_b32 s12, s[12:13], 0x0
.LBB312_2:
	s_and_not1_b32 vcc_lo, exec_lo, s2
	s_cbranch_vccnz .LBB312_4
; %bb.3:
	s_load_b32 s8, s[8:9], 0x0
.LBB312_4:
	s_waitcnt lgkmcnt(0)
	v_cmp_neq_f32_e64 s2, s12, 0
	v_cmp_neq_f32_e64 s3, s8, 1.0
	s_delay_alu instid0(VALU_DEP_1) | instskip(NEXT) | instid1(SALU_CYCLE_1)
	s_or_b32 s2, s2, s3
	s_and_not1_b32 vcc_lo, exec_lo, s2
	s_cbranch_vccnz .LBB312_42
; %bb.5:
	s_clause 0x1
	s_load_b128 s[4:7], s[0:1], 0x18
	s_load_b64 s[16:17], s[0:1], 0x28
	s_waitcnt lgkmcnt(0)
	s_cmp_eq_u64 s[4:5], 0
	s_cbranch_scc1 .LBB312_7
; %bb.6:
	s_ashr_i32 s11, s10, 31
	s_delay_alu instid0(SALU_CYCLE_1) | instskip(NEXT) | instid1(SALU_CYCLE_1)
	s_lshl_b64 s[2:3], s[10:11], 2
	s_add_u32 s2, s4, s2
	s_addc_u32 s3, s5, s3
	s_load_b32 s2, s[2:3], 0x0
	s_waitcnt lgkmcnt(0)
	s_sub_i32 s10, s2, s14
.LBB312_7:
	s_load_b32 s3, s[0:1], 0x4
	v_mul_u32_u24_e32 v1, 0xa3e, v0
	v_mov_b32_e32 v6, 0
	s_delay_alu instid0(VALU_DEP_2) | instskip(NEXT) | instid1(VALU_DEP_1)
	v_lshrrev_b32_e32 v1, 16, v1
	v_mul_lo_u16 v2, v1, 25
	s_delay_alu instid0(VALU_DEP_1)
	v_sub_nc_u16 v7, v0, v2
	s_waitcnt lgkmcnt(0)
	s_cmp_eq_u32 s3, 1
	s_cselect_b32 s2, -1, 0
	s_cmp_lg_u32 s3, 1
	s_cselect_b32 s3, -1, 0
	s_ashr_i32 s11, s10, 31
	s_delay_alu instid0(SALU_CYCLE_1) | instskip(NEXT) | instid1(SALU_CYCLE_1)
	s_lshl_b64 s[4:5], s[10:11], 3
	s_add_u32 s6, s6, s4
	s_addc_u32 s7, s7, s5
	s_add_u32 s9, s6, 8
	s_addc_u32 s11, s7, 0
	;; [unrolled: 2-line block ×3, first 2 shown]
	s_cmp_eq_u64 s[16:17], 0
	s_cselect_b32 s5, s11, s5
	s_cselect_b32 s4, s9, s4
	s_load_b64 s[18:19], s[6:7], 0x0
	s_load_b64 s[6:7], s[4:5], 0x0
	;; [unrolled: 1-line block ×3, first 2 shown]
	s_waitcnt lgkmcnt(0)
	v_cmp_ge_i64_e64 s9, s[18:19], s[6:7]
	s_delay_alu instid0(VALU_DEP_1)
	s_and_b32 vcc_lo, exec_lo, s9
	s_cbranch_vccnz .LBB312_12
; %bb.8:
	v_and_b32_e32 v1, 0xffff, v1
	v_cmp_lt_u32_e32 vcc_lo, 0x270, v0
	s_clause 0x1
	s_load_b128 s[20:23], s[0:1], 0x30
	s_load_b64 s[0:1], s[0:1], 0x40
	s_sub_u32 s6, s6, s14
	s_subb_u32 s7, s7, 0
	v_subrev_nc_u32_e32 v3, 25, v1
	v_cndmask_b32_e64 v8, 0, 1, vcc_lo
	v_cmp_gt_u32_e32 vcc_lo, 0x271, v0
	v_and_b32_e32 v2, 0xffff, v7
	s_sub_u32 s16, s18, s14
	s_subb_u32 s17, s19, 0
	s_mul_hi_u32 s9, s16, 0x4e2
	v_cndmask_b32_e32 v1, v3, v1, vcc_lo
	s_mul_i32 s11, s17, 0x4e2
	v_lshlrev_b32_e32 v6, 1, v0
	s_add_i32 s9, s9, s11
	s_delay_alu instid0(VALU_DEP_2) | instskip(SKIP_1) | instid1(VALU_DEP_1)
	v_cndmask_b32_e64 v1, v2, v1, s2
	v_add_co_u32 v2, s2, s18, v8
	v_add_co_ci_u32_e64 v3, null, s19, 0, s2
	s_mul_i32 s2, s16, 0x4e2
	s_delay_alu instid0(VALU_DEP_2) | instskip(NEXT) | instid1(VALU_DEP_2)
	v_sub_co_u32 v2, vcc_lo, v2, s14
	v_subrev_co_ci_u32_e32 v3, vcc_lo, 0, v3, vcc_lo
	s_waitcnt lgkmcnt(0)
	s_add_u32 s2, s22, s2
	s_addc_u32 s9, s23, s9
	s_delay_alu instid0(VALU_DEP_1) | instskip(SKIP_1) | instid1(VALU_DEP_1)
	v_lshlrev_b64 v[4:5], 2, v[2:3]
	v_add_co_u32 v2, s2, s2, v6
	v_add_co_ci_u32_e64 v3, null, s9, 0, s2
	v_mov_b32_e32 v6, 0
	s_delay_alu instid0(VALU_DEP_4)
	v_add_co_u32 v4, vcc_lo, s20, v4
	v_add_co_ci_u32_e32 v5, vcc_lo, s21, v5, vcc_lo
	s_set_inst_prefetch_distance 0x1
	s_branch .LBB312_10
	.p2align	6
.LBB312_9:                              ;   in Loop: Header=BB312_10 Depth=1
	s_or_b32 exec_lo, exec_lo, s2
	s_add_u32 s16, s16, 1
	s_addc_u32 s17, s17, 0
	v_add_co_u32 v4, vcc_lo, v4, 4
	v_cmp_lt_i64_e64 s2, s[16:17], s[6:7]
	v_add_co_ci_u32_e32 v5, vcc_lo, 0, v5, vcc_lo
	s_delay_alu instid0(VALU_DEP_2)
	s_and_b32 vcc_lo, exec_lo, s2
	s_cbranch_vccz .LBB312_12
.LBB312_10:                             ; =>This Inner Loop Header: Depth=1
	v_add_co_u32 v9, s2, v8, s16
	s_delay_alu instid0(VALU_DEP_1) | instskip(SKIP_1) | instid1(VALU_DEP_1)
	v_add_co_ci_u32_e64 v10, null, 0, s17, s2
	s_mov_b32 s2, exec_lo
	v_cmpx_gt_i64_e64 s[6:7], v[9:10]
	s_cbranch_execz .LBB312_9
; %bb.11:                               ;   in Loop: Header=BB312_10 Depth=1
	global_load_b32 v9, v[4:5], off
	s_waitcnt vmcnt(0)
	v_subrev_nc_u32_e32 v11, s14, v9
	s_delay_alu instid0(VALU_DEP_1) | instskip(NEXT) | instid1(VALU_DEP_1)
	v_mad_u64_u32 v[9:10], null, v11, 25, v[1:2]
	v_ashrrev_i32_e32 v10, 31, v9
	s_delay_alu instid0(VALU_DEP_1) | instskip(NEXT) | instid1(VALU_DEP_1)
	v_lshlrev_b64 v[9:10], 1, v[9:10]
	v_add_co_u32 v9, vcc_lo, s0, v9
	s_delay_alu instid0(VALU_DEP_2)
	v_add_co_ci_u32_e32 v10, vcc_lo, s1, v10, vcc_lo
	global_load_u16 v11, v[2:3], off
	global_load_u16 v9, v[9:10], off
	v_add_co_u32 v2, vcc_lo, 0x4e2, v2
	v_add_co_ci_u32_e32 v3, vcc_lo, 0, v3, vcc_lo
	s_waitcnt vmcnt(0)
	v_fma_mix_f32 v6, v11, v9, v6 op_sel_hi:[1,1,0]
	s_branch .LBB312_9
.LBB312_12:
	s_set_inst_prefetch_distance 0x2
	v_lshlrev_b32_e32 v1, 2, v0
	s_and_b32 vcc_lo, exec_lo, s3
	ds_store_b32 v1, v6
	s_waitcnt lgkmcnt(0)
	s_barrier
	buffer_gl0_inv
	s_cbranch_vccz .LBB312_24
; %bb.13:
	s_mov_b32 s0, exec_lo
	v_cmpx_gt_u16_e32 9, v7
	s_cbranch_execz .LBB312_15
; %bb.14:
	ds_load_2addr_b32 v[2:3], v1 offset1:16
	s_waitcnt lgkmcnt(0)
	v_add_f32_e32 v2, v3, v2
	ds_store_b32 v1, v2
.LBB312_15:
	s_or_b32 exec_lo, exec_lo, s0
	s_delay_alu instid0(SALU_CYCLE_1)
	s_mov_b32 s0, exec_lo
	s_waitcnt lgkmcnt(0)
	s_barrier
	buffer_gl0_inv
	v_cmpx_gt_u16_e32 8, v7
	s_cbranch_execz .LBB312_17
; %bb.16:
	ds_load_2addr_b32 v[2:3], v1 offset1:8
	s_waitcnt lgkmcnt(0)
	v_add_f32_e32 v2, v3, v2
	ds_store_b32 v1, v2
.LBB312_17:
	s_or_b32 exec_lo, exec_lo, s0
	s_delay_alu instid0(SALU_CYCLE_1)
	s_mov_b32 s0, exec_lo
	s_waitcnt lgkmcnt(0)
	s_barrier
	buffer_gl0_inv
	;; [unrolled: 14-line block ×3, first 2 shown]
	v_cmpx_gt_u16_e32 2, v7
	s_cbranch_execz .LBB312_21
; %bb.20:
	ds_load_2addr_b32 v[2:3], v1 offset1:2
	s_waitcnt lgkmcnt(0)
	v_add_f32_e32 v2, v3, v2
	ds_store_b32 v1, v2
.LBB312_21:
	s_or_b32 exec_lo, exec_lo, s0
	s_mov_b32 s1, 0
	s_mov_b32 s0, 0
	s_mov_b32 s2, exec_lo
	s_waitcnt lgkmcnt(0)
	s_barrier
	buffer_gl0_inv
                                        ; implicit-def: $vgpr2
                                        ; implicit-def: $vgpr3
	v_cmpx_gt_u32_e32 25, v0
	s_xor_b32 s2, exec_lo, s2
; %bb.22:
	v_mad_u32_u24 v2, v0, 25, 1
	v_mad_u32_u24 v3, 0x60, v0, v1
	s_mov_b32 s0, exec_lo
; %bb.23:
	s_or_b32 exec_lo, exec_lo, s2
	s_delay_alu instid0(SALU_CYCLE_1)
	s_and_b32 vcc_lo, exec_lo, s1
	s_cbranch_vccnz .LBB312_25
	s_branch .LBB312_36
.LBB312_24:
	s_mov_b32 s0, 0
                                        ; implicit-def: $vgpr2
                                        ; implicit-def: $vgpr3
	s_cbranch_execz .LBB312_36
.LBB312_25:
	s_mov_b32 s1, exec_lo
	v_cmpx_gt_u32_e32 0xe1, v0
	s_cbranch_execz .LBB312_27
; %bb.26:
	ds_load_b32 v2, v1 offset:1600
	ds_load_b32 v3, v1
	s_waitcnt lgkmcnt(0)
	v_add_f32_e32 v2, v2, v3
	ds_store_b32 v1, v2
.LBB312_27:
	s_or_b32 exec_lo, exec_lo, s1
	s_delay_alu instid0(SALU_CYCLE_1)
	s_mov_b32 s1, exec_lo
	s_waitcnt lgkmcnt(0)
	s_barrier
	buffer_gl0_inv
	v_cmpx_gt_u32_e32 0xc8, v0
	s_cbranch_execz .LBB312_29
; %bb.28:
	ds_load_2addr_b32 v[2:3], v1 offset1:200
	s_waitcnt lgkmcnt(0)
	v_add_f32_e32 v2, v3, v2
	ds_store_b32 v1, v2
.LBB312_29:
	s_or_b32 exec_lo, exec_lo, s1
	s_delay_alu instid0(SALU_CYCLE_1)
	s_mov_b32 s1, exec_lo
	s_waitcnt lgkmcnt(0)
	s_barrier
	buffer_gl0_inv
	v_cmpx_gt_u32_e32 0x64, v0
	s_cbranch_execz .LBB312_31
; %bb.30:
	ds_load_2addr_b32 v[2:3], v1 offset1:100
	s_waitcnt lgkmcnt(0)
	v_add_f32_e32 v2, v3, v2
	ds_store_b32 v1, v2
.LBB312_31:
	s_or_b32 exec_lo, exec_lo, s1
	s_delay_alu instid0(SALU_CYCLE_1)
	s_mov_b32 s1, exec_lo
	s_waitcnt lgkmcnt(0)
	s_barrier
	buffer_gl0_inv
	v_cmpx_gt_u32_e32 50, v0
	s_cbranch_execz .LBB312_33
; %bb.32:
	ds_load_2addr_b32 v[2:3], v1 offset1:50
	s_waitcnt lgkmcnt(0)
	v_add_f32_e32 v2, v3, v2
	ds_store_b32 v1, v2
.LBB312_33:
	s_or_b32 exec_lo, exec_lo, s1
	s_delay_alu instid0(SALU_CYCLE_1)
	s_mov_b32 s1, exec_lo
	s_waitcnt lgkmcnt(0)
	buffer_gl0_inv
                                        ; implicit-def: $vgpr2
	v_cmpx_gt_u32_e32 25, v0
; %bb.34:
	v_add_nc_u32_e32 v2, 25, v0
	s_or_b32 s0, s0, exec_lo
                                        ; implicit-def: $vgpr6
; %bb.35:
	s_or_b32 exec_lo, exec_lo, s1
	v_mov_b32_e32 v3, v1
.LBB312_36:
	s_and_saveexec_b32 s1, s0
	s_cbranch_execz .LBB312_38
; %bb.37:
	v_lshlrev_b32_e32 v1, 2, v2
	ds_load_b32 v2, v3
	ds_load_b32 v1, v1
	s_waitcnt lgkmcnt(0)
	v_add_f32_e32 v6, v2, v1
.LBB312_38:
	s_or_b32 exec_lo, exec_lo, s1
	s_delay_alu instid0(SALU_CYCLE_1)
	s_mov_b32 s0, exec_lo
	v_cmpx_gt_u32_e32 25, v0
	s_cbranch_execz .LBB312_42
; %bb.39:
	v_cmp_eq_f32_e64 s0, s8, 0
	v_mul_f32_e32 v1, s12, v6
	s_delay_alu instid0(VALU_DEP_2)
	s_and_b32 vcc_lo, exec_lo, s0
	s_mov_b32 s0, 0
	s_cbranch_vccz .LBB312_43
; %bb.40:
	s_delay_alu instid0(VALU_DEP_1) | instskip(SKIP_1) | instid1(VALU_DEP_1)
	v_mad_u64_u32 v[2:3], null, s10, 25, v[0:1]
	v_mov_b32_e32 v3, 0
	v_lshlrev_b64 v[2:3], 2, v[2:3]
	s_delay_alu instid0(VALU_DEP_1) | instskip(NEXT) | instid1(VALU_DEP_2)
	v_add_co_u32 v2, vcc_lo, s4, v2
	v_add_co_ci_u32_e32 v3, vcc_lo, s5, v3, vcc_lo
	global_store_b32 v[2:3], v1, off
	s_and_not1_b32 vcc_lo, exec_lo, s0
	s_cbranch_vccnz .LBB312_42
.LBB312_41:
	v_mad_u64_u32 v[2:3], null, s10, 25, v[0:1]
	v_mov_b32_e32 v3, 0
	s_delay_alu instid0(VALU_DEP_1) | instskip(NEXT) | instid1(VALU_DEP_1)
	v_lshlrev_b64 v[2:3], 2, v[2:3]
	v_add_co_u32 v2, vcc_lo, s4, v2
	s_delay_alu instid0(VALU_DEP_2)
	v_add_co_ci_u32_e32 v3, vcc_lo, s5, v3, vcc_lo
	global_load_b32 v0, v[2:3], off
	s_waitcnt vmcnt(0)
	v_fmac_f32_e32 v1, s8, v0
	global_store_b32 v[2:3], v1, off
.LBB312_42:
	s_nop 0
	s_sendmsg sendmsg(MSG_DEALLOC_VGPRS)
	s_endpgm
.LBB312_43:
	s_branch .LBB312_41
	.section	.rodata,"a",@progbits
	.p2align	6, 0x0
	.amdhsa_kernel _ZN9rocsparseL20bsrxmvn_17_32_kernelILj25EfliDF16_DF16_fEEvT2_20rocsparse_direction_NS_24const_host_device_scalarIT0_EES1_PKS1_PKT1_SA_S7_PKT3_PKT4_S5_PT5_21rocsparse_index_base_b
		.amdhsa_group_segment_fixed_size 2500
		.amdhsa_private_segment_fixed_size 0
		.amdhsa_kernarg_size 96
		.amdhsa_user_sgpr_count 15
		.amdhsa_user_sgpr_dispatch_ptr 0
		.amdhsa_user_sgpr_queue_ptr 0
		.amdhsa_user_sgpr_kernarg_segment_ptr 1
		.amdhsa_user_sgpr_dispatch_id 0
		.amdhsa_user_sgpr_private_segment_size 0
		.amdhsa_wavefront_size32 1
		.amdhsa_uses_dynamic_stack 0
		.amdhsa_enable_private_segment 0
		.amdhsa_system_sgpr_workgroup_id_x 1
		.amdhsa_system_sgpr_workgroup_id_y 0
		.amdhsa_system_sgpr_workgroup_id_z 0
		.amdhsa_system_sgpr_workgroup_info 0
		.amdhsa_system_vgpr_workitem_id 0
		.amdhsa_next_free_vgpr 12
		.amdhsa_next_free_sgpr 24
		.amdhsa_reserve_vcc 1
		.amdhsa_float_round_mode_32 0
		.amdhsa_float_round_mode_16_64 0
		.amdhsa_float_denorm_mode_32 3
		.amdhsa_float_denorm_mode_16_64 3
		.amdhsa_dx10_clamp 1
		.amdhsa_ieee_mode 1
		.amdhsa_fp16_overflow 0
		.amdhsa_workgroup_processor_mode 1
		.amdhsa_memory_ordered 1
		.amdhsa_forward_progress 0
		.amdhsa_shared_vgpr_count 0
		.amdhsa_exception_fp_ieee_invalid_op 0
		.amdhsa_exception_fp_denorm_src 0
		.amdhsa_exception_fp_ieee_div_zero 0
		.amdhsa_exception_fp_ieee_overflow 0
		.amdhsa_exception_fp_ieee_underflow 0
		.amdhsa_exception_fp_ieee_inexact 0
		.amdhsa_exception_int_div_zero 0
	.end_amdhsa_kernel
	.section	.text._ZN9rocsparseL20bsrxmvn_17_32_kernelILj25EfliDF16_DF16_fEEvT2_20rocsparse_direction_NS_24const_host_device_scalarIT0_EES1_PKS1_PKT1_SA_S7_PKT3_PKT4_S5_PT5_21rocsparse_index_base_b,"axG",@progbits,_ZN9rocsparseL20bsrxmvn_17_32_kernelILj25EfliDF16_DF16_fEEvT2_20rocsparse_direction_NS_24const_host_device_scalarIT0_EES1_PKS1_PKT1_SA_S7_PKT3_PKT4_S5_PT5_21rocsparse_index_base_b,comdat
.Lfunc_end312:
	.size	_ZN9rocsparseL20bsrxmvn_17_32_kernelILj25EfliDF16_DF16_fEEvT2_20rocsparse_direction_NS_24const_host_device_scalarIT0_EES1_PKS1_PKT1_SA_S7_PKT3_PKT4_S5_PT5_21rocsparse_index_base_b, .Lfunc_end312-_ZN9rocsparseL20bsrxmvn_17_32_kernelILj25EfliDF16_DF16_fEEvT2_20rocsparse_direction_NS_24const_host_device_scalarIT0_EES1_PKS1_PKT1_SA_S7_PKT3_PKT4_S5_PT5_21rocsparse_index_base_b
                                        ; -- End function
	.section	.AMDGPU.csdata,"",@progbits
; Kernel info:
; codeLenInByte = 1616
; NumSgprs: 26
; NumVgprs: 12
; ScratchSize: 0
; MemoryBound: 0
; FloatMode: 240
; IeeeMode: 1
; LDSByteSize: 2500 bytes/workgroup (compile time only)
; SGPRBlocks: 3
; VGPRBlocks: 1
; NumSGPRsForWavesPerEU: 26
; NumVGPRsForWavesPerEU: 12
; Occupancy: 15
; WaveLimiterHint : 1
; COMPUTE_PGM_RSRC2:SCRATCH_EN: 0
; COMPUTE_PGM_RSRC2:USER_SGPR: 15
; COMPUTE_PGM_RSRC2:TRAP_HANDLER: 0
; COMPUTE_PGM_RSRC2:TGID_X_EN: 1
; COMPUTE_PGM_RSRC2:TGID_Y_EN: 0
; COMPUTE_PGM_RSRC2:TGID_Z_EN: 0
; COMPUTE_PGM_RSRC2:TIDIG_COMP_CNT: 0
	.section	.text._ZN9rocsparseL20bsrxmvn_17_32_kernelILj26EfliDF16_DF16_fEEvT2_20rocsparse_direction_NS_24const_host_device_scalarIT0_EES1_PKS1_PKT1_SA_S7_PKT3_PKT4_S5_PT5_21rocsparse_index_base_b,"axG",@progbits,_ZN9rocsparseL20bsrxmvn_17_32_kernelILj26EfliDF16_DF16_fEEvT2_20rocsparse_direction_NS_24const_host_device_scalarIT0_EES1_PKS1_PKT1_SA_S7_PKT3_PKT4_S5_PT5_21rocsparse_index_base_b,comdat
	.globl	_ZN9rocsparseL20bsrxmvn_17_32_kernelILj26EfliDF16_DF16_fEEvT2_20rocsparse_direction_NS_24const_host_device_scalarIT0_EES1_PKS1_PKT1_SA_S7_PKT3_PKT4_S5_PT5_21rocsparse_index_base_b ; -- Begin function _ZN9rocsparseL20bsrxmvn_17_32_kernelILj26EfliDF16_DF16_fEEvT2_20rocsparse_direction_NS_24const_host_device_scalarIT0_EES1_PKS1_PKT1_SA_S7_PKT3_PKT4_S5_PT5_21rocsparse_index_base_b
	.p2align	8
	.type	_ZN9rocsparseL20bsrxmvn_17_32_kernelILj26EfliDF16_DF16_fEEvT2_20rocsparse_direction_NS_24const_host_device_scalarIT0_EES1_PKS1_PKT1_SA_S7_PKT3_PKT4_S5_PT5_21rocsparse_index_base_b,@function
_ZN9rocsparseL20bsrxmvn_17_32_kernelILj26EfliDF16_DF16_fEEvT2_20rocsparse_direction_NS_24const_host_device_scalarIT0_EES1_PKS1_PKT1_SA_S7_PKT3_PKT4_S5_PT5_21rocsparse_index_base_b: ; @_ZN9rocsparseL20bsrxmvn_17_32_kernelILj26EfliDF16_DF16_fEEvT2_20rocsparse_direction_NS_24const_host_device_scalarIT0_EES1_PKS1_PKT1_SA_S7_PKT3_PKT4_S5_PT5_21rocsparse_index_base_b
; %bb.0:
	s_mov_b32 s10, s15
	s_clause 0x2
	s_load_b64 s[14:15], s[0:1], 0x58
	s_load_b64 s[12:13], s[0:1], 0x8
	;; [unrolled: 1-line block ×3, first 2 shown]
	s_waitcnt lgkmcnt(0)
	s_bitcmp1_b32 s15, 0
	s_cselect_b32 s2, -1, 0
	s_delay_alu instid0(SALU_CYCLE_1)
	s_and_b32 vcc_lo, exec_lo, s2
	s_xor_b32 s2, s2, -1
	s_cbranch_vccnz .LBB313_2
; %bb.1:
	s_load_b32 s12, s[12:13], 0x0
.LBB313_2:
	s_and_not1_b32 vcc_lo, exec_lo, s2
	s_cbranch_vccnz .LBB313_4
; %bb.3:
	s_load_b32 s8, s[8:9], 0x0
.LBB313_4:
	s_waitcnt lgkmcnt(0)
	v_cmp_neq_f32_e64 s2, s12, 0
	v_cmp_neq_f32_e64 s3, s8, 1.0
	s_delay_alu instid0(VALU_DEP_1) | instskip(NEXT) | instid1(SALU_CYCLE_1)
	s_or_b32 s2, s2, s3
	s_and_not1_b32 vcc_lo, exec_lo, s2
	s_cbranch_vccnz .LBB313_42
; %bb.5:
	s_clause 0x1
	s_load_b128 s[4:7], s[0:1], 0x18
	s_load_b64 s[16:17], s[0:1], 0x28
	s_waitcnt lgkmcnt(0)
	s_cmp_eq_u64 s[4:5], 0
	s_cbranch_scc1 .LBB313_7
; %bb.6:
	s_ashr_i32 s11, s10, 31
	s_delay_alu instid0(SALU_CYCLE_1) | instskip(NEXT) | instid1(SALU_CYCLE_1)
	s_lshl_b64 s[2:3], s[10:11], 2
	s_add_u32 s2, s4, s2
	s_addc_u32 s3, s5, s3
	s_load_b32 s2, s[2:3], 0x0
	s_waitcnt lgkmcnt(0)
	s_sub_i32 s10, s2, s14
.LBB313_7:
	s_load_b32 s3, s[0:1], 0x4
	v_mul_u32_u24_e32 v1, 0x9d9, v0
	v_mov_b32_e32 v6, 0
	s_delay_alu instid0(VALU_DEP_2) | instskip(NEXT) | instid1(VALU_DEP_1)
	v_lshrrev_b32_e32 v1, 16, v1
	v_mul_lo_u16 v2, v1, 26
	s_delay_alu instid0(VALU_DEP_1)
	v_sub_nc_u16 v7, v0, v2
	s_waitcnt lgkmcnt(0)
	s_cmp_eq_u32 s3, 1
	s_cselect_b32 s2, -1, 0
	s_cmp_lg_u32 s3, 1
	s_cselect_b32 s3, -1, 0
	s_ashr_i32 s11, s10, 31
	s_delay_alu instid0(SALU_CYCLE_1) | instskip(NEXT) | instid1(SALU_CYCLE_1)
	s_lshl_b64 s[4:5], s[10:11], 3
	s_add_u32 s6, s6, s4
	s_addc_u32 s7, s7, s5
	s_add_u32 s9, s6, 8
	s_addc_u32 s11, s7, 0
	s_add_u32 s4, s16, s4
	s_addc_u32 s5, s17, s5
	s_cmp_eq_u64 s[16:17], 0
	s_cselect_b32 s5, s11, s5
	s_cselect_b32 s4, s9, s4
	s_load_b64 s[18:19], s[6:7], 0x0
	s_load_b64 s[6:7], s[4:5], 0x0
	;; [unrolled: 1-line block ×3, first 2 shown]
	s_waitcnt lgkmcnt(0)
	v_cmp_ge_i64_e64 s9, s[18:19], s[6:7]
	s_delay_alu instid0(VALU_DEP_1)
	s_and_b32 vcc_lo, exec_lo, s9
	s_cbranch_vccnz .LBB313_12
; %bb.8:
	v_and_b32_e32 v1, 0xffff, v1
	v_cmp_lt_u32_e32 vcc_lo, 0x2a3, v0
	s_clause 0x1
	s_load_b128 s[20:23], s[0:1], 0x30
	s_load_b64 s[0:1], s[0:1], 0x40
	s_sub_u32 s6, s6, s14
	s_subb_u32 s7, s7, 0
	v_subrev_nc_u32_e32 v3, 26, v1
	v_cndmask_b32_e64 v8, 0, 1, vcc_lo
	v_cmp_gt_u32_e32 vcc_lo, 0x2a4, v0
	v_and_b32_e32 v2, 0xffff, v7
	s_sub_u32 s16, s18, s14
	s_subb_u32 s17, s19, 0
	s_mul_hi_u32 s9, s16, 0x548
	v_cndmask_b32_e32 v1, v3, v1, vcc_lo
	s_mul_i32 s11, s17, 0x548
	v_lshlrev_b32_e32 v6, 1, v0
	s_add_i32 s9, s9, s11
	s_delay_alu instid0(VALU_DEP_2) | instskip(SKIP_1) | instid1(VALU_DEP_1)
	v_cndmask_b32_e64 v1, v2, v1, s2
	v_add_co_u32 v2, s2, s18, v8
	v_add_co_ci_u32_e64 v3, null, s19, 0, s2
	s_mul_i32 s2, s16, 0x548
	s_delay_alu instid0(VALU_DEP_2) | instskip(NEXT) | instid1(VALU_DEP_2)
	v_sub_co_u32 v2, vcc_lo, v2, s14
	v_subrev_co_ci_u32_e32 v3, vcc_lo, 0, v3, vcc_lo
	s_waitcnt lgkmcnt(0)
	s_add_u32 s2, s22, s2
	s_addc_u32 s9, s23, s9
	s_delay_alu instid0(VALU_DEP_1) | instskip(SKIP_1) | instid1(VALU_DEP_1)
	v_lshlrev_b64 v[4:5], 2, v[2:3]
	v_add_co_u32 v2, s2, s2, v6
	v_add_co_ci_u32_e64 v3, null, s9, 0, s2
	v_mov_b32_e32 v6, 0
	s_delay_alu instid0(VALU_DEP_4)
	v_add_co_u32 v4, vcc_lo, s20, v4
	v_add_co_ci_u32_e32 v5, vcc_lo, s21, v5, vcc_lo
	s_set_inst_prefetch_distance 0x1
	s_branch .LBB313_10
	.p2align	6
.LBB313_9:                              ;   in Loop: Header=BB313_10 Depth=1
	s_or_b32 exec_lo, exec_lo, s2
	s_add_u32 s16, s16, 1
	s_addc_u32 s17, s17, 0
	v_add_co_u32 v4, vcc_lo, v4, 4
	v_cmp_lt_i64_e64 s2, s[16:17], s[6:7]
	v_add_co_ci_u32_e32 v5, vcc_lo, 0, v5, vcc_lo
	s_delay_alu instid0(VALU_DEP_2)
	s_and_b32 vcc_lo, exec_lo, s2
	s_cbranch_vccz .LBB313_12
.LBB313_10:                             ; =>This Inner Loop Header: Depth=1
	v_add_co_u32 v9, s2, v8, s16
	s_delay_alu instid0(VALU_DEP_1) | instskip(SKIP_1) | instid1(VALU_DEP_1)
	v_add_co_ci_u32_e64 v10, null, 0, s17, s2
	s_mov_b32 s2, exec_lo
	v_cmpx_gt_i64_e64 s[6:7], v[9:10]
	s_cbranch_execz .LBB313_9
; %bb.11:                               ;   in Loop: Header=BB313_10 Depth=1
	global_load_b32 v9, v[4:5], off
	s_waitcnt vmcnt(0)
	v_subrev_nc_u32_e32 v11, s14, v9
	s_delay_alu instid0(VALU_DEP_1) | instskip(NEXT) | instid1(VALU_DEP_1)
	v_mad_u64_u32 v[9:10], null, v11, 26, v[1:2]
	v_ashrrev_i32_e32 v10, 31, v9
	s_delay_alu instid0(VALU_DEP_1) | instskip(NEXT) | instid1(VALU_DEP_1)
	v_lshlrev_b64 v[9:10], 1, v[9:10]
	v_add_co_u32 v9, vcc_lo, s0, v9
	s_delay_alu instid0(VALU_DEP_2)
	v_add_co_ci_u32_e32 v10, vcc_lo, s1, v10, vcc_lo
	global_load_u16 v11, v[2:3], off
	global_load_u16 v9, v[9:10], off
	v_add_co_u32 v2, vcc_lo, 0x548, v2
	v_add_co_ci_u32_e32 v3, vcc_lo, 0, v3, vcc_lo
	s_waitcnt vmcnt(0)
	v_fma_mix_f32 v6, v11, v9, v6 op_sel_hi:[1,1,0]
	s_branch .LBB313_9
.LBB313_12:
	s_set_inst_prefetch_distance 0x2
	v_lshlrev_b32_e32 v1, 2, v0
	s_and_b32 vcc_lo, exec_lo, s3
	ds_store_b32 v1, v6
	s_waitcnt lgkmcnt(0)
	s_barrier
	buffer_gl0_inv
	s_cbranch_vccz .LBB313_24
; %bb.13:
	s_mov_b32 s0, exec_lo
	v_cmpx_gt_u16_e32 10, v7
	s_cbranch_execz .LBB313_15
; %bb.14:
	ds_load_2addr_b32 v[2:3], v1 offset1:16
	s_waitcnt lgkmcnt(0)
	v_add_f32_e32 v2, v3, v2
	ds_store_b32 v1, v2
.LBB313_15:
	s_or_b32 exec_lo, exec_lo, s0
	s_delay_alu instid0(SALU_CYCLE_1)
	s_mov_b32 s0, exec_lo
	s_waitcnt lgkmcnt(0)
	s_barrier
	buffer_gl0_inv
	v_cmpx_gt_u16_e32 8, v7
	s_cbranch_execz .LBB313_17
; %bb.16:
	ds_load_2addr_b32 v[2:3], v1 offset1:8
	s_waitcnt lgkmcnt(0)
	v_add_f32_e32 v2, v3, v2
	ds_store_b32 v1, v2
.LBB313_17:
	s_or_b32 exec_lo, exec_lo, s0
	s_delay_alu instid0(SALU_CYCLE_1)
	s_mov_b32 s0, exec_lo
	s_waitcnt lgkmcnt(0)
	s_barrier
	buffer_gl0_inv
	;; [unrolled: 14-line block ×3, first 2 shown]
	v_cmpx_gt_u16_e32 2, v7
	s_cbranch_execz .LBB313_21
; %bb.20:
	ds_load_2addr_b32 v[2:3], v1 offset1:2
	s_waitcnt lgkmcnt(0)
	v_add_f32_e32 v2, v3, v2
	ds_store_b32 v1, v2
.LBB313_21:
	s_or_b32 exec_lo, exec_lo, s0
	s_mov_b32 s1, 0
	s_mov_b32 s0, 0
	s_mov_b32 s2, exec_lo
	s_waitcnt lgkmcnt(0)
	s_barrier
	buffer_gl0_inv
                                        ; implicit-def: $vgpr2
                                        ; implicit-def: $vgpr3
	v_cmpx_gt_u32_e32 26, v0
	s_xor_b32 s2, exec_lo, s2
; %bb.22:
	v_mul_u32_u24_e32 v2, 26, v0
	v_mad_u32_u24 v3, 0x64, v0, v1
	s_mov_b32 s0, exec_lo
	s_delay_alu instid0(VALU_DEP_2)
	v_or_b32_e32 v2, 1, v2
; %bb.23:
	s_or_b32 exec_lo, exec_lo, s2
	s_delay_alu instid0(SALU_CYCLE_1)
	s_and_b32 vcc_lo, exec_lo, s1
	s_cbranch_vccnz .LBB313_25
	s_branch .LBB313_36
.LBB313_24:
	s_mov_b32 s0, 0
                                        ; implicit-def: $vgpr2
                                        ; implicit-def: $vgpr3
	s_cbranch_execz .LBB313_36
.LBB313_25:
	s_mov_b32 s1, exec_lo
	v_cmpx_gt_u32_e32 0x104, v0
	s_cbranch_execz .LBB313_27
; %bb.26:
	ds_load_b32 v2, v1 offset:1664
	ds_load_b32 v3, v1
	s_waitcnt lgkmcnt(0)
	v_add_f32_e32 v2, v2, v3
	ds_store_b32 v1, v2
.LBB313_27:
	s_or_b32 exec_lo, exec_lo, s1
	s_delay_alu instid0(SALU_CYCLE_1)
	s_mov_b32 s1, exec_lo
	s_waitcnt lgkmcnt(0)
	s_barrier
	buffer_gl0_inv
	v_cmpx_gt_u32_e32 0xd0, v0
	s_cbranch_execz .LBB313_29
; %bb.28:
	ds_load_2addr_b32 v[2:3], v1 offset1:208
	s_waitcnt lgkmcnt(0)
	v_add_f32_e32 v2, v3, v2
	ds_store_b32 v1, v2
.LBB313_29:
	s_or_b32 exec_lo, exec_lo, s1
	s_delay_alu instid0(SALU_CYCLE_1)
	s_mov_b32 s1, exec_lo
	s_waitcnt lgkmcnt(0)
	s_barrier
	buffer_gl0_inv
	v_cmpx_gt_u32_e32 0x68, v0
	s_cbranch_execz .LBB313_31
; %bb.30:
	ds_load_2addr_b32 v[2:3], v1 offset1:104
	s_waitcnt lgkmcnt(0)
	v_add_f32_e32 v2, v3, v2
	ds_store_b32 v1, v2
.LBB313_31:
	;; [unrolled: 14-line block ×3, first 2 shown]
	s_or_b32 exec_lo, exec_lo, s1
	s_delay_alu instid0(SALU_CYCLE_1)
	s_mov_b32 s1, exec_lo
	s_waitcnt lgkmcnt(0)
	buffer_gl0_inv
                                        ; implicit-def: $vgpr2
	v_cmpx_gt_u32_e32 26, v0
; %bb.34:
	v_add_nc_u32_e32 v2, 26, v0
	s_or_b32 s0, s0, exec_lo
                                        ; implicit-def: $vgpr6
; %bb.35:
	s_or_b32 exec_lo, exec_lo, s1
	v_mov_b32_e32 v3, v1
.LBB313_36:
	s_and_saveexec_b32 s1, s0
	s_cbranch_execz .LBB313_38
; %bb.37:
	v_lshlrev_b32_e32 v1, 2, v2
	ds_load_b32 v2, v3
	ds_load_b32 v1, v1
	s_waitcnt lgkmcnt(0)
	v_add_f32_e32 v6, v2, v1
.LBB313_38:
	s_or_b32 exec_lo, exec_lo, s1
	s_delay_alu instid0(SALU_CYCLE_1)
	s_mov_b32 s0, exec_lo
	v_cmpx_gt_u32_e32 26, v0
	s_cbranch_execz .LBB313_42
; %bb.39:
	v_cmp_eq_f32_e64 s0, s8, 0
	v_mul_f32_e32 v1, s12, v6
	s_delay_alu instid0(VALU_DEP_2)
	s_and_b32 vcc_lo, exec_lo, s0
	s_mov_b32 s0, 0
	s_cbranch_vccz .LBB313_43
; %bb.40:
	s_delay_alu instid0(VALU_DEP_1) | instskip(SKIP_1) | instid1(VALU_DEP_1)
	v_mad_u64_u32 v[2:3], null, s10, 26, v[0:1]
	v_mov_b32_e32 v3, 0
	v_lshlrev_b64 v[2:3], 2, v[2:3]
	s_delay_alu instid0(VALU_DEP_1) | instskip(NEXT) | instid1(VALU_DEP_2)
	v_add_co_u32 v2, vcc_lo, s4, v2
	v_add_co_ci_u32_e32 v3, vcc_lo, s5, v3, vcc_lo
	global_store_b32 v[2:3], v1, off
	s_and_not1_b32 vcc_lo, exec_lo, s0
	s_cbranch_vccnz .LBB313_42
.LBB313_41:
	v_mad_u64_u32 v[2:3], null, s10, 26, v[0:1]
	v_mov_b32_e32 v3, 0
	s_delay_alu instid0(VALU_DEP_1) | instskip(NEXT) | instid1(VALU_DEP_1)
	v_lshlrev_b64 v[2:3], 2, v[2:3]
	v_add_co_u32 v2, vcc_lo, s4, v2
	s_delay_alu instid0(VALU_DEP_2)
	v_add_co_ci_u32_e32 v3, vcc_lo, s5, v3, vcc_lo
	global_load_b32 v0, v[2:3], off
	s_waitcnt vmcnt(0)
	v_fmac_f32_e32 v1, s8, v0
	global_store_b32 v[2:3], v1, off
.LBB313_42:
	s_nop 0
	s_sendmsg sendmsg(MSG_DEALLOC_VGPRS)
	s_endpgm
.LBB313_43:
	s_branch .LBB313_41
	.section	.rodata,"a",@progbits
	.p2align	6, 0x0
	.amdhsa_kernel _ZN9rocsparseL20bsrxmvn_17_32_kernelILj26EfliDF16_DF16_fEEvT2_20rocsparse_direction_NS_24const_host_device_scalarIT0_EES1_PKS1_PKT1_SA_S7_PKT3_PKT4_S5_PT5_21rocsparse_index_base_b
		.amdhsa_group_segment_fixed_size 2704
		.amdhsa_private_segment_fixed_size 0
		.amdhsa_kernarg_size 96
		.amdhsa_user_sgpr_count 15
		.amdhsa_user_sgpr_dispatch_ptr 0
		.amdhsa_user_sgpr_queue_ptr 0
		.amdhsa_user_sgpr_kernarg_segment_ptr 1
		.amdhsa_user_sgpr_dispatch_id 0
		.amdhsa_user_sgpr_private_segment_size 0
		.amdhsa_wavefront_size32 1
		.amdhsa_uses_dynamic_stack 0
		.amdhsa_enable_private_segment 0
		.amdhsa_system_sgpr_workgroup_id_x 1
		.amdhsa_system_sgpr_workgroup_id_y 0
		.amdhsa_system_sgpr_workgroup_id_z 0
		.amdhsa_system_sgpr_workgroup_info 0
		.amdhsa_system_vgpr_workitem_id 0
		.amdhsa_next_free_vgpr 12
		.amdhsa_next_free_sgpr 24
		.amdhsa_reserve_vcc 1
		.amdhsa_float_round_mode_32 0
		.amdhsa_float_round_mode_16_64 0
		.amdhsa_float_denorm_mode_32 3
		.amdhsa_float_denorm_mode_16_64 3
		.amdhsa_dx10_clamp 1
		.amdhsa_ieee_mode 1
		.amdhsa_fp16_overflow 0
		.amdhsa_workgroup_processor_mode 1
		.amdhsa_memory_ordered 1
		.amdhsa_forward_progress 0
		.amdhsa_shared_vgpr_count 0
		.amdhsa_exception_fp_ieee_invalid_op 0
		.amdhsa_exception_fp_denorm_src 0
		.amdhsa_exception_fp_ieee_div_zero 0
		.amdhsa_exception_fp_ieee_overflow 0
		.amdhsa_exception_fp_ieee_underflow 0
		.amdhsa_exception_fp_ieee_inexact 0
		.amdhsa_exception_int_div_zero 0
	.end_amdhsa_kernel
	.section	.text._ZN9rocsparseL20bsrxmvn_17_32_kernelILj26EfliDF16_DF16_fEEvT2_20rocsparse_direction_NS_24const_host_device_scalarIT0_EES1_PKS1_PKT1_SA_S7_PKT3_PKT4_S5_PT5_21rocsparse_index_base_b,"axG",@progbits,_ZN9rocsparseL20bsrxmvn_17_32_kernelILj26EfliDF16_DF16_fEEvT2_20rocsparse_direction_NS_24const_host_device_scalarIT0_EES1_PKS1_PKT1_SA_S7_PKT3_PKT4_S5_PT5_21rocsparse_index_base_b,comdat
.Lfunc_end313:
	.size	_ZN9rocsparseL20bsrxmvn_17_32_kernelILj26EfliDF16_DF16_fEEvT2_20rocsparse_direction_NS_24const_host_device_scalarIT0_EES1_PKS1_PKT1_SA_S7_PKT3_PKT4_S5_PT5_21rocsparse_index_base_b, .Lfunc_end313-_ZN9rocsparseL20bsrxmvn_17_32_kernelILj26EfliDF16_DF16_fEEvT2_20rocsparse_direction_NS_24const_host_device_scalarIT0_EES1_PKS1_PKT1_SA_S7_PKT3_PKT4_S5_PT5_21rocsparse_index_base_b
                                        ; -- End function
	.section	.AMDGPU.csdata,"",@progbits
; Kernel info:
; codeLenInByte = 1620
; NumSgprs: 26
; NumVgprs: 12
; ScratchSize: 0
; MemoryBound: 0
; FloatMode: 240
; IeeeMode: 1
; LDSByteSize: 2704 bytes/workgroup (compile time only)
; SGPRBlocks: 3
; VGPRBlocks: 1
; NumSGPRsForWavesPerEU: 26
; NumVGPRsForWavesPerEU: 12
; Occupancy: 11
; WaveLimiterHint : 1
; COMPUTE_PGM_RSRC2:SCRATCH_EN: 0
; COMPUTE_PGM_RSRC2:USER_SGPR: 15
; COMPUTE_PGM_RSRC2:TRAP_HANDLER: 0
; COMPUTE_PGM_RSRC2:TGID_X_EN: 1
; COMPUTE_PGM_RSRC2:TGID_Y_EN: 0
; COMPUTE_PGM_RSRC2:TGID_Z_EN: 0
; COMPUTE_PGM_RSRC2:TIDIG_COMP_CNT: 0
	.section	.text._ZN9rocsparseL20bsrxmvn_17_32_kernelILj27EfliDF16_DF16_fEEvT2_20rocsparse_direction_NS_24const_host_device_scalarIT0_EES1_PKS1_PKT1_SA_S7_PKT3_PKT4_S5_PT5_21rocsparse_index_base_b,"axG",@progbits,_ZN9rocsparseL20bsrxmvn_17_32_kernelILj27EfliDF16_DF16_fEEvT2_20rocsparse_direction_NS_24const_host_device_scalarIT0_EES1_PKS1_PKT1_SA_S7_PKT3_PKT4_S5_PT5_21rocsparse_index_base_b,comdat
	.globl	_ZN9rocsparseL20bsrxmvn_17_32_kernelILj27EfliDF16_DF16_fEEvT2_20rocsparse_direction_NS_24const_host_device_scalarIT0_EES1_PKS1_PKT1_SA_S7_PKT3_PKT4_S5_PT5_21rocsparse_index_base_b ; -- Begin function _ZN9rocsparseL20bsrxmvn_17_32_kernelILj27EfliDF16_DF16_fEEvT2_20rocsparse_direction_NS_24const_host_device_scalarIT0_EES1_PKS1_PKT1_SA_S7_PKT3_PKT4_S5_PT5_21rocsparse_index_base_b
	.p2align	8
	.type	_ZN9rocsparseL20bsrxmvn_17_32_kernelILj27EfliDF16_DF16_fEEvT2_20rocsparse_direction_NS_24const_host_device_scalarIT0_EES1_PKS1_PKT1_SA_S7_PKT3_PKT4_S5_PT5_21rocsparse_index_base_b,@function
_ZN9rocsparseL20bsrxmvn_17_32_kernelILj27EfliDF16_DF16_fEEvT2_20rocsparse_direction_NS_24const_host_device_scalarIT0_EES1_PKS1_PKT1_SA_S7_PKT3_PKT4_S5_PT5_21rocsparse_index_base_b: ; @_ZN9rocsparseL20bsrxmvn_17_32_kernelILj27EfliDF16_DF16_fEEvT2_20rocsparse_direction_NS_24const_host_device_scalarIT0_EES1_PKS1_PKT1_SA_S7_PKT3_PKT4_S5_PT5_21rocsparse_index_base_b
; %bb.0:
	s_mov_b32 s10, s15
	s_clause 0x2
	s_load_b64 s[14:15], s[0:1], 0x58
	s_load_b64 s[12:13], s[0:1], 0x8
	;; [unrolled: 1-line block ×3, first 2 shown]
	s_waitcnt lgkmcnt(0)
	s_bitcmp1_b32 s15, 0
	s_cselect_b32 s2, -1, 0
	s_delay_alu instid0(SALU_CYCLE_1)
	s_and_b32 vcc_lo, exec_lo, s2
	s_xor_b32 s2, s2, -1
	s_cbranch_vccnz .LBB314_2
; %bb.1:
	s_load_b32 s12, s[12:13], 0x0
.LBB314_2:
	s_and_not1_b32 vcc_lo, exec_lo, s2
	s_cbranch_vccnz .LBB314_4
; %bb.3:
	s_load_b32 s8, s[8:9], 0x0
.LBB314_4:
	s_waitcnt lgkmcnt(0)
	v_cmp_neq_f32_e64 s2, s12, 0
	v_cmp_neq_f32_e64 s3, s8, 1.0
	s_delay_alu instid0(VALU_DEP_1) | instskip(NEXT) | instid1(SALU_CYCLE_1)
	s_or_b32 s2, s2, s3
	s_and_not1_b32 vcc_lo, exec_lo, s2
	s_cbranch_vccnz .LBB314_42
; %bb.5:
	s_clause 0x1
	s_load_b128 s[4:7], s[0:1], 0x18
	s_load_b64 s[16:17], s[0:1], 0x28
	s_waitcnt lgkmcnt(0)
	s_cmp_eq_u64 s[4:5], 0
	s_cbranch_scc1 .LBB314_7
; %bb.6:
	s_ashr_i32 s11, s10, 31
	s_delay_alu instid0(SALU_CYCLE_1) | instskip(NEXT) | instid1(SALU_CYCLE_1)
	s_lshl_b64 s[2:3], s[10:11], 2
	s_add_u32 s2, s4, s2
	s_addc_u32 s3, s5, s3
	s_load_b32 s2, s[2:3], 0x0
	s_waitcnt lgkmcnt(0)
	s_sub_i32 s10, s2, s14
.LBB314_7:
	s_load_b32 s3, s[0:1], 0x4
	v_mul_u32_u24_e32 v1, 0x97c, v0
	v_mov_b32_e32 v6, 0
	s_delay_alu instid0(VALU_DEP_2) | instskip(NEXT) | instid1(VALU_DEP_1)
	v_lshrrev_b32_e32 v1, 16, v1
	v_mul_lo_u16 v2, v1, 27
	s_delay_alu instid0(VALU_DEP_1)
	v_sub_nc_u16 v7, v0, v2
	s_waitcnt lgkmcnt(0)
	s_cmp_eq_u32 s3, 1
	s_cselect_b32 s2, -1, 0
	s_cmp_lg_u32 s3, 1
	s_cselect_b32 s3, -1, 0
	s_ashr_i32 s11, s10, 31
	s_delay_alu instid0(SALU_CYCLE_1) | instskip(NEXT) | instid1(SALU_CYCLE_1)
	s_lshl_b64 s[4:5], s[10:11], 3
	s_add_u32 s6, s6, s4
	s_addc_u32 s7, s7, s5
	s_add_u32 s9, s6, 8
	s_addc_u32 s11, s7, 0
	;; [unrolled: 2-line block ×3, first 2 shown]
	s_cmp_eq_u64 s[16:17], 0
	s_cselect_b32 s5, s11, s5
	s_cselect_b32 s4, s9, s4
	s_load_b64 s[18:19], s[6:7], 0x0
	s_load_b64 s[6:7], s[4:5], 0x0
	;; [unrolled: 1-line block ×3, first 2 shown]
	s_waitcnt lgkmcnt(0)
	v_cmp_ge_i64_e64 s9, s[18:19], s[6:7]
	s_delay_alu instid0(VALU_DEP_1)
	s_and_b32 vcc_lo, exec_lo, s9
	s_cbranch_vccnz .LBB314_12
; %bb.8:
	v_and_b32_e32 v1, 0xffff, v1
	v_cmp_lt_u32_e32 vcc_lo, 0x2d8, v0
	s_clause 0x1
	s_load_b128 s[20:23], s[0:1], 0x30
	s_load_b64 s[0:1], s[0:1], 0x40
	s_sub_u32 s6, s6, s14
	s_subb_u32 s7, s7, 0
	v_subrev_nc_u32_e32 v3, 27, v1
	v_cndmask_b32_e64 v8, 0, 1, vcc_lo
	v_cmp_gt_u32_e32 vcc_lo, 0x2d9, v0
	v_and_b32_e32 v2, 0xffff, v7
	s_sub_u32 s16, s18, s14
	s_subb_u32 s17, s19, 0
	s_mul_hi_u32 s9, s16, 0x5b2
	v_cndmask_b32_e32 v1, v3, v1, vcc_lo
	s_mul_i32 s11, s17, 0x5b2
	v_lshlrev_b32_e32 v6, 1, v0
	s_add_i32 s9, s9, s11
	s_delay_alu instid0(VALU_DEP_2) | instskip(SKIP_1) | instid1(VALU_DEP_1)
	v_cndmask_b32_e64 v1, v2, v1, s2
	v_add_co_u32 v2, s2, s18, v8
	v_add_co_ci_u32_e64 v3, null, s19, 0, s2
	s_mul_i32 s2, s16, 0x5b2
	s_delay_alu instid0(VALU_DEP_2) | instskip(NEXT) | instid1(VALU_DEP_2)
	v_sub_co_u32 v2, vcc_lo, v2, s14
	v_subrev_co_ci_u32_e32 v3, vcc_lo, 0, v3, vcc_lo
	s_waitcnt lgkmcnt(0)
	s_add_u32 s2, s22, s2
	s_addc_u32 s9, s23, s9
	s_delay_alu instid0(VALU_DEP_1) | instskip(SKIP_1) | instid1(VALU_DEP_1)
	v_lshlrev_b64 v[4:5], 2, v[2:3]
	v_add_co_u32 v2, s2, s2, v6
	v_add_co_ci_u32_e64 v3, null, s9, 0, s2
	v_mov_b32_e32 v6, 0
	s_delay_alu instid0(VALU_DEP_4)
	v_add_co_u32 v4, vcc_lo, s20, v4
	v_add_co_ci_u32_e32 v5, vcc_lo, s21, v5, vcc_lo
	s_set_inst_prefetch_distance 0x1
	s_branch .LBB314_10
	.p2align	6
.LBB314_9:                              ;   in Loop: Header=BB314_10 Depth=1
	s_or_b32 exec_lo, exec_lo, s2
	s_add_u32 s16, s16, 1
	s_addc_u32 s17, s17, 0
	v_add_co_u32 v4, vcc_lo, v4, 4
	v_cmp_lt_i64_e64 s2, s[16:17], s[6:7]
	v_add_co_ci_u32_e32 v5, vcc_lo, 0, v5, vcc_lo
	s_delay_alu instid0(VALU_DEP_2)
	s_and_b32 vcc_lo, exec_lo, s2
	s_cbranch_vccz .LBB314_12
.LBB314_10:                             ; =>This Inner Loop Header: Depth=1
	v_add_co_u32 v9, s2, v8, s16
	s_delay_alu instid0(VALU_DEP_1) | instskip(SKIP_1) | instid1(VALU_DEP_1)
	v_add_co_ci_u32_e64 v10, null, 0, s17, s2
	s_mov_b32 s2, exec_lo
	v_cmpx_gt_i64_e64 s[6:7], v[9:10]
	s_cbranch_execz .LBB314_9
; %bb.11:                               ;   in Loop: Header=BB314_10 Depth=1
	global_load_b32 v9, v[4:5], off
	s_waitcnt vmcnt(0)
	v_subrev_nc_u32_e32 v11, s14, v9
	s_delay_alu instid0(VALU_DEP_1) | instskip(NEXT) | instid1(VALU_DEP_1)
	v_mad_u64_u32 v[9:10], null, v11, 27, v[1:2]
	v_ashrrev_i32_e32 v10, 31, v9
	s_delay_alu instid0(VALU_DEP_1) | instskip(NEXT) | instid1(VALU_DEP_1)
	v_lshlrev_b64 v[9:10], 1, v[9:10]
	v_add_co_u32 v9, vcc_lo, s0, v9
	s_delay_alu instid0(VALU_DEP_2)
	v_add_co_ci_u32_e32 v10, vcc_lo, s1, v10, vcc_lo
	global_load_u16 v11, v[2:3], off
	global_load_u16 v9, v[9:10], off
	v_add_co_u32 v2, vcc_lo, 0x5b2, v2
	v_add_co_ci_u32_e32 v3, vcc_lo, 0, v3, vcc_lo
	s_waitcnt vmcnt(0)
	v_fma_mix_f32 v6, v11, v9, v6 op_sel_hi:[1,1,0]
	s_branch .LBB314_9
.LBB314_12:
	s_set_inst_prefetch_distance 0x2
	v_lshlrev_b32_e32 v1, 2, v0
	s_and_b32 vcc_lo, exec_lo, s3
	ds_store_b32 v1, v6
	s_waitcnt lgkmcnt(0)
	s_barrier
	buffer_gl0_inv
	s_cbranch_vccz .LBB314_24
; %bb.13:
	s_mov_b32 s0, exec_lo
	v_cmpx_gt_u16_e32 11, v7
	s_cbranch_execz .LBB314_15
; %bb.14:
	ds_load_2addr_b32 v[2:3], v1 offset1:16
	s_waitcnt lgkmcnt(0)
	v_add_f32_e32 v2, v3, v2
	ds_store_b32 v1, v2
.LBB314_15:
	s_or_b32 exec_lo, exec_lo, s0
	s_delay_alu instid0(SALU_CYCLE_1)
	s_mov_b32 s0, exec_lo
	s_waitcnt lgkmcnt(0)
	s_barrier
	buffer_gl0_inv
	v_cmpx_gt_u16_e32 8, v7
	s_cbranch_execz .LBB314_17
; %bb.16:
	ds_load_2addr_b32 v[2:3], v1 offset1:8
	s_waitcnt lgkmcnt(0)
	v_add_f32_e32 v2, v3, v2
	ds_store_b32 v1, v2
.LBB314_17:
	s_or_b32 exec_lo, exec_lo, s0
	s_delay_alu instid0(SALU_CYCLE_1)
	s_mov_b32 s0, exec_lo
	s_waitcnt lgkmcnt(0)
	s_barrier
	buffer_gl0_inv
	;; [unrolled: 14-line block ×3, first 2 shown]
	v_cmpx_gt_u16_e32 2, v7
	s_cbranch_execz .LBB314_21
; %bb.20:
	ds_load_2addr_b32 v[2:3], v1 offset1:2
	s_waitcnt lgkmcnt(0)
	v_add_f32_e32 v2, v3, v2
	ds_store_b32 v1, v2
.LBB314_21:
	s_or_b32 exec_lo, exec_lo, s0
	s_mov_b32 s1, 0
	s_mov_b32 s0, 0
	s_mov_b32 s2, exec_lo
	s_waitcnt lgkmcnt(0)
	s_barrier
	buffer_gl0_inv
                                        ; implicit-def: $vgpr2
                                        ; implicit-def: $vgpr3
	v_cmpx_gt_u32_e32 27, v0
	s_xor_b32 s2, exec_lo, s2
; %bb.22:
	v_mad_u32_u24 v2, v0, 27, 1
	v_mad_u32_u24 v3, 0x68, v0, v1
	s_mov_b32 s0, exec_lo
; %bb.23:
	s_or_b32 exec_lo, exec_lo, s2
	s_delay_alu instid0(SALU_CYCLE_1)
	s_and_b32 vcc_lo, exec_lo, s1
	s_cbranch_vccnz .LBB314_25
	s_branch .LBB314_36
.LBB314_24:
	s_mov_b32 s0, 0
                                        ; implicit-def: $vgpr2
                                        ; implicit-def: $vgpr3
	s_cbranch_execz .LBB314_36
.LBB314_25:
	s_mov_b32 s1, exec_lo
	v_cmpx_gt_u32_e32 0x129, v0
	s_cbranch_execz .LBB314_27
; %bb.26:
	ds_load_b32 v2, v1 offset:1728
	ds_load_b32 v3, v1
	s_waitcnt lgkmcnt(0)
	v_add_f32_e32 v2, v2, v3
	ds_store_b32 v1, v2
.LBB314_27:
	s_or_b32 exec_lo, exec_lo, s1
	s_delay_alu instid0(SALU_CYCLE_1)
	s_mov_b32 s1, exec_lo
	s_waitcnt lgkmcnt(0)
	s_barrier
	buffer_gl0_inv
	v_cmpx_gt_u32_e32 0xd8, v0
	s_cbranch_execz .LBB314_29
; %bb.28:
	ds_load_2addr_b32 v[2:3], v1 offset1:216
	s_waitcnt lgkmcnt(0)
	v_add_f32_e32 v2, v3, v2
	ds_store_b32 v1, v2
.LBB314_29:
	s_or_b32 exec_lo, exec_lo, s1
	s_delay_alu instid0(SALU_CYCLE_1)
	s_mov_b32 s1, exec_lo
	s_waitcnt lgkmcnt(0)
	s_barrier
	buffer_gl0_inv
	v_cmpx_gt_u32_e32 0x6c, v0
	s_cbranch_execz .LBB314_31
; %bb.30:
	ds_load_2addr_b32 v[2:3], v1 offset1:108
	s_waitcnt lgkmcnt(0)
	v_add_f32_e32 v2, v3, v2
	ds_store_b32 v1, v2
.LBB314_31:
	;; [unrolled: 14-line block ×3, first 2 shown]
	s_or_b32 exec_lo, exec_lo, s1
	s_delay_alu instid0(SALU_CYCLE_1)
	s_mov_b32 s1, exec_lo
	s_waitcnt lgkmcnt(0)
	buffer_gl0_inv
                                        ; implicit-def: $vgpr2
	v_cmpx_gt_u32_e32 27, v0
; %bb.34:
	v_add_nc_u32_e32 v2, 27, v0
	s_or_b32 s0, s0, exec_lo
                                        ; implicit-def: $vgpr6
; %bb.35:
	s_or_b32 exec_lo, exec_lo, s1
	v_mov_b32_e32 v3, v1
.LBB314_36:
	s_and_saveexec_b32 s1, s0
	s_cbranch_execz .LBB314_38
; %bb.37:
	v_lshlrev_b32_e32 v1, 2, v2
	ds_load_b32 v2, v3
	ds_load_b32 v1, v1
	s_waitcnt lgkmcnt(0)
	v_add_f32_e32 v6, v2, v1
.LBB314_38:
	s_or_b32 exec_lo, exec_lo, s1
	s_delay_alu instid0(SALU_CYCLE_1)
	s_mov_b32 s0, exec_lo
	v_cmpx_gt_u32_e32 27, v0
	s_cbranch_execz .LBB314_42
; %bb.39:
	v_cmp_eq_f32_e64 s0, s8, 0
	v_mul_f32_e32 v1, s12, v6
	s_delay_alu instid0(VALU_DEP_2)
	s_and_b32 vcc_lo, exec_lo, s0
	s_mov_b32 s0, 0
	s_cbranch_vccz .LBB314_43
; %bb.40:
	s_delay_alu instid0(VALU_DEP_1) | instskip(SKIP_1) | instid1(VALU_DEP_1)
	v_mad_u64_u32 v[2:3], null, s10, 27, v[0:1]
	v_mov_b32_e32 v3, 0
	v_lshlrev_b64 v[2:3], 2, v[2:3]
	s_delay_alu instid0(VALU_DEP_1) | instskip(NEXT) | instid1(VALU_DEP_2)
	v_add_co_u32 v2, vcc_lo, s4, v2
	v_add_co_ci_u32_e32 v3, vcc_lo, s5, v3, vcc_lo
	global_store_b32 v[2:3], v1, off
	s_and_not1_b32 vcc_lo, exec_lo, s0
	s_cbranch_vccnz .LBB314_42
.LBB314_41:
	v_mad_u64_u32 v[2:3], null, s10, 27, v[0:1]
	v_mov_b32_e32 v3, 0
	s_delay_alu instid0(VALU_DEP_1) | instskip(NEXT) | instid1(VALU_DEP_1)
	v_lshlrev_b64 v[2:3], 2, v[2:3]
	v_add_co_u32 v2, vcc_lo, s4, v2
	s_delay_alu instid0(VALU_DEP_2)
	v_add_co_ci_u32_e32 v3, vcc_lo, s5, v3, vcc_lo
	global_load_b32 v0, v[2:3], off
	s_waitcnt vmcnt(0)
	v_fmac_f32_e32 v1, s8, v0
	global_store_b32 v[2:3], v1, off
.LBB314_42:
	s_nop 0
	s_sendmsg sendmsg(MSG_DEALLOC_VGPRS)
	s_endpgm
.LBB314_43:
	s_branch .LBB314_41
	.section	.rodata,"a",@progbits
	.p2align	6, 0x0
	.amdhsa_kernel _ZN9rocsparseL20bsrxmvn_17_32_kernelILj27EfliDF16_DF16_fEEvT2_20rocsparse_direction_NS_24const_host_device_scalarIT0_EES1_PKS1_PKT1_SA_S7_PKT3_PKT4_S5_PT5_21rocsparse_index_base_b
		.amdhsa_group_segment_fixed_size 2916
		.amdhsa_private_segment_fixed_size 0
		.amdhsa_kernarg_size 96
		.amdhsa_user_sgpr_count 15
		.amdhsa_user_sgpr_dispatch_ptr 0
		.amdhsa_user_sgpr_queue_ptr 0
		.amdhsa_user_sgpr_kernarg_segment_ptr 1
		.amdhsa_user_sgpr_dispatch_id 0
		.amdhsa_user_sgpr_private_segment_size 0
		.amdhsa_wavefront_size32 1
		.amdhsa_uses_dynamic_stack 0
		.amdhsa_enable_private_segment 0
		.amdhsa_system_sgpr_workgroup_id_x 1
		.amdhsa_system_sgpr_workgroup_id_y 0
		.amdhsa_system_sgpr_workgroup_id_z 0
		.amdhsa_system_sgpr_workgroup_info 0
		.amdhsa_system_vgpr_workitem_id 0
		.amdhsa_next_free_vgpr 12
		.amdhsa_next_free_sgpr 24
		.amdhsa_reserve_vcc 1
		.amdhsa_float_round_mode_32 0
		.amdhsa_float_round_mode_16_64 0
		.amdhsa_float_denorm_mode_32 3
		.amdhsa_float_denorm_mode_16_64 3
		.amdhsa_dx10_clamp 1
		.amdhsa_ieee_mode 1
		.amdhsa_fp16_overflow 0
		.amdhsa_workgroup_processor_mode 1
		.amdhsa_memory_ordered 1
		.amdhsa_forward_progress 0
		.amdhsa_shared_vgpr_count 0
		.amdhsa_exception_fp_ieee_invalid_op 0
		.amdhsa_exception_fp_denorm_src 0
		.amdhsa_exception_fp_ieee_div_zero 0
		.amdhsa_exception_fp_ieee_overflow 0
		.amdhsa_exception_fp_ieee_underflow 0
		.amdhsa_exception_fp_ieee_inexact 0
		.amdhsa_exception_int_div_zero 0
	.end_amdhsa_kernel
	.section	.text._ZN9rocsparseL20bsrxmvn_17_32_kernelILj27EfliDF16_DF16_fEEvT2_20rocsparse_direction_NS_24const_host_device_scalarIT0_EES1_PKS1_PKT1_SA_S7_PKT3_PKT4_S5_PT5_21rocsparse_index_base_b,"axG",@progbits,_ZN9rocsparseL20bsrxmvn_17_32_kernelILj27EfliDF16_DF16_fEEvT2_20rocsparse_direction_NS_24const_host_device_scalarIT0_EES1_PKS1_PKT1_SA_S7_PKT3_PKT4_S5_PT5_21rocsparse_index_base_b,comdat
.Lfunc_end314:
	.size	_ZN9rocsparseL20bsrxmvn_17_32_kernelILj27EfliDF16_DF16_fEEvT2_20rocsparse_direction_NS_24const_host_device_scalarIT0_EES1_PKS1_PKT1_SA_S7_PKT3_PKT4_S5_PT5_21rocsparse_index_base_b, .Lfunc_end314-_ZN9rocsparseL20bsrxmvn_17_32_kernelILj27EfliDF16_DF16_fEEvT2_20rocsparse_direction_NS_24const_host_device_scalarIT0_EES1_PKS1_PKT1_SA_S7_PKT3_PKT4_S5_PT5_21rocsparse_index_base_b
                                        ; -- End function
	.section	.AMDGPU.csdata,"",@progbits
; Kernel info:
; codeLenInByte = 1616
; NumSgprs: 26
; NumVgprs: 12
; ScratchSize: 0
; MemoryBound: 0
; FloatMode: 240
; IeeeMode: 1
; LDSByteSize: 2916 bytes/workgroup (compile time only)
; SGPRBlocks: 3
; VGPRBlocks: 1
; NumSGPRsForWavesPerEU: 26
; NumVGPRsForWavesPerEU: 12
; Occupancy: 12
; WaveLimiterHint : 1
; COMPUTE_PGM_RSRC2:SCRATCH_EN: 0
; COMPUTE_PGM_RSRC2:USER_SGPR: 15
; COMPUTE_PGM_RSRC2:TRAP_HANDLER: 0
; COMPUTE_PGM_RSRC2:TGID_X_EN: 1
; COMPUTE_PGM_RSRC2:TGID_Y_EN: 0
; COMPUTE_PGM_RSRC2:TGID_Z_EN: 0
; COMPUTE_PGM_RSRC2:TIDIG_COMP_CNT: 0
	.section	.text._ZN9rocsparseL20bsrxmvn_17_32_kernelILj28EfliDF16_DF16_fEEvT2_20rocsparse_direction_NS_24const_host_device_scalarIT0_EES1_PKS1_PKT1_SA_S7_PKT3_PKT4_S5_PT5_21rocsparse_index_base_b,"axG",@progbits,_ZN9rocsparseL20bsrxmvn_17_32_kernelILj28EfliDF16_DF16_fEEvT2_20rocsparse_direction_NS_24const_host_device_scalarIT0_EES1_PKS1_PKT1_SA_S7_PKT3_PKT4_S5_PT5_21rocsparse_index_base_b,comdat
	.globl	_ZN9rocsparseL20bsrxmvn_17_32_kernelILj28EfliDF16_DF16_fEEvT2_20rocsparse_direction_NS_24const_host_device_scalarIT0_EES1_PKS1_PKT1_SA_S7_PKT3_PKT4_S5_PT5_21rocsparse_index_base_b ; -- Begin function _ZN9rocsparseL20bsrxmvn_17_32_kernelILj28EfliDF16_DF16_fEEvT2_20rocsparse_direction_NS_24const_host_device_scalarIT0_EES1_PKS1_PKT1_SA_S7_PKT3_PKT4_S5_PT5_21rocsparse_index_base_b
	.p2align	8
	.type	_ZN9rocsparseL20bsrxmvn_17_32_kernelILj28EfliDF16_DF16_fEEvT2_20rocsparse_direction_NS_24const_host_device_scalarIT0_EES1_PKS1_PKT1_SA_S7_PKT3_PKT4_S5_PT5_21rocsparse_index_base_b,@function
_ZN9rocsparseL20bsrxmvn_17_32_kernelILj28EfliDF16_DF16_fEEvT2_20rocsparse_direction_NS_24const_host_device_scalarIT0_EES1_PKS1_PKT1_SA_S7_PKT3_PKT4_S5_PT5_21rocsparse_index_base_b: ; @_ZN9rocsparseL20bsrxmvn_17_32_kernelILj28EfliDF16_DF16_fEEvT2_20rocsparse_direction_NS_24const_host_device_scalarIT0_EES1_PKS1_PKT1_SA_S7_PKT3_PKT4_S5_PT5_21rocsparse_index_base_b
; %bb.0:
	s_mov_b32 s10, s15
	s_clause 0x2
	s_load_b64 s[14:15], s[0:1], 0x58
	s_load_b64 s[12:13], s[0:1], 0x8
	;; [unrolled: 1-line block ×3, first 2 shown]
	s_waitcnt lgkmcnt(0)
	s_bitcmp1_b32 s15, 0
	s_cselect_b32 s2, -1, 0
	s_delay_alu instid0(SALU_CYCLE_1)
	s_and_b32 vcc_lo, exec_lo, s2
	s_xor_b32 s2, s2, -1
	s_cbranch_vccnz .LBB315_2
; %bb.1:
	s_load_b32 s12, s[12:13], 0x0
.LBB315_2:
	s_and_not1_b32 vcc_lo, exec_lo, s2
	s_cbranch_vccnz .LBB315_4
; %bb.3:
	s_load_b32 s8, s[8:9], 0x0
.LBB315_4:
	s_waitcnt lgkmcnt(0)
	v_cmp_neq_f32_e64 s2, s12, 0
	v_cmp_neq_f32_e64 s3, s8, 1.0
	s_delay_alu instid0(VALU_DEP_1) | instskip(NEXT) | instid1(SALU_CYCLE_1)
	s_or_b32 s2, s2, s3
	s_and_not1_b32 vcc_lo, exec_lo, s2
	s_cbranch_vccnz .LBB315_42
; %bb.5:
	s_clause 0x1
	s_load_b128 s[4:7], s[0:1], 0x18
	s_load_b64 s[16:17], s[0:1], 0x28
	s_waitcnt lgkmcnt(0)
	s_cmp_eq_u64 s[4:5], 0
	s_cbranch_scc1 .LBB315_7
; %bb.6:
	s_ashr_i32 s11, s10, 31
	s_delay_alu instid0(SALU_CYCLE_1) | instskip(NEXT) | instid1(SALU_CYCLE_1)
	s_lshl_b64 s[2:3], s[10:11], 2
	s_add_u32 s2, s4, s2
	s_addc_u32 s3, s5, s3
	s_load_b32 s2, s[2:3], 0x0
	s_waitcnt lgkmcnt(0)
	s_sub_i32 s10, s2, s14
.LBB315_7:
	s_load_b32 s3, s[0:1], 0x4
	v_mul_u32_u24_e32 v1, 0x925, v0
	v_mov_b32_e32 v6, 0
	s_delay_alu instid0(VALU_DEP_2) | instskip(NEXT) | instid1(VALU_DEP_1)
	v_lshrrev_b32_e32 v1, 16, v1
	v_mul_lo_u16 v2, v1, 28
	s_delay_alu instid0(VALU_DEP_1)
	v_sub_nc_u16 v7, v0, v2
	s_waitcnt lgkmcnt(0)
	s_cmp_eq_u32 s3, 1
	s_cselect_b32 s2, -1, 0
	s_cmp_lg_u32 s3, 1
	s_cselect_b32 s3, -1, 0
	s_ashr_i32 s11, s10, 31
	s_delay_alu instid0(SALU_CYCLE_1) | instskip(NEXT) | instid1(SALU_CYCLE_1)
	s_lshl_b64 s[4:5], s[10:11], 3
	s_add_u32 s6, s6, s4
	s_addc_u32 s7, s7, s5
	s_add_u32 s9, s6, 8
	s_addc_u32 s11, s7, 0
	;; [unrolled: 2-line block ×3, first 2 shown]
	s_cmp_eq_u64 s[16:17], 0
	s_cselect_b32 s5, s11, s5
	s_cselect_b32 s4, s9, s4
	s_load_b64 s[18:19], s[6:7], 0x0
	s_load_b64 s[6:7], s[4:5], 0x0
	;; [unrolled: 1-line block ×3, first 2 shown]
	s_waitcnt lgkmcnt(0)
	v_cmp_ge_i64_e64 s9, s[18:19], s[6:7]
	s_delay_alu instid0(VALU_DEP_1)
	s_and_b32 vcc_lo, exec_lo, s9
	s_cbranch_vccnz .LBB315_12
; %bb.8:
	v_and_b32_e32 v1, 0xffff, v1
	v_cmp_lt_u32_e32 vcc_lo, 0x30f, v0
	s_clause 0x1
	s_load_b128 s[20:23], s[0:1], 0x30
	s_load_b64 s[0:1], s[0:1], 0x40
	s_sub_u32 s6, s6, s14
	s_subb_u32 s7, s7, 0
	v_subrev_nc_u32_e32 v3, 28, v1
	v_cndmask_b32_e64 v8, 0, 1, vcc_lo
	v_cmp_gt_u32_e32 vcc_lo, 0x310, v0
	v_and_b32_e32 v2, 0xffff, v7
	s_sub_u32 s16, s18, s14
	s_subb_u32 s17, s19, 0
	s_mul_hi_u32 s9, s16, 0x620
	v_cndmask_b32_e32 v1, v3, v1, vcc_lo
	s_mul_i32 s11, s17, 0x620
	v_lshlrev_b32_e32 v6, 1, v0
	s_add_i32 s9, s9, s11
	s_delay_alu instid0(VALU_DEP_2) | instskip(SKIP_1) | instid1(VALU_DEP_1)
	v_cndmask_b32_e64 v1, v2, v1, s2
	v_add_co_u32 v2, s2, s18, v8
	v_add_co_ci_u32_e64 v3, null, s19, 0, s2
	s_mul_i32 s2, s16, 0x620
	s_delay_alu instid0(VALU_DEP_2) | instskip(NEXT) | instid1(VALU_DEP_2)
	v_sub_co_u32 v2, vcc_lo, v2, s14
	v_subrev_co_ci_u32_e32 v3, vcc_lo, 0, v3, vcc_lo
	s_waitcnt lgkmcnt(0)
	s_add_u32 s2, s22, s2
	s_addc_u32 s9, s23, s9
	s_delay_alu instid0(VALU_DEP_1) | instskip(SKIP_1) | instid1(VALU_DEP_1)
	v_lshlrev_b64 v[4:5], 2, v[2:3]
	v_add_co_u32 v2, s2, s2, v6
	v_add_co_ci_u32_e64 v3, null, s9, 0, s2
	v_mov_b32_e32 v6, 0
	s_delay_alu instid0(VALU_DEP_4)
	v_add_co_u32 v4, vcc_lo, s20, v4
	v_add_co_ci_u32_e32 v5, vcc_lo, s21, v5, vcc_lo
	s_set_inst_prefetch_distance 0x1
	s_branch .LBB315_10
	.p2align	6
.LBB315_9:                              ;   in Loop: Header=BB315_10 Depth=1
	s_or_b32 exec_lo, exec_lo, s2
	s_add_u32 s16, s16, 1
	s_addc_u32 s17, s17, 0
	v_add_co_u32 v4, vcc_lo, v4, 4
	v_cmp_lt_i64_e64 s2, s[16:17], s[6:7]
	v_add_co_ci_u32_e32 v5, vcc_lo, 0, v5, vcc_lo
	s_delay_alu instid0(VALU_DEP_2)
	s_and_b32 vcc_lo, exec_lo, s2
	s_cbranch_vccz .LBB315_12
.LBB315_10:                             ; =>This Inner Loop Header: Depth=1
	v_add_co_u32 v9, s2, v8, s16
	s_delay_alu instid0(VALU_DEP_1) | instskip(SKIP_1) | instid1(VALU_DEP_1)
	v_add_co_ci_u32_e64 v10, null, 0, s17, s2
	s_mov_b32 s2, exec_lo
	v_cmpx_gt_i64_e64 s[6:7], v[9:10]
	s_cbranch_execz .LBB315_9
; %bb.11:                               ;   in Loop: Header=BB315_10 Depth=1
	global_load_b32 v9, v[4:5], off
	s_waitcnt vmcnt(0)
	v_subrev_nc_u32_e32 v11, s14, v9
	s_delay_alu instid0(VALU_DEP_1) | instskip(NEXT) | instid1(VALU_DEP_1)
	v_mad_u64_u32 v[9:10], null, v11, 28, v[1:2]
	v_ashrrev_i32_e32 v10, 31, v9
	s_delay_alu instid0(VALU_DEP_1) | instskip(NEXT) | instid1(VALU_DEP_1)
	v_lshlrev_b64 v[9:10], 1, v[9:10]
	v_add_co_u32 v9, vcc_lo, s0, v9
	s_delay_alu instid0(VALU_DEP_2)
	v_add_co_ci_u32_e32 v10, vcc_lo, s1, v10, vcc_lo
	global_load_u16 v11, v[2:3], off
	global_load_u16 v9, v[9:10], off
	v_add_co_u32 v2, vcc_lo, 0x620, v2
	v_add_co_ci_u32_e32 v3, vcc_lo, 0, v3, vcc_lo
	s_waitcnt vmcnt(0)
	v_fma_mix_f32 v6, v11, v9, v6 op_sel_hi:[1,1,0]
	s_branch .LBB315_9
.LBB315_12:
	s_set_inst_prefetch_distance 0x2
	v_lshlrev_b32_e32 v1, 2, v0
	s_and_b32 vcc_lo, exec_lo, s3
	ds_store_b32 v1, v6
	s_waitcnt lgkmcnt(0)
	s_barrier
	buffer_gl0_inv
	s_cbranch_vccz .LBB315_24
; %bb.13:
	s_mov_b32 s0, exec_lo
	v_cmpx_gt_u16_e32 12, v7
	s_cbranch_execz .LBB315_15
; %bb.14:
	ds_load_2addr_b32 v[2:3], v1 offset1:16
	s_waitcnt lgkmcnt(0)
	v_add_f32_e32 v2, v3, v2
	ds_store_b32 v1, v2
.LBB315_15:
	s_or_b32 exec_lo, exec_lo, s0
	s_delay_alu instid0(SALU_CYCLE_1)
	s_mov_b32 s0, exec_lo
	s_waitcnt lgkmcnt(0)
	s_barrier
	buffer_gl0_inv
	v_cmpx_gt_u16_e32 8, v7
	s_cbranch_execz .LBB315_17
; %bb.16:
	ds_load_2addr_b32 v[2:3], v1 offset1:8
	s_waitcnt lgkmcnt(0)
	v_add_f32_e32 v2, v3, v2
	ds_store_b32 v1, v2
.LBB315_17:
	s_or_b32 exec_lo, exec_lo, s0
	s_delay_alu instid0(SALU_CYCLE_1)
	s_mov_b32 s0, exec_lo
	s_waitcnt lgkmcnt(0)
	s_barrier
	buffer_gl0_inv
	;; [unrolled: 14-line block ×3, first 2 shown]
	v_cmpx_gt_u16_e32 2, v7
	s_cbranch_execz .LBB315_21
; %bb.20:
	ds_load_2addr_b32 v[2:3], v1 offset1:2
	s_waitcnt lgkmcnt(0)
	v_add_f32_e32 v2, v3, v2
	ds_store_b32 v1, v2
.LBB315_21:
	s_or_b32 exec_lo, exec_lo, s0
	s_mov_b32 s1, 0
	s_mov_b32 s0, 0
	s_mov_b32 s2, exec_lo
	s_waitcnt lgkmcnt(0)
	s_barrier
	buffer_gl0_inv
                                        ; implicit-def: $vgpr2
                                        ; implicit-def: $vgpr3
	v_cmpx_gt_u32_e32 28, v0
	s_xor_b32 s2, exec_lo, s2
; %bb.22:
	v_mul_u32_u24_e32 v2, 28, v0
	v_mad_u32_u24 v3, 0x6c, v0, v1
	s_mov_b32 s0, exec_lo
	s_delay_alu instid0(VALU_DEP_2)
	v_or_b32_e32 v2, 1, v2
; %bb.23:
	s_or_b32 exec_lo, exec_lo, s2
	s_delay_alu instid0(SALU_CYCLE_1)
	s_and_b32 vcc_lo, exec_lo, s1
	s_cbranch_vccnz .LBB315_25
	s_branch .LBB315_36
.LBB315_24:
	s_mov_b32 s0, 0
                                        ; implicit-def: $vgpr2
                                        ; implicit-def: $vgpr3
	s_cbranch_execz .LBB315_36
.LBB315_25:
	s_mov_b32 s1, exec_lo
	v_cmpx_gt_u32_e32 0x150, v0
	s_cbranch_execz .LBB315_27
; %bb.26:
	ds_load_2addr_stride64_b32 v[2:3], v1 offset1:7
	s_waitcnt lgkmcnt(0)
	v_add_f32_e32 v2, v3, v2
	ds_store_b32 v1, v2
.LBB315_27:
	s_or_b32 exec_lo, exec_lo, s1
	s_delay_alu instid0(SALU_CYCLE_1)
	s_mov_b32 s1, exec_lo
	s_waitcnt lgkmcnt(0)
	s_barrier
	buffer_gl0_inv
	v_cmpx_gt_u32_e32 0xe0, v0
	s_cbranch_execz .LBB315_29
; %bb.28:
	ds_load_2addr_b32 v[2:3], v1 offset1:224
	s_waitcnt lgkmcnt(0)
	v_add_f32_e32 v2, v3, v2
	ds_store_b32 v1, v2
.LBB315_29:
	s_or_b32 exec_lo, exec_lo, s1
	s_delay_alu instid0(SALU_CYCLE_1)
	s_mov_b32 s1, exec_lo
	s_waitcnt lgkmcnt(0)
	s_barrier
	buffer_gl0_inv
	v_cmpx_gt_u32_e32 0x70, v0
	s_cbranch_execz .LBB315_31
; %bb.30:
	ds_load_2addr_b32 v[2:3], v1 offset1:112
	s_waitcnt lgkmcnt(0)
	v_add_f32_e32 v2, v3, v2
	ds_store_b32 v1, v2
.LBB315_31:
	;; [unrolled: 14-line block ×3, first 2 shown]
	s_or_b32 exec_lo, exec_lo, s1
	s_delay_alu instid0(SALU_CYCLE_1)
	s_mov_b32 s1, exec_lo
	s_waitcnt lgkmcnt(0)
	buffer_gl0_inv
                                        ; implicit-def: $vgpr2
	v_cmpx_gt_u32_e32 28, v0
; %bb.34:
	v_add_nc_u32_e32 v2, 28, v0
	s_or_b32 s0, s0, exec_lo
                                        ; implicit-def: $vgpr6
; %bb.35:
	s_or_b32 exec_lo, exec_lo, s1
	v_mov_b32_e32 v3, v1
.LBB315_36:
	s_and_saveexec_b32 s1, s0
	s_cbranch_execz .LBB315_38
; %bb.37:
	v_lshlrev_b32_e32 v1, 2, v2
	ds_load_b32 v2, v3
	ds_load_b32 v1, v1
	s_waitcnt lgkmcnt(0)
	v_add_f32_e32 v6, v2, v1
.LBB315_38:
	s_or_b32 exec_lo, exec_lo, s1
	s_delay_alu instid0(SALU_CYCLE_1)
	s_mov_b32 s0, exec_lo
	v_cmpx_gt_u32_e32 28, v0
	s_cbranch_execz .LBB315_42
; %bb.39:
	v_cmp_eq_f32_e64 s0, s8, 0
	v_mul_f32_e32 v1, s12, v6
	s_delay_alu instid0(VALU_DEP_2)
	s_and_b32 vcc_lo, exec_lo, s0
	s_mov_b32 s0, 0
	s_cbranch_vccz .LBB315_43
; %bb.40:
	s_delay_alu instid0(VALU_DEP_1) | instskip(SKIP_1) | instid1(VALU_DEP_1)
	v_mad_u64_u32 v[2:3], null, s10, 28, v[0:1]
	v_mov_b32_e32 v3, 0
	v_lshlrev_b64 v[2:3], 2, v[2:3]
	s_delay_alu instid0(VALU_DEP_1) | instskip(NEXT) | instid1(VALU_DEP_2)
	v_add_co_u32 v2, vcc_lo, s4, v2
	v_add_co_ci_u32_e32 v3, vcc_lo, s5, v3, vcc_lo
	global_store_b32 v[2:3], v1, off
	s_and_not1_b32 vcc_lo, exec_lo, s0
	s_cbranch_vccnz .LBB315_42
.LBB315_41:
	v_mad_u64_u32 v[2:3], null, s10, 28, v[0:1]
	v_mov_b32_e32 v3, 0
	s_delay_alu instid0(VALU_DEP_1) | instskip(NEXT) | instid1(VALU_DEP_1)
	v_lshlrev_b64 v[2:3], 2, v[2:3]
	v_add_co_u32 v2, vcc_lo, s4, v2
	s_delay_alu instid0(VALU_DEP_2)
	v_add_co_ci_u32_e32 v3, vcc_lo, s5, v3, vcc_lo
	global_load_b32 v0, v[2:3], off
	s_waitcnt vmcnt(0)
	v_fmac_f32_e32 v1, s8, v0
	global_store_b32 v[2:3], v1, off
.LBB315_42:
	s_nop 0
	s_sendmsg sendmsg(MSG_DEALLOC_VGPRS)
	s_endpgm
.LBB315_43:
	s_branch .LBB315_41
	.section	.rodata,"a",@progbits
	.p2align	6, 0x0
	.amdhsa_kernel _ZN9rocsparseL20bsrxmvn_17_32_kernelILj28EfliDF16_DF16_fEEvT2_20rocsparse_direction_NS_24const_host_device_scalarIT0_EES1_PKS1_PKT1_SA_S7_PKT3_PKT4_S5_PT5_21rocsparse_index_base_b
		.amdhsa_group_segment_fixed_size 3136
		.amdhsa_private_segment_fixed_size 0
		.amdhsa_kernarg_size 96
		.amdhsa_user_sgpr_count 15
		.amdhsa_user_sgpr_dispatch_ptr 0
		.amdhsa_user_sgpr_queue_ptr 0
		.amdhsa_user_sgpr_kernarg_segment_ptr 1
		.amdhsa_user_sgpr_dispatch_id 0
		.amdhsa_user_sgpr_private_segment_size 0
		.amdhsa_wavefront_size32 1
		.amdhsa_uses_dynamic_stack 0
		.amdhsa_enable_private_segment 0
		.amdhsa_system_sgpr_workgroup_id_x 1
		.amdhsa_system_sgpr_workgroup_id_y 0
		.amdhsa_system_sgpr_workgroup_id_z 0
		.amdhsa_system_sgpr_workgroup_info 0
		.amdhsa_system_vgpr_workitem_id 0
		.amdhsa_next_free_vgpr 12
		.amdhsa_next_free_sgpr 24
		.amdhsa_reserve_vcc 1
		.amdhsa_float_round_mode_32 0
		.amdhsa_float_round_mode_16_64 0
		.amdhsa_float_denorm_mode_32 3
		.amdhsa_float_denorm_mode_16_64 3
		.amdhsa_dx10_clamp 1
		.amdhsa_ieee_mode 1
		.amdhsa_fp16_overflow 0
		.amdhsa_workgroup_processor_mode 1
		.amdhsa_memory_ordered 1
		.amdhsa_forward_progress 0
		.amdhsa_shared_vgpr_count 0
		.amdhsa_exception_fp_ieee_invalid_op 0
		.amdhsa_exception_fp_denorm_src 0
		.amdhsa_exception_fp_ieee_div_zero 0
		.amdhsa_exception_fp_ieee_overflow 0
		.amdhsa_exception_fp_ieee_underflow 0
		.amdhsa_exception_fp_ieee_inexact 0
		.amdhsa_exception_int_div_zero 0
	.end_amdhsa_kernel
	.section	.text._ZN9rocsparseL20bsrxmvn_17_32_kernelILj28EfliDF16_DF16_fEEvT2_20rocsparse_direction_NS_24const_host_device_scalarIT0_EES1_PKS1_PKT1_SA_S7_PKT3_PKT4_S5_PT5_21rocsparse_index_base_b,"axG",@progbits,_ZN9rocsparseL20bsrxmvn_17_32_kernelILj28EfliDF16_DF16_fEEvT2_20rocsparse_direction_NS_24const_host_device_scalarIT0_EES1_PKS1_PKT1_SA_S7_PKT3_PKT4_S5_PT5_21rocsparse_index_base_b,comdat
.Lfunc_end315:
	.size	_ZN9rocsparseL20bsrxmvn_17_32_kernelILj28EfliDF16_DF16_fEEvT2_20rocsparse_direction_NS_24const_host_device_scalarIT0_EES1_PKS1_PKT1_SA_S7_PKT3_PKT4_S5_PT5_21rocsparse_index_base_b, .Lfunc_end315-_ZN9rocsparseL20bsrxmvn_17_32_kernelILj28EfliDF16_DF16_fEEvT2_20rocsparse_direction_NS_24const_host_device_scalarIT0_EES1_PKS1_PKT1_SA_S7_PKT3_PKT4_S5_PT5_21rocsparse_index_base_b
                                        ; -- End function
	.section	.AMDGPU.csdata,"",@progbits
; Kernel info:
; codeLenInByte = 1612
; NumSgprs: 26
; NumVgprs: 12
; ScratchSize: 0
; MemoryBound: 0
; FloatMode: 240
; IeeeMode: 1
; LDSByteSize: 3136 bytes/workgroup (compile time only)
; SGPRBlocks: 3
; VGPRBlocks: 1
; NumSGPRsForWavesPerEU: 26
; NumVGPRsForWavesPerEU: 12
; Occupancy: 13
; WaveLimiterHint : 1
; COMPUTE_PGM_RSRC2:SCRATCH_EN: 0
; COMPUTE_PGM_RSRC2:USER_SGPR: 15
; COMPUTE_PGM_RSRC2:TRAP_HANDLER: 0
; COMPUTE_PGM_RSRC2:TGID_X_EN: 1
; COMPUTE_PGM_RSRC2:TGID_Y_EN: 0
; COMPUTE_PGM_RSRC2:TGID_Z_EN: 0
; COMPUTE_PGM_RSRC2:TIDIG_COMP_CNT: 0
	.section	.text._ZN9rocsparseL20bsrxmvn_17_32_kernelILj29EfliDF16_DF16_fEEvT2_20rocsparse_direction_NS_24const_host_device_scalarIT0_EES1_PKS1_PKT1_SA_S7_PKT3_PKT4_S5_PT5_21rocsparse_index_base_b,"axG",@progbits,_ZN9rocsparseL20bsrxmvn_17_32_kernelILj29EfliDF16_DF16_fEEvT2_20rocsparse_direction_NS_24const_host_device_scalarIT0_EES1_PKS1_PKT1_SA_S7_PKT3_PKT4_S5_PT5_21rocsparse_index_base_b,comdat
	.globl	_ZN9rocsparseL20bsrxmvn_17_32_kernelILj29EfliDF16_DF16_fEEvT2_20rocsparse_direction_NS_24const_host_device_scalarIT0_EES1_PKS1_PKT1_SA_S7_PKT3_PKT4_S5_PT5_21rocsparse_index_base_b ; -- Begin function _ZN9rocsparseL20bsrxmvn_17_32_kernelILj29EfliDF16_DF16_fEEvT2_20rocsparse_direction_NS_24const_host_device_scalarIT0_EES1_PKS1_PKT1_SA_S7_PKT3_PKT4_S5_PT5_21rocsparse_index_base_b
	.p2align	8
	.type	_ZN9rocsparseL20bsrxmvn_17_32_kernelILj29EfliDF16_DF16_fEEvT2_20rocsparse_direction_NS_24const_host_device_scalarIT0_EES1_PKS1_PKT1_SA_S7_PKT3_PKT4_S5_PT5_21rocsparse_index_base_b,@function
_ZN9rocsparseL20bsrxmvn_17_32_kernelILj29EfliDF16_DF16_fEEvT2_20rocsparse_direction_NS_24const_host_device_scalarIT0_EES1_PKS1_PKT1_SA_S7_PKT3_PKT4_S5_PT5_21rocsparse_index_base_b: ; @_ZN9rocsparseL20bsrxmvn_17_32_kernelILj29EfliDF16_DF16_fEEvT2_20rocsparse_direction_NS_24const_host_device_scalarIT0_EES1_PKS1_PKT1_SA_S7_PKT3_PKT4_S5_PT5_21rocsparse_index_base_b
; %bb.0:
	s_mov_b32 s10, s15
	s_clause 0x2
	s_load_b64 s[14:15], s[0:1], 0x58
	s_load_b64 s[12:13], s[0:1], 0x8
	;; [unrolled: 1-line block ×3, first 2 shown]
	s_waitcnt lgkmcnt(0)
	s_bitcmp1_b32 s15, 0
	s_cselect_b32 s2, -1, 0
	s_delay_alu instid0(SALU_CYCLE_1)
	s_and_b32 vcc_lo, exec_lo, s2
	s_xor_b32 s2, s2, -1
	s_cbranch_vccnz .LBB316_2
; %bb.1:
	s_load_b32 s12, s[12:13], 0x0
.LBB316_2:
	s_and_not1_b32 vcc_lo, exec_lo, s2
	s_cbranch_vccnz .LBB316_4
; %bb.3:
	s_load_b32 s8, s[8:9], 0x0
.LBB316_4:
	s_waitcnt lgkmcnt(0)
	v_cmp_neq_f32_e64 s2, s12, 0
	v_cmp_neq_f32_e64 s3, s8, 1.0
	s_delay_alu instid0(VALU_DEP_1) | instskip(NEXT) | instid1(SALU_CYCLE_1)
	s_or_b32 s2, s2, s3
	s_and_not1_b32 vcc_lo, exec_lo, s2
	s_cbranch_vccnz .LBB316_42
; %bb.5:
	s_clause 0x1
	s_load_b128 s[4:7], s[0:1], 0x18
	s_load_b64 s[16:17], s[0:1], 0x28
	s_waitcnt lgkmcnt(0)
	s_cmp_eq_u64 s[4:5], 0
	s_cbranch_scc1 .LBB316_7
; %bb.6:
	s_ashr_i32 s11, s10, 31
	s_delay_alu instid0(SALU_CYCLE_1) | instskip(NEXT) | instid1(SALU_CYCLE_1)
	s_lshl_b64 s[2:3], s[10:11], 2
	s_add_u32 s2, s4, s2
	s_addc_u32 s3, s5, s3
	s_load_b32 s2, s[2:3], 0x0
	s_waitcnt lgkmcnt(0)
	s_sub_i32 s10, s2, s14
.LBB316_7:
	s_load_b32 s3, s[0:1], 0x4
	v_mul_u32_u24_e32 v1, 0x8d4, v0
	v_mov_b32_e32 v6, 0
	s_delay_alu instid0(VALU_DEP_2) | instskip(NEXT) | instid1(VALU_DEP_1)
	v_lshrrev_b32_e32 v1, 16, v1
	v_mul_lo_u16 v2, v1, 29
	s_delay_alu instid0(VALU_DEP_1)
	v_sub_nc_u16 v7, v0, v2
	s_waitcnt lgkmcnt(0)
	s_cmp_eq_u32 s3, 1
	s_cselect_b32 s2, -1, 0
	s_cmp_lg_u32 s3, 1
	s_cselect_b32 s3, -1, 0
	s_ashr_i32 s11, s10, 31
	s_delay_alu instid0(SALU_CYCLE_1) | instskip(NEXT) | instid1(SALU_CYCLE_1)
	s_lshl_b64 s[4:5], s[10:11], 3
	s_add_u32 s6, s6, s4
	s_addc_u32 s7, s7, s5
	s_add_u32 s9, s6, 8
	s_addc_u32 s11, s7, 0
	;; [unrolled: 2-line block ×3, first 2 shown]
	s_cmp_eq_u64 s[16:17], 0
	s_cselect_b32 s5, s11, s5
	s_cselect_b32 s4, s9, s4
	s_load_b64 s[18:19], s[6:7], 0x0
	s_load_b64 s[6:7], s[4:5], 0x0
	;; [unrolled: 1-line block ×3, first 2 shown]
	s_waitcnt lgkmcnt(0)
	v_cmp_ge_i64_e64 s9, s[18:19], s[6:7]
	s_delay_alu instid0(VALU_DEP_1)
	s_and_b32 vcc_lo, exec_lo, s9
	s_cbranch_vccnz .LBB316_12
; %bb.8:
	v_and_b32_e32 v1, 0xffff, v1
	v_cmp_lt_u32_e32 vcc_lo, 0x348, v0
	s_clause 0x1
	s_load_b128 s[20:23], s[0:1], 0x30
	s_load_b64 s[0:1], s[0:1], 0x40
	s_sub_u32 s6, s6, s14
	s_subb_u32 s7, s7, 0
	v_subrev_nc_u32_e32 v3, 29, v1
	v_cndmask_b32_e64 v8, 0, 1, vcc_lo
	v_cmp_gt_u32_e32 vcc_lo, 0x349, v0
	v_and_b32_e32 v2, 0xffff, v7
	s_sub_u32 s16, s18, s14
	s_subb_u32 s17, s19, 0
	s_mul_hi_u32 s9, s16, 0x692
	v_cndmask_b32_e32 v1, v3, v1, vcc_lo
	s_mul_i32 s11, s17, 0x692
	v_lshlrev_b32_e32 v6, 1, v0
	s_add_i32 s9, s9, s11
	s_delay_alu instid0(VALU_DEP_2) | instskip(SKIP_1) | instid1(VALU_DEP_1)
	v_cndmask_b32_e64 v1, v2, v1, s2
	v_add_co_u32 v2, s2, s18, v8
	v_add_co_ci_u32_e64 v3, null, s19, 0, s2
	s_mul_i32 s2, s16, 0x692
	s_delay_alu instid0(VALU_DEP_2) | instskip(NEXT) | instid1(VALU_DEP_2)
	v_sub_co_u32 v2, vcc_lo, v2, s14
	v_subrev_co_ci_u32_e32 v3, vcc_lo, 0, v3, vcc_lo
	s_waitcnt lgkmcnt(0)
	s_add_u32 s2, s22, s2
	s_addc_u32 s9, s23, s9
	s_delay_alu instid0(VALU_DEP_1) | instskip(SKIP_1) | instid1(VALU_DEP_1)
	v_lshlrev_b64 v[4:5], 2, v[2:3]
	v_add_co_u32 v2, s2, s2, v6
	v_add_co_ci_u32_e64 v3, null, s9, 0, s2
	v_mov_b32_e32 v6, 0
	s_delay_alu instid0(VALU_DEP_4)
	v_add_co_u32 v4, vcc_lo, s20, v4
	v_add_co_ci_u32_e32 v5, vcc_lo, s21, v5, vcc_lo
	s_set_inst_prefetch_distance 0x1
	s_branch .LBB316_10
	.p2align	6
.LBB316_9:                              ;   in Loop: Header=BB316_10 Depth=1
	s_or_b32 exec_lo, exec_lo, s2
	s_add_u32 s16, s16, 1
	s_addc_u32 s17, s17, 0
	v_add_co_u32 v4, vcc_lo, v4, 4
	v_cmp_lt_i64_e64 s2, s[16:17], s[6:7]
	v_add_co_ci_u32_e32 v5, vcc_lo, 0, v5, vcc_lo
	s_delay_alu instid0(VALU_DEP_2)
	s_and_b32 vcc_lo, exec_lo, s2
	s_cbranch_vccz .LBB316_12
.LBB316_10:                             ; =>This Inner Loop Header: Depth=1
	v_add_co_u32 v9, s2, v8, s16
	s_delay_alu instid0(VALU_DEP_1) | instskip(SKIP_1) | instid1(VALU_DEP_1)
	v_add_co_ci_u32_e64 v10, null, 0, s17, s2
	s_mov_b32 s2, exec_lo
	v_cmpx_gt_i64_e64 s[6:7], v[9:10]
	s_cbranch_execz .LBB316_9
; %bb.11:                               ;   in Loop: Header=BB316_10 Depth=1
	global_load_b32 v9, v[4:5], off
	s_waitcnt vmcnt(0)
	v_subrev_nc_u32_e32 v11, s14, v9
	s_delay_alu instid0(VALU_DEP_1) | instskip(NEXT) | instid1(VALU_DEP_1)
	v_mad_u64_u32 v[9:10], null, v11, 29, v[1:2]
	v_ashrrev_i32_e32 v10, 31, v9
	s_delay_alu instid0(VALU_DEP_1) | instskip(NEXT) | instid1(VALU_DEP_1)
	v_lshlrev_b64 v[9:10], 1, v[9:10]
	v_add_co_u32 v9, vcc_lo, s0, v9
	s_delay_alu instid0(VALU_DEP_2)
	v_add_co_ci_u32_e32 v10, vcc_lo, s1, v10, vcc_lo
	global_load_u16 v11, v[2:3], off
	global_load_u16 v9, v[9:10], off
	v_add_co_u32 v2, vcc_lo, 0x692, v2
	v_add_co_ci_u32_e32 v3, vcc_lo, 0, v3, vcc_lo
	s_waitcnt vmcnt(0)
	v_fma_mix_f32 v6, v11, v9, v6 op_sel_hi:[1,1,0]
	s_branch .LBB316_9
.LBB316_12:
	s_set_inst_prefetch_distance 0x2
	v_lshlrev_b32_e32 v1, 2, v0
	s_and_b32 vcc_lo, exec_lo, s3
	ds_store_b32 v1, v6
	s_waitcnt lgkmcnt(0)
	s_barrier
	buffer_gl0_inv
	s_cbranch_vccz .LBB316_24
; %bb.13:
	s_mov_b32 s0, exec_lo
	v_cmpx_gt_u16_e32 13, v7
	s_cbranch_execz .LBB316_15
; %bb.14:
	ds_load_2addr_b32 v[2:3], v1 offset1:16
	s_waitcnt lgkmcnt(0)
	v_add_f32_e32 v2, v3, v2
	ds_store_b32 v1, v2
.LBB316_15:
	s_or_b32 exec_lo, exec_lo, s0
	s_delay_alu instid0(SALU_CYCLE_1)
	s_mov_b32 s0, exec_lo
	s_waitcnt lgkmcnt(0)
	s_barrier
	buffer_gl0_inv
	v_cmpx_gt_u16_e32 8, v7
	s_cbranch_execz .LBB316_17
; %bb.16:
	ds_load_2addr_b32 v[2:3], v1 offset1:8
	s_waitcnt lgkmcnt(0)
	v_add_f32_e32 v2, v3, v2
	ds_store_b32 v1, v2
.LBB316_17:
	s_or_b32 exec_lo, exec_lo, s0
	s_delay_alu instid0(SALU_CYCLE_1)
	s_mov_b32 s0, exec_lo
	s_waitcnt lgkmcnt(0)
	s_barrier
	buffer_gl0_inv
	;; [unrolled: 14-line block ×3, first 2 shown]
	v_cmpx_gt_u16_e32 2, v7
	s_cbranch_execz .LBB316_21
; %bb.20:
	ds_load_2addr_b32 v[2:3], v1 offset1:2
	s_waitcnt lgkmcnt(0)
	v_add_f32_e32 v2, v3, v2
	ds_store_b32 v1, v2
.LBB316_21:
	s_or_b32 exec_lo, exec_lo, s0
	s_mov_b32 s1, 0
	s_mov_b32 s0, 0
	s_mov_b32 s2, exec_lo
	s_waitcnt lgkmcnt(0)
	s_barrier
	buffer_gl0_inv
                                        ; implicit-def: $vgpr2
                                        ; implicit-def: $vgpr3
	v_cmpx_gt_u32_e32 29, v0
	s_xor_b32 s2, exec_lo, s2
; %bb.22:
	v_mad_u32_u24 v2, v0, 29, 1
	v_mad_u32_u24 v3, 0x70, v0, v1
	s_mov_b32 s0, exec_lo
; %bb.23:
	s_or_b32 exec_lo, exec_lo, s2
	s_delay_alu instid0(SALU_CYCLE_1)
	s_and_b32 vcc_lo, exec_lo, s1
	s_cbranch_vccnz .LBB316_25
	s_branch .LBB316_36
.LBB316_24:
	s_mov_b32 s0, 0
                                        ; implicit-def: $vgpr2
                                        ; implicit-def: $vgpr3
	s_cbranch_execz .LBB316_36
.LBB316_25:
	s_mov_b32 s1, exec_lo
	v_cmpx_gt_u32_e32 0x179, v0
	s_cbranch_execz .LBB316_27
; %bb.26:
	ds_load_b32 v2, v1 offset:1856
	ds_load_b32 v3, v1
	s_waitcnt lgkmcnt(0)
	v_add_f32_e32 v2, v2, v3
	ds_store_b32 v1, v2
.LBB316_27:
	s_or_b32 exec_lo, exec_lo, s1
	s_delay_alu instid0(SALU_CYCLE_1)
	s_mov_b32 s1, exec_lo
	s_waitcnt lgkmcnt(0)
	s_barrier
	buffer_gl0_inv
	v_cmpx_gt_u32_e32 0xe8, v0
	s_cbranch_execz .LBB316_29
; %bb.28:
	ds_load_2addr_b32 v[2:3], v1 offset1:232
	s_waitcnt lgkmcnt(0)
	v_add_f32_e32 v2, v3, v2
	ds_store_b32 v1, v2
.LBB316_29:
	s_or_b32 exec_lo, exec_lo, s1
	s_delay_alu instid0(SALU_CYCLE_1)
	s_mov_b32 s1, exec_lo
	s_waitcnt lgkmcnt(0)
	s_barrier
	buffer_gl0_inv
	v_cmpx_gt_u32_e32 0x74, v0
	s_cbranch_execz .LBB316_31
; %bb.30:
	ds_load_2addr_b32 v[2:3], v1 offset1:116
	s_waitcnt lgkmcnt(0)
	v_add_f32_e32 v2, v3, v2
	ds_store_b32 v1, v2
.LBB316_31:
	;; [unrolled: 14-line block ×3, first 2 shown]
	s_or_b32 exec_lo, exec_lo, s1
	s_delay_alu instid0(SALU_CYCLE_1)
	s_mov_b32 s1, exec_lo
	s_waitcnt lgkmcnt(0)
	buffer_gl0_inv
                                        ; implicit-def: $vgpr2
	v_cmpx_gt_u32_e32 29, v0
; %bb.34:
	v_add_nc_u32_e32 v2, 29, v0
	s_or_b32 s0, s0, exec_lo
                                        ; implicit-def: $vgpr6
; %bb.35:
	s_or_b32 exec_lo, exec_lo, s1
	v_mov_b32_e32 v3, v1
.LBB316_36:
	s_and_saveexec_b32 s1, s0
	s_cbranch_execz .LBB316_38
; %bb.37:
	v_lshlrev_b32_e32 v1, 2, v2
	ds_load_b32 v2, v3
	ds_load_b32 v1, v1
	s_waitcnt lgkmcnt(0)
	v_add_f32_e32 v6, v2, v1
.LBB316_38:
	s_or_b32 exec_lo, exec_lo, s1
	s_delay_alu instid0(SALU_CYCLE_1)
	s_mov_b32 s0, exec_lo
	v_cmpx_gt_u32_e32 29, v0
	s_cbranch_execz .LBB316_42
; %bb.39:
	v_cmp_eq_f32_e64 s0, s8, 0
	v_mul_f32_e32 v1, s12, v6
	s_delay_alu instid0(VALU_DEP_2)
	s_and_b32 vcc_lo, exec_lo, s0
	s_mov_b32 s0, 0
	s_cbranch_vccz .LBB316_43
; %bb.40:
	s_delay_alu instid0(VALU_DEP_1) | instskip(SKIP_1) | instid1(VALU_DEP_1)
	v_mad_u64_u32 v[2:3], null, s10, 29, v[0:1]
	v_mov_b32_e32 v3, 0
	v_lshlrev_b64 v[2:3], 2, v[2:3]
	s_delay_alu instid0(VALU_DEP_1) | instskip(NEXT) | instid1(VALU_DEP_2)
	v_add_co_u32 v2, vcc_lo, s4, v2
	v_add_co_ci_u32_e32 v3, vcc_lo, s5, v3, vcc_lo
	global_store_b32 v[2:3], v1, off
	s_and_not1_b32 vcc_lo, exec_lo, s0
	s_cbranch_vccnz .LBB316_42
.LBB316_41:
	v_mad_u64_u32 v[2:3], null, s10, 29, v[0:1]
	v_mov_b32_e32 v3, 0
	s_delay_alu instid0(VALU_DEP_1) | instskip(NEXT) | instid1(VALU_DEP_1)
	v_lshlrev_b64 v[2:3], 2, v[2:3]
	v_add_co_u32 v2, vcc_lo, s4, v2
	s_delay_alu instid0(VALU_DEP_2)
	v_add_co_ci_u32_e32 v3, vcc_lo, s5, v3, vcc_lo
	global_load_b32 v0, v[2:3], off
	s_waitcnt vmcnt(0)
	v_fmac_f32_e32 v1, s8, v0
	global_store_b32 v[2:3], v1, off
.LBB316_42:
	s_nop 0
	s_sendmsg sendmsg(MSG_DEALLOC_VGPRS)
	s_endpgm
.LBB316_43:
	s_branch .LBB316_41
	.section	.rodata,"a",@progbits
	.p2align	6, 0x0
	.amdhsa_kernel _ZN9rocsparseL20bsrxmvn_17_32_kernelILj29EfliDF16_DF16_fEEvT2_20rocsparse_direction_NS_24const_host_device_scalarIT0_EES1_PKS1_PKT1_SA_S7_PKT3_PKT4_S5_PT5_21rocsparse_index_base_b
		.amdhsa_group_segment_fixed_size 3364
		.amdhsa_private_segment_fixed_size 0
		.amdhsa_kernarg_size 96
		.amdhsa_user_sgpr_count 15
		.amdhsa_user_sgpr_dispatch_ptr 0
		.amdhsa_user_sgpr_queue_ptr 0
		.amdhsa_user_sgpr_kernarg_segment_ptr 1
		.amdhsa_user_sgpr_dispatch_id 0
		.amdhsa_user_sgpr_private_segment_size 0
		.amdhsa_wavefront_size32 1
		.amdhsa_uses_dynamic_stack 0
		.amdhsa_enable_private_segment 0
		.amdhsa_system_sgpr_workgroup_id_x 1
		.amdhsa_system_sgpr_workgroup_id_y 0
		.amdhsa_system_sgpr_workgroup_id_z 0
		.amdhsa_system_sgpr_workgroup_info 0
		.amdhsa_system_vgpr_workitem_id 0
		.amdhsa_next_free_vgpr 12
		.amdhsa_next_free_sgpr 24
		.amdhsa_reserve_vcc 1
		.amdhsa_float_round_mode_32 0
		.amdhsa_float_round_mode_16_64 0
		.amdhsa_float_denorm_mode_32 3
		.amdhsa_float_denorm_mode_16_64 3
		.amdhsa_dx10_clamp 1
		.amdhsa_ieee_mode 1
		.amdhsa_fp16_overflow 0
		.amdhsa_workgroup_processor_mode 1
		.amdhsa_memory_ordered 1
		.amdhsa_forward_progress 0
		.amdhsa_shared_vgpr_count 0
		.amdhsa_exception_fp_ieee_invalid_op 0
		.amdhsa_exception_fp_denorm_src 0
		.amdhsa_exception_fp_ieee_div_zero 0
		.amdhsa_exception_fp_ieee_overflow 0
		.amdhsa_exception_fp_ieee_underflow 0
		.amdhsa_exception_fp_ieee_inexact 0
		.amdhsa_exception_int_div_zero 0
	.end_amdhsa_kernel
	.section	.text._ZN9rocsparseL20bsrxmvn_17_32_kernelILj29EfliDF16_DF16_fEEvT2_20rocsparse_direction_NS_24const_host_device_scalarIT0_EES1_PKS1_PKT1_SA_S7_PKT3_PKT4_S5_PT5_21rocsparse_index_base_b,"axG",@progbits,_ZN9rocsparseL20bsrxmvn_17_32_kernelILj29EfliDF16_DF16_fEEvT2_20rocsparse_direction_NS_24const_host_device_scalarIT0_EES1_PKS1_PKT1_SA_S7_PKT3_PKT4_S5_PT5_21rocsparse_index_base_b,comdat
.Lfunc_end316:
	.size	_ZN9rocsparseL20bsrxmvn_17_32_kernelILj29EfliDF16_DF16_fEEvT2_20rocsparse_direction_NS_24const_host_device_scalarIT0_EES1_PKS1_PKT1_SA_S7_PKT3_PKT4_S5_PT5_21rocsparse_index_base_b, .Lfunc_end316-_ZN9rocsparseL20bsrxmvn_17_32_kernelILj29EfliDF16_DF16_fEEvT2_20rocsparse_direction_NS_24const_host_device_scalarIT0_EES1_PKS1_PKT1_SA_S7_PKT3_PKT4_S5_PT5_21rocsparse_index_base_b
                                        ; -- End function
	.section	.AMDGPU.csdata,"",@progbits
; Kernel info:
; codeLenInByte = 1616
; NumSgprs: 26
; NumVgprs: 12
; ScratchSize: 0
; MemoryBound: 0
; FloatMode: 240
; IeeeMode: 1
; LDSByteSize: 3364 bytes/workgroup (compile time only)
; SGPRBlocks: 3
; VGPRBlocks: 1
; NumSGPRsForWavesPerEU: 26
; NumVGPRsForWavesPerEU: 12
; Occupancy: 14
; WaveLimiterHint : 1
; COMPUTE_PGM_RSRC2:SCRATCH_EN: 0
; COMPUTE_PGM_RSRC2:USER_SGPR: 15
; COMPUTE_PGM_RSRC2:TRAP_HANDLER: 0
; COMPUTE_PGM_RSRC2:TGID_X_EN: 1
; COMPUTE_PGM_RSRC2:TGID_Y_EN: 0
; COMPUTE_PGM_RSRC2:TGID_Z_EN: 0
; COMPUTE_PGM_RSRC2:TIDIG_COMP_CNT: 0
	.section	.text._ZN9rocsparseL20bsrxmvn_17_32_kernelILj30EfliDF16_DF16_fEEvT2_20rocsparse_direction_NS_24const_host_device_scalarIT0_EES1_PKS1_PKT1_SA_S7_PKT3_PKT4_S5_PT5_21rocsparse_index_base_b,"axG",@progbits,_ZN9rocsparseL20bsrxmvn_17_32_kernelILj30EfliDF16_DF16_fEEvT2_20rocsparse_direction_NS_24const_host_device_scalarIT0_EES1_PKS1_PKT1_SA_S7_PKT3_PKT4_S5_PT5_21rocsparse_index_base_b,comdat
	.globl	_ZN9rocsparseL20bsrxmvn_17_32_kernelILj30EfliDF16_DF16_fEEvT2_20rocsparse_direction_NS_24const_host_device_scalarIT0_EES1_PKS1_PKT1_SA_S7_PKT3_PKT4_S5_PT5_21rocsparse_index_base_b ; -- Begin function _ZN9rocsparseL20bsrxmvn_17_32_kernelILj30EfliDF16_DF16_fEEvT2_20rocsparse_direction_NS_24const_host_device_scalarIT0_EES1_PKS1_PKT1_SA_S7_PKT3_PKT4_S5_PT5_21rocsparse_index_base_b
	.p2align	8
	.type	_ZN9rocsparseL20bsrxmvn_17_32_kernelILj30EfliDF16_DF16_fEEvT2_20rocsparse_direction_NS_24const_host_device_scalarIT0_EES1_PKS1_PKT1_SA_S7_PKT3_PKT4_S5_PT5_21rocsparse_index_base_b,@function
_ZN9rocsparseL20bsrxmvn_17_32_kernelILj30EfliDF16_DF16_fEEvT2_20rocsparse_direction_NS_24const_host_device_scalarIT0_EES1_PKS1_PKT1_SA_S7_PKT3_PKT4_S5_PT5_21rocsparse_index_base_b: ; @_ZN9rocsparseL20bsrxmvn_17_32_kernelILj30EfliDF16_DF16_fEEvT2_20rocsparse_direction_NS_24const_host_device_scalarIT0_EES1_PKS1_PKT1_SA_S7_PKT3_PKT4_S5_PT5_21rocsparse_index_base_b
; %bb.0:
	s_mov_b32 s10, s15
	s_clause 0x2
	s_load_b64 s[14:15], s[0:1], 0x58
	s_load_b64 s[12:13], s[0:1], 0x8
	;; [unrolled: 1-line block ×3, first 2 shown]
	s_waitcnt lgkmcnt(0)
	s_bitcmp1_b32 s15, 0
	s_cselect_b32 s2, -1, 0
	s_delay_alu instid0(SALU_CYCLE_1)
	s_and_b32 vcc_lo, exec_lo, s2
	s_xor_b32 s2, s2, -1
	s_cbranch_vccnz .LBB317_2
; %bb.1:
	s_load_b32 s12, s[12:13], 0x0
.LBB317_2:
	s_and_not1_b32 vcc_lo, exec_lo, s2
	s_cbranch_vccnz .LBB317_4
; %bb.3:
	s_load_b32 s8, s[8:9], 0x0
.LBB317_4:
	s_waitcnt lgkmcnt(0)
	v_cmp_neq_f32_e64 s2, s12, 0
	v_cmp_neq_f32_e64 s3, s8, 1.0
	s_delay_alu instid0(VALU_DEP_1) | instskip(NEXT) | instid1(SALU_CYCLE_1)
	s_or_b32 s2, s2, s3
	s_and_not1_b32 vcc_lo, exec_lo, s2
	s_cbranch_vccnz .LBB317_42
; %bb.5:
	s_clause 0x1
	s_load_b128 s[4:7], s[0:1], 0x18
	s_load_b64 s[16:17], s[0:1], 0x28
	s_waitcnt lgkmcnt(0)
	s_cmp_eq_u64 s[4:5], 0
	s_cbranch_scc1 .LBB317_7
; %bb.6:
	s_ashr_i32 s11, s10, 31
	s_delay_alu instid0(SALU_CYCLE_1) | instskip(NEXT) | instid1(SALU_CYCLE_1)
	s_lshl_b64 s[2:3], s[10:11], 2
	s_add_u32 s2, s4, s2
	s_addc_u32 s3, s5, s3
	s_load_b32 s2, s[2:3], 0x0
	s_waitcnt lgkmcnt(0)
	s_sub_i32 s10, s2, s14
.LBB317_7:
	s_load_b32 s3, s[0:1], 0x4
	v_mul_u32_u24_e32 v1, 0x889, v0
	v_mov_b32_e32 v6, 0
	s_delay_alu instid0(VALU_DEP_2) | instskip(NEXT) | instid1(VALU_DEP_1)
	v_lshrrev_b32_e32 v1, 16, v1
	v_mul_lo_u16 v2, v1, 30
	s_delay_alu instid0(VALU_DEP_1)
	v_sub_nc_u16 v7, v0, v2
	s_waitcnt lgkmcnt(0)
	s_cmp_eq_u32 s3, 1
	s_cselect_b32 s2, -1, 0
	s_cmp_lg_u32 s3, 1
	s_cselect_b32 s3, -1, 0
	s_ashr_i32 s11, s10, 31
	s_delay_alu instid0(SALU_CYCLE_1) | instskip(NEXT) | instid1(SALU_CYCLE_1)
	s_lshl_b64 s[4:5], s[10:11], 3
	s_add_u32 s6, s6, s4
	s_addc_u32 s7, s7, s5
	s_add_u32 s9, s6, 8
	s_addc_u32 s11, s7, 0
	;; [unrolled: 2-line block ×3, first 2 shown]
	s_cmp_eq_u64 s[16:17], 0
	s_cselect_b32 s5, s11, s5
	s_cselect_b32 s4, s9, s4
	s_load_b64 s[18:19], s[6:7], 0x0
	s_load_b64 s[6:7], s[4:5], 0x0
	;; [unrolled: 1-line block ×3, first 2 shown]
	s_waitcnt lgkmcnt(0)
	v_cmp_ge_i64_e64 s9, s[18:19], s[6:7]
	s_delay_alu instid0(VALU_DEP_1)
	s_and_b32 vcc_lo, exec_lo, s9
	s_cbranch_vccnz .LBB317_12
; %bb.8:
	v_and_b32_e32 v1, 0xffff, v1
	v_cmp_lt_u32_e32 vcc_lo, 0x383, v0
	s_clause 0x1
	s_load_b128 s[20:23], s[0:1], 0x30
	s_load_b64 s[0:1], s[0:1], 0x40
	s_sub_u32 s6, s6, s14
	s_subb_u32 s7, s7, 0
	v_subrev_nc_u32_e32 v3, 30, v1
	v_cndmask_b32_e64 v8, 0, 1, vcc_lo
	v_cmp_gt_u32_e32 vcc_lo, 0x384, v0
	v_and_b32_e32 v2, 0xffff, v7
	s_sub_u32 s16, s18, s14
	s_subb_u32 s17, s19, 0
	s_mul_hi_u32 s9, s16, 0x708
	v_cndmask_b32_e32 v1, v3, v1, vcc_lo
	s_mul_i32 s11, s17, 0x708
	v_lshlrev_b32_e32 v6, 1, v0
	s_add_i32 s9, s9, s11
	s_delay_alu instid0(VALU_DEP_2) | instskip(SKIP_1) | instid1(VALU_DEP_1)
	v_cndmask_b32_e64 v1, v2, v1, s2
	v_add_co_u32 v2, s2, s18, v8
	v_add_co_ci_u32_e64 v3, null, s19, 0, s2
	s_mul_i32 s2, s16, 0x708
	s_delay_alu instid0(VALU_DEP_2) | instskip(NEXT) | instid1(VALU_DEP_2)
	v_sub_co_u32 v2, vcc_lo, v2, s14
	v_subrev_co_ci_u32_e32 v3, vcc_lo, 0, v3, vcc_lo
	s_waitcnt lgkmcnt(0)
	s_add_u32 s2, s22, s2
	s_addc_u32 s9, s23, s9
	s_delay_alu instid0(VALU_DEP_1) | instskip(SKIP_1) | instid1(VALU_DEP_1)
	v_lshlrev_b64 v[4:5], 2, v[2:3]
	v_add_co_u32 v2, s2, s2, v6
	v_add_co_ci_u32_e64 v3, null, s9, 0, s2
	v_mov_b32_e32 v6, 0
	s_delay_alu instid0(VALU_DEP_4)
	v_add_co_u32 v4, vcc_lo, s20, v4
	v_add_co_ci_u32_e32 v5, vcc_lo, s21, v5, vcc_lo
	s_set_inst_prefetch_distance 0x1
	s_branch .LBB317_10
	.p2align	6
.LBB317_9:                              ;   in Loop: Header=BB317_10 Depth=1
	s_or_b32 exec_lo, exec_lo, s2
	s_add_u32 s16, s16, 1
	s_addc_u32 s17, s17, 0
	v_add_co_u32 v4, vcc_lo, v4, 4
	v_cmp_lt_i64_e64 s2, s[16:17], s[6:7]
	v_add_co_ci_u32_e32 v5, vcc_lo, 0, v5, vcc_lo
	s_delay_alu instid0(VALU_DEP_2)
	s_and_b32 vcc_lo, exec_lo, s2
	s_cbranch_vccz .LBB317_12
.LBB317_10:                             ; =>This Inner Loop Header: Depth=1
	v_add_co_u32 v9, s2, v8, s16
	s_delay_alu instid0(VALU_DEP_1) | instskip(SKIP_1) | instid1(VALU_DEP_1)
	v_add_co_ci_u32_e64 v10, null, 0, s17, s2
	s_mov_b32 s2, exec_lo
	v_cmpx_gt_i64_e64 s[6:7], v[9:10]
	s_cbranch_execz .LBB317_9
; %bb.11:                               ;   in Loop: Header=BB317_10 Depth=1
	global_load_b32 v9, v[4:5], off
	s_waitcnt vmcnt(0)
	v_subrev_nc_u32_e32 v11, s14, v9
	s_delay_alu instid0(VALU_DEP_1) | instskip(NEXT) | instid1(VALU_DEP_1)
	v_mad_u64_u32 v[9:10], null, v11, 30, v[1:2]
	v_ashrrev_i32_e32 v10, 31, v9
	s_delay_alu instid0(VALU_DEP_1) | instskip(NEXT) | instid1(VALU_DEP_1)
	v_lshlrev_b64 v[9:10], 1, v[9:10]
	v_add_co_u32 v9, vcc_lo, s0, v9
	s_delay_alu instid0(VALU_DEP_2)
	v_add_co_ci_u32_e32 v10, vcc_lo, s1, v10, vcc_lo
	global_load_u16 v11, v[2:3], off
	global_load_u16 v9, v[9:10], off
	v_add_co_u32 v2, vcc_lo, 0x708, v2
	v_add_co_ci_u32_e32 v3, vcc_lo, 0, v3, vcc_lo
	s_waitcnt vmcnt(0)
	v_fma_mix_f32 v6, v11, v9, v6 op_sel_hi:[1,1,0]
	s_branch .LBB317_9
.LBB317_12:
	s_set_inst_prefetch_distance 0x2
	v_lshlrev_b32_e32 v1, 2, v0
	s_and_b32 vcc_lo, exec_lo, s3
	ds_store_b32 v1, v6
	s_waitcnt lgkmcnt(0)
	s_barrier
	buffer_gl0_inv
	s_cbranch_vccz .LBB317_24
; %bb.13:
	s_mov_b32 s0, exec_lo
	v_cmpx_gt_u16_e32 14, v7
	s_cbranch_execz .LBB317_15
; %bb.14:
	ds_load_2addr_b32 v[2:3], v1 offset1:16
	s_waitcnt lgkmcnt(0)
	v_add_f32_e32 v2, v3, v2
	ds_store_b32 v1, v2
.LBB317_15:
	s_or_b32 exec_lo, exec_lo, s0
	s_delay_alu instid0(SALU_CYCLE_1)
	s_mov_b32 s0, exec_lo
	s_waitcnt lgkmcnt(0)
	s_barrier
	buffer_gl0_inv
	v_cmpx_gt_u16_e32 8, v7
	s_cbranch_execz .LBB317_17
; %bb.16:
	ds_load_2addr_b32 v[2:3], v1 offset1:8
	s_waitcnt lgkmcnt(0)
	v_add_f32_e32 v2, v3, v2
	ds_store_b32 v1, v2
.LBB317_17:
	s_or_b32 exec_lo, exec_lo, s0
	s_delay_alu instid0(SALU_CYCLE_1)
	s_mov_b32 s0, exec_lo
	s_waitcnt lgkmcnt(0)
	s_barrier
	buffer_gl0_inv
	v_cmpx_gt_u16_e32 4, v7
	s_cbranch_execz .LBB317_19
; %bb.18:
	ds_load_2addr_b32 v[2:3], v1 offset1:4
	s_waitcnt lgkmcnt(0)
	v_add_f32_e32 v2, v3, v2
	ds_store_b32 v1, v2
.LBB317_19:
	s_or_b32 exec_lo, exec_lo, s0
	s_delay_alu instid0(SALU_CYCLE_1)
	s_mov_b32 s0, exec_lo
	s_waitcnt lgkmcnt(0)
	s_barrier
	buffer_gl0_inv
	v_cmpx_gt_u16_e32 2, v7
	s_cbranch_execz .LBB317_21
; %bb.20:
	ds_load_2addr_b32 v[2:3], v1 offset1:2
	s_waitcnt lgkmcnt(0)
	v_add_f32_e32 v2, v3, v2
	ds_store_b32 v1, v2
.LBB317_21:
	s_or_b32 exec_lo, exec_lo, s0
	s_mov_b32 s1, 0
	s_mov_b32 s0, 0
	s_mov_b32 s2, exec_lo
	s_waitcnt lgkmcnt(0)
	s_barrier
	buffer_gl0_inv
                                        ; implicit-def: $vgpr2
                                        ; implicit-def: $vgpr3
	v_cmpx_gt_u32_e32 30, v0
	s_xor_b32 s2, exec_lo, s2
; %bb.22:
	v_mul_u32_u24_e32 v2, 30, v0
	v_mad_u32_u24 v3, 0x74, v0, v1
	s_mov_b32 s0, exec_lo
	s_delay_alu instid0(VALU_DEP_2)
	v_or_b32_e32 v2, 1, v2
; %bb.23:
	s_or_b32 exec_lo, exec_lo, s2
	s_delay_alu instid0(SALU_CYCLE_1)
	s_and_b32 vcc_lo, exec_lo, s1
	s_cbranch_vccnz .LBB317_25
	s_branch .LBB317_36
.LBB317_24:
	s_mov_b32 s0, 0
                                        ; implicit-def: $vgpr2
                                        ; implicit-def: $vgpr3
	s_cbranch_execz .LBB317_36
.LBB317_25:
	s_mov_b32 s1, exec_lo
	v_cmpx_gt_u32_e32 0x1a4, v0
	s_cbranch_execz .LBB317_27
; %bb.26:
	ds_load_b32 v2, v1 offset:1920
	ds_load_b32 v3, v1
	s_waitcnt lgkmcnt(0)
	v_add_f32_e32 v2, v2, v3
	ds_store_b32 v1, v2
.LBB317_27:
	s_or_b32 exec_lo, exec_lo, s1
	s_delay_alu instid0(SALU_CYCLE_1)
	s_mov_b32 s1, exec_lo
	s_waitcnt lgkmcnt(0)
	s_barrier
	buffer_gl0_inv
	v_cmpx_gt_u32_e32 0xf0, v0
	s_cbranch_execz .LBB317_29
; %bb.28:
	ds_load_2addr_b32 v[2:3], v1 offset1:240
	s_waitcnt lgkmcnt(0)
	v_add_f32_e32 v2, v3, v2
	ds_store_b32 v1, v2
.LBB317_29:
	s_or_b32 exec_lo, exec_lo, s1
	s_delay_alu instid0(SALU_CYCLE_1)
	s_mov_b32 s1, exec_lo
	s_waitcnt lgkmcnt(0)
	s_barrier
	buffer_gl0_inv
	v_cmpx_gt_u32_e32 0x78, v0
	s_cbranch_execz .LBB317_31
; %bb.30:
	ds_load_2addr_b32 v[2:3], v1 offset1:120
	s_waitcnt lgkmcnt(0)
	v_add_f32_e32 v2, v3, v2
	ds_store_b32 v1, v2
.LBB317_31:
	;; [unrolled: 14-line block ×3, first 2 shown]
	s_or_b32 exec_lo, exec_lo, s1
	s_delay_alu instid0(SALU_CYCLE_1)
	s_mov_b32 s1, exec_lo
	s_waitcnt lgkmcnt(0)
	buffer_gl0_inv
                                        ; implicit-def: $vgpr2
	v_cmpx_gt_u32_e32 30, v0
; %bb.34:
	v_add_nc_u32_e32 v2, 30, v0
	s_or_b32 s0, s0, exec_lo
                                        ; implicit-def: $vgpr6
; %bb.35:
	s_or_b32 exec_lo, exec_lo, s1
	v_mov_b32_e32 v3, v1
.LBB317_36:
	s_and_saveexec_b32 s1, s0
	s_cbranch_execz .LBB317_38
; %bb.37:
	v_lshlrev_b32_e32 v1, 2, v2
	ds_load_b32 v2, v3
	ds_load_b32 v1, v1
	s_waitcnt lgkmcnt(0)
	v_add_f32_e32 v6, v2, v1
.LBB317_38:
	s_or_b32 exec_lo, exec_lo, s1
	s_delay_alu instid0(SALU_CYCLE_1)
	s_mov_b32 s0, exec_lo
	v_cmpx_gt_u32_e32 30, v0
	s_cbranch_execz .LBB317_42
; %bb.39:
	v_cmp_eq_f32_e64 s0, s8, 0
	v_mul_f32_e32 v1, s12, v6
	s_delay_alu instid0(VALU_DEP_2)
	s_and_b32 vcc_lo, exec_lo, s0
	s_mov_b32 s0, 0
	s_cbranch_vccz .LBB317_43
; %bb.40:
	s_delay_alu instid0(VALU_DEP_1) | instskip(SKIP_1) | instid1(VALU_DEP_1)
	v_mad_u64_u32 v[2:3], null, s10, 30, v[0:1]
	v_mov_b32_e32 v3, 0
	v_lshlrev_b64 v[2:3], 2, v[2:3]
	s_delay_alu instid0(VALU_DEP_1) | instskip(NEXT) | instid1(VALU_DEP_2)
	v_add_co_u32 v2, vcc_lo, s4, v2
	v_add_co_ci_u32_e32 v3, vcc_lo, s5, v3, vcc_lo
	global_store_b32 v[2:3], v1, off
	s_and_not1_b32 vcc_lo, exec_lo, s0
	s_cbranch_vccnz .LBB317_42
.LBB317_41:
	v_mad_u64_u32 v[2:3], null, s10, 30, v[0:1]
	v_mov_b32_e32 v3, 0
	s_delay_alu instid0(VALU_DEP_1) | instskip(NEXT) | instid1(VALU_DEP_1)
	v_lshlrev_b64 v[2:3], 2, v[2:3]
	v_add_co_u32 v2, vcc_lo, s4, v2
	s_delay_alu instid0(VALU_DEP_2)
	v_add_co_ci_u32_e32 v3, vcc_lo, s5, v3, vcc_lo
	global_load_b32 v0, v[2:3], off
	s_waitcnt vmcnt(0)
	v_fmac_f32_e32 v1, s8, v0
	global_store_b32 v[2:3], v1, off
.LBB317_42:
	s_nop 0
	s_sendmsg sendmsg(MSG_DEALLOC_VGPRS)
	s_endpgm
.LBB317_43:
	s_branch .LBB317_41
	.section	.rodata,"a",@progbits
	.p2align	6, 0x0
	.amdhsa_kernel _ZN9rocsparseL20bsrxmvn_17_32_kernelILj30EfliDF16_DF16_fEEvT2_20rocsparse_direction_NS_24const_host_device_scalarIT0_EES1_PKS1_PKT1_SA_S7_PKT3_PKT4_S5_PT5_21rocsparse_index_base_b
		.amdhsa_group_segment_fixed_size 3600
		.amdhsa_private_segment_fixed_size 0
		.amdhsa_kernarg_size 96
		.amdhsa_user_sgpr_count 15
		.amdhsa_user_sgpr_dispatch_ptr 0
		.amdhsa_user_sgpr_queue_ptr 0
		.amdhsa_user_sgpr_kernarg_segment_ptr 1
		.amdhsa_user_sgpr_dispatch_id 0
		.amdhsa_user_sgpr_private_segment_size 0
		.amdhsa_wavefront_size32 1
		.amdhsa_uses_dynamic_stack 0
		.amdhsa_enable_private_segment 0
		.amdhsa_system_sgpr_workgroup_id_x 1
		.amdhsa_system_sgpr_workgroup_id_y 0
		.amdhsa_system_sgpr_workgroup_id_z 0
		.amdhsa_system_sgpr_workgroup_info 0
		.amdhsa_system_vgpr_workitem_id 0
		.amdhsa_next_free_vgpr 12
		.amdhsa_next_free_sgpr 24
		.amdhsa_reserve_vcc 1
		.amdhsa_float_round_mode_32 0
		.amdhsa_float_round_mode_16_64 0
		.amdhsa_float_denorm_mode_32 3
		.amdhsa_float_denorm_mode_16_64 3
		.amdhsa_dx10_clamp 1
		.amdhsa_ieee_mode 1
		.amdhsa_fp16_overflow 0
		.amdhsa_workgroup_processor_mode 1
		.amdhsa_memory_ordered 1
		.amdhsa_forward_progress 0
		.amdhsa_shared_vgpr_count 0
		.amdhsa_exception_fp_ieee_invalid_op 0
		.amdhsa_exception_fp_denorm_src 0
		.amdhsa_exception_fp_ieee_div_zero 0
		.amdhsa_exception_fp_ieee_overflow 0
		.amdhsa_exception_fp_ieee_underflow 0
		.amdhsa_exception_fp_ieee_inexact 0
		.amdhsa_exception_int_div_zero 0
	.end_amdhsa_kernel
	.section	.text._ZN9rocsparseL20bsrxmvn_17_32_kernelILj30EfliDF16_DF16_fEEvT2_20rocsparse_direction_NS_24const_host_device_scalarIT0_EES1_PKS1_PKT1_SA_S7_PKT3_PKT4_S5_PT5_21rocsparse_index_base_b,"axG",@progbits,_ZN9rocsparseL20bsrxmvn_17_32_kernelILj30EfliDF16_DF16_fEEvT2_20rocsparse_direction_NS_24const_host_device_scalarIT0_EES1_PKS1_PKT1_SA_S7_PKT3_PKT4_S5_PT5_21rocsparse_index_base_b,comdat
.Lfunc_end317:
	.size	_ZN9rocsparseL20bsrxmvn_17_32_kernelILj30EfliDF16_DF16_fEEvT2_20rocsparse_direction_NS_24const_host_device_scalarIT0_EES1_PKS1_PKT1_SA_S7_PKT3_PKT4_S5_PT5_21rocsparse_index_base_b, .Lfunc_end317-_ZN9rocsparseL20bsrxmvn_17_32_kernelILj30EfliDF16_DF16_fEEvT2_20rocsparse_direction_NS_24const_host_device_scalarIT0_EES1_PKS1_PKT1_SA_S7_PKT3_PKT4_S5_PT5_21rocsparse_index_base_b
                                        ; -- End function
	.section	.AMDGPU.csdata,"",@progbits
; Kernel info:
; codeLenInByte = 1620
; NumSgprs: 26
; NumVgprs: 12
; ScratchSize: 0
; MemoryBound: 0
; FloatMode: 240
; IeeeMode: 1
; LDSByteSize: 3600 bytes/workgroup (compile time only)
; SGPRBlocks: 3
; VGPRBlocks: 1
; NumSGPRsForWavesPerEU: 26
; NumVGPRsForWavesPerEU: 12
; Occupancy: 15
; WaveLimiterHint : 1
; COMPUTE_PGM_RSRC2:SCRATCH_EN: 0
; COMPUTE_PGM_RSRC2:USER_SGPR: 15
; COMPUTE_PGM_RSRC2:TRAP_HANDLER: 0
; COMPUTE_PGM_RSRC2:TGID_X_EN: 1
; COMPUTE_PGM_RSRC2:TGID_Y_EN: 0
; COMPUTE_PGM_RSRC2:TGID_Z_EN: 0
; COMPUTE_PGM_RSRC2:TIDIG_COMP_CNT: 0
	.section	.text._ZN9rocsparseL20bsrxmvn_17_32_kernelILj31EfliDF16_DF16_fEEvT2_20rocsparse_direction_NS_24const_host_device_scalarIT0_EES1_PKS1_PKT1_SA_S7_PKT3_PKT4_S5_PT5_21rocsparse_index_base_b,"axG",@progbits,_ZN9rocsparseL20bsrxmvn_17_32_kernelILj31EfliDF16_DF16_fEEvT2_20rocsparse_direction_NS_24const_host_device_scalarIT0_EES1_PKS1_PKT1_SA_S7_PKT3_PKT4_S5_PT5_21rocsparse_index_base_b,comdat
	.globl	_ZN9rocsparseL20bsrxmvn_17_32_kernelILj31EfliDF16_DF16_fEEvT2_20rocsparse_direction_NS_24const_host_device_scalarIT0_EES1_PKS1_PKT1_SA_S7_PKT3_PKT4_S5_PT5_21rocsparse_index_base_b ; -- Begin function _ZN9rocsparseL20bsrxmvn_17_32_kernelILj31EfliDF16_DF16_fEEvT2_20rocsparse_direction_NS_24const_host_device_scalarIT0_EES1_PKS1_PKT1_SA_S7_PKT3_PKT4_S5_PT5_21rocsparse_index_base_b
	.p2align	8
	.type	_ZN9rocsparseL20bsrxmvn_17_32_kernelILj31EfliDF16_DF16_fEEvT2_20rocsparse_direction_NS_24const_host_device_scalarIT0_EES1_PKS1_PKT1_SA_S7_PKT3_PKT4_S5_PT5_21rocsparse_index_base_b,@function
_ZN9rocsparseL20bsrxmvn_17_32_kernelILj31EfliDF16_DF16_fEEvT2_20rocsparse_direction_NS_24const_host_device_scalarIT0_EES1_PKS1_PKT1_SA_S7_PKT3_PKT4_S5_PT5_21rocsparse_index_base_b: ; @_ZN9rocsparseL20bsrxmvn_17_32_kernelILj31EfliDF16_DF16_fEEvT2_20rocsparse_direction_NS_24const_host_device_scalarIT0_EES1_PKS1_PKT1_SA_S7_PKT3_PKT4_S5_PT5_21rocsparse_index_base_b
; %bb.0:
	s_mov_b32 s10, s15
	s_clause 0x2
	s_load_b64 s[14:15], s[0:1], 0x58
	s_load_b64 s[12:13], s[0:1], 0x8
	;; [unrolled: 1-line block ×3, first 2 shown]
	s_waitcnt lgkmcnt(0)
	s_bitcmp1_b32 s15, 0
	s_cselect_b32 s2, -1, 0
	s_delay_alu instid0(SALU_CYCLE_1)
	s_and_b32 vcc_lo, exec_lo, s2
	s_xor_b32 s2, s2, -1
	s_cbranch_vccnz .LBB318_2
; %bb.1:
	s_load_b32 s12, s[12:13], 0x0
.LBB318_2:
	s_and_not1_b32 vcc_lo, exec_lo, s2
	s_cbranch_vccnz .LBB318_4
; %bb.3:
	s_load_b32 s8, s[8:9], 0x0
.LBB318_4:
	s_waitcnt lgkmcnt(0)
	v_cmp_neq_f32_e64 s2, s12, 0
	v_cmp_neq_f32_e64 s3, s8, 1.0
	s_delay_alu instid0(VALU_DEP_1) | instskip(NEXT) | instid1(SALU_CYCLE_1)
	s_or_b32 s2, s2, s3
	s_and_not1_b32 vcc_lo, exec_lo, s2
	s_cbranch_vccnz .LBB318_42
; %bb.5:
	s_clause 0x1
	s_load_b128 s[4:7], s[0:1], 0x18
	s_load_b64 s[16:17], s[0:1], 0x28
	s_waitcnt lgkmcnt(0)
	s_cmp_eq_u64 s[4:5], 0
	s_cbranch_scc1 .LBB318_7
; %bb.6:
	s_ashr_i32 s11, s10, 31
	s_delay_alu instid0(SALU_CYCLE_1) | instskip(NEXT) | instid1(SALU_CYCLE_1)
	s_lshl_b64 s[2:3], s[10:11], 2
	s_add_u32 s2, s4, s2
	s_addc_u32 s3, s5, s3
	s_load_b32 s2, s[2:3], 0x0
	s_waitcnt lgkmcnt(0)
	s_sub_i32 s10, s2, s14
.LBB318_7:
	s_load_b32 s3, s[0:1], 0x4
	v_mul_u32_u24_e32 v1, 0x843, v0
	v_mov_b32_e32 v6, 0
	s_delay_alu instid0(VALU_DEP_2) | instskip(NEXT) | instid1(VALU_DEP_1)
	v_lshrrev_b32_e32 v1, 16, v1
	v_mul_lo_u16 v2, v1, 31
	s_delay_alu instid0(VALU_DEP_1)
	v_sub_nc_u16 v7, v0, v2
	s_waitcnt lgkmcnt(0)
	s_cmp_eq_u32 s3, 1
	s_cselect_b32 s2, -1, 0
	s_cmp_lg_u32 s3, 1
	s_cselect_b32 s3, -1, 0
	s_ashr_i32 s11, s10, 31
	s_delay_alu instid0(SALU_CYCLE_1) | instskip(NEXT) | instid1(SALU_CYCLE_1)
	s_lshl_b64 s[4:5], s[10:11], 3
	s_add_u32 s6, s6, s4
	s_addc_u32 s7, s7, s5
	s_add_u32 s9, s6, 8
	s_addc_u32 s11, s7, 0
	;; [unrolled: 2-line block ×3, first 2 shown]
	s_cmp_eq_u64 s[16:17], 0
	s_cselect_b32 s5, s11, s5
	s_cselect_b32 s4, s9, s4
	s_load_b64 s[18:19], s[6:7], 0x0
	s_load_b64 s[6:7], s[4:5], 0x0
	;; [unrolled: 1-line block ×3, first 2 shown]
	s_waitcnt lgkmcnt(0)
	v_cmp_ge_i64_e64 s9, s[18:19], s[6:7]
	s_delay_alu instid0(VALU_DEP_1)
	s_and_b32 vcc_lo, exec_lo, s9
	s_cbranch_vccnz .LBB318_12
; %bb.8:
	v_and_b32_e32 v1, 0xffff, v1
	v_cmp_lt_u32_e32 vcc_lo, 0x3c0, v0
	s_clause 0x1
	s_load_b128 s[20:23], s[0:1], 0x30
	s_load_b64 s[0:1], s[0:1], 0x40
	s_sub_u32 s6, s6, s14
	s_subb_u32 s7, s7, 0
	v_subrev_nc_u32_e32 v3, 31, v1
	v_cndmask_b32_e64 v8, 0, 1, vcc_lo
	v_cmp_gt_u32_e32 vcc_lo, 0x3c1, v0
	v_and_b32_e32 v2, 0xffff, v7
	s_sub_u32 s16, s18, s14
	s_subb_u32 s17, s19, 0
	s_mul_hi_u32 s9, s16, 0x782
	v_cndmask_b32_e32 v1, v3, v1, vcc_lo
	s_mul_i32 s11, s17, 0x782
	v_lshlrev_b32_e32 v6, 1, v0
	s_add_i32 s9, s9, s11
	s_delay_alu instid0(VALU_DEP_2) | instskip(SKIP_1) | instid1(VALU_DEP_1)
	v_cndmask_b32_e64 v1, v2, v1, s2
	v_add_co_u32 v2, s2, s18, v8
	v_add_co_ci_u32_e64 v3, null, s19, 0, s2
	s_mul_i32 s2, s16, 0x782
	s_delay_alu instid0(VALU_DEP_2) | instskip(NEXT) | instid1(VALU_DEP_2)
	v_sub_co_u32 v2, vcc_lo, v2, s14
	v_subrev_co_ci_u32_e32 v3, vcc_lo, 0, v3, vcc_lo
	s_waitcnt lgkmcnt(0)
	s_add_u32 s2, s22, s2
	s_addc_u32 s9, s23, s9
	s_delay_alu instid0(VALU_DEP_1) | instskip(SKIP_1) | instid1(VALU_DEP_1)
	v_lshlrev_b64 v[4:5], 2, v[2:3]
	v_add_co_u32 v2, s2, s2, v6
	v_add_co_ci_u32_e64 v3, null, s9, 0, s2
	v_mov_b32_e32 v6, 0
	s_delay_alu instid0(VALU_DEP_4)
	v_add_co_u32 v4, vcc_lo, s20, v4
	v_add_co_ci_u32_e32 v5, vcc_lo, s21, v5, vcc_lo
	s_set_inst_prefetch_distance 0x1
	s_branch .LBB318_10
	.p2align	6
.LBB318_9:                              ;   in Loop: Header=BB318_10 Depth=1
	s_or_b32 exec_lo, exec_lo, s2
	s_add_u32 s16, s16, 1
	s_addc_u32 s17, s17, 0
	v_add_co_u32 v4, vcc_lo, v4, 4
	v_cmp_lt_i64_e64 s2, s[16:17], s[6:7]
	v_add_co_ci_u32_e32 v5, vcc_lo, 0, v5, vcc_lo
	s_delay_alu instid0(VALU_DEP_2)
	s_and_b32 vcc_lo, exec_lo, s2
	s_cbranch_vccz .LBB318_12
.LBB318_10:                             ; =>This Inner Loop Header: Depth=1
	v_add_co_u32 v9, s2, v8, s16
	s_delay_alu instid0(VALU_DEP_1) | instskip(SKIP_1) | instid1(VALU_DEP_1)
	v_add_co_ci_u32_e64 v10, null, 0, s17, s2
	s_mov_b32 s2, exec_lo
	v_cmpx_gt_i64_e64 s[6:7], v[9:10]
	s_cbranch_execz .LBB318_9
; %bb.11:                               ;   in Loop: Header=BB318_10 Depth=1
	global_load_b32 v9, v[4:5], off
	s_waitcnt vmcnt(0)
	v_subrev_nc_u32_e32 v11, s14, v9
	s_delay_alu instid0(VALU_DEP_1) | instskip(NEXT) | instid1(VALU_DEP_1)
	v_mad_u64_u32 v[9:10], null, v11, 31, v[1:2]
	v_ashrrev_i32_e32 v10, 31, v9
	s_delay_alu instid0(VALU_DEP_1) | instskip(NEXT) | instid1(VALU_DEP_1)
	v_lshlrev_b64 v[9:10], 1, v[9:10]
	v_add_co_u32 v9, vcc_lo, s0, v9
	s_delay_alu instid0(VALU_DEP_2)
	v_add_co_ci_u32_e32 v10, vcc_lo, s1, v10, vcc_lo
	global_load_u16 v11, v[2:3], off
	global_load_u16 v9, v[9:10], off
	v_add_co_u32 v2, vcc_lo, 0x782, v2
	v_add_co_ci_u32_e32 v3, vcc_lo, 0, v3, vcc_lo
	s_waitcnt vmcnt(0)
	v_fma_mix_f32 v6, v11, v9, v6 op_sel_hi:[1,1,0]
	s_branch .LBB318_9
.LBB318_12:
	s_set_inst_prefetch_distance 0x2
	v_lshlrev_b32_e32 v1, 2, v0
	s_and_b32 vcc_lo, exec_lo, s3
	ds_store_b32 v1, v6
	s_waitcnt lgkmcnt(0)
	s_barrier
	buffer_gl0_inv
	s_cbranch_vccz .LBB318_24
; %bb.13:
	s_mov_b32 s0, exec_lo
	v_cmpx_gt_u16_e32 15, v7
	s_cbranch_execz .LBB318_15
; %bb.14:
	ds_load_2addr_b32 v[2:3], v1 offset1:16
	s_waitcnt lgkmcnt(0)
	v_add_f32_e32 v2, v3, v2
	ds_store_b32 v1, v2
.LBB318_15:
	s_or_b32 exec_lo, exec_lo, s0
	s_delay_alu instid0(SALU_CYCLE_1)
	s_mov_b32 s0, exec_lo
	s_waitcnt lgkmcnt(0)
	s_barrier
	buffer_gl0_inv
	v_cmpx_gt_u16_e32 8, v7
	s_cbranch_execz .LBB318_17
; %bb.16:
	ds_load_2addr_b32 v[2:3], v1 offset1:8
	s_waitcnt lgkmcnt(0)
	v_add_f32_e32 v2, v3, v2
	ds_store_b32 v1, v2
.LBB318_17:
	s_or_b32 exec_lo, exec_lo, s0
	s_delay_alu instid0(SALU_CYCLE_1)
	s_mov_b32 s0, exec_lo
	s_waitcnt lgkmcnt(0)
	s_barrier
	buffer_gl0_inv
	;; [unrolled: 14-line block ×3, first 2 shown]
	v_cmpx_gt_u16_e32 2, v7
	s_cbranch_execz .LBB318_21
; %bb.20:
	ds_load_2addr_b32 v[2:3], v1 offset1:2
	s_waitcnt lgkmcnt(0)
	v_add_f32_e32 v2, v3, v2
	ds_store_b32 v1, v2
.LBB318_21:
	s_or_b32 exec_lo, exec_lo, s0
	s_mov_b32 s1, 0
	s_mov_b32 s0, 0
	s_mov_b32 s2, exec_lo
	s_waitcnt lgkmcnt(0)
	s_barrier
	buffer_gl0_inv
                                        ; implicit-def: $vgpr2
                                        ; implicit-def: $vgpr3
	v_cmpx_gt_u32_e32 31, v0
	s_xor_b32 s2, exec_lo, s2
; %bb.22:
	v_mad_u32_u24 v2, v0, 31, 1
	v_mad_u32_u24 v3, 0x78, v0, v1
	s_mov_b32 s0, exec_lo
; %bb.23:
	s_or_b32 exec_lo, exec_lo, s2
	s_delay_alu instid0(SALU_CYCLE_1)
	s_and_b32 vcc_lo, exec_lo, s1
	s_cbranch_vccnz .LBB318_25
	s_branch .LBB318_36
.LBB318_24:
	s_mov_b32 s0, 0
                                        ; implicit-def: $vgpr2
                                        ; implicit-def: $vgpr3
	s_cbranch_execz .LBB318_36
.LBB318_25:
	s_mov_b32 s1, exec_lo
	v_cmpx_gt_u32_e32 0x1d1, v0
	s_cbranch_execz .LBB318_27
; %bb.26:
	ds_load_b32 v2, v1 offset:1984
	ds_load_b32 v3, v1
	s_waitcnt lgkmcnt(0)
	v_add_f32_e32 v2, v2, v3
	ds_store_b32 v1, v2
.LBB318_27:
	s_or_b32 exec_lo, exec_lo, s1
	s_delay_alu instid0(SALU_CYCLE_1)
	s_mov_b32 s1, exec_lo
	s_waitcnt lgkmcnt(0)
	s_barrier
	buffer_gl0_inv
	v_cmpx_gt_u32_e32 0xf8, v0
	s_cbranch_execz .LBB318_29
; %bb.28:
	ds_load_2addr_b32 v[2:3], v1 offset1:248
	s_waitcnt lgkmcnt(0)
	v_add_f32_e32 v2, v3, v2
	ds_store_b32 v1, v2
.LBB318_29:
	s_or_b32 exec_lo, exec_lo, s1
	s_delay_alu instid0(SALU_CYCLE_1)
	s_mov_b32 s1, exec_lo
	s_waitcnt lgkmcnt(0)
	s_barrier
	buffer_gl0_inv
	v_cmpx_gt_u32_e32 0x7c, v0
	s_cbranch_execz .LBB318_31
; %bb.30:
	ds_load_2addr_b32 v[2:3], v1 offset1:124
	s_waitcnt lgkmcnt(0)
	v_add_f32_e32 v2, v3, v2
	ds_store_b32 v1, v2
.LBB318_31:
	;; [unrolled: 14-line block ×3, first 2 shown]
	s_or_b32 exec_lo, exec_lo, s1
	s_delay_alu instid0(SALU_CYCLE_1)
	s_mov_b32 s1, exec_lo
	s_waitcnt lgkmcnt(0)
	buffer_gl0_inv
                                        ; implicit-def: $vgpr2
	v_cmpx_gt_u32_e32 31, v0
; %bb.34:
	v_add_nc_u32_e32 v2, 31, v0
	s_or_b32 s0, s0, exec_lo
                                        ; implicit-def: $vgpr6
; %bb.35:
	s_or_b32 exec_lo, exec_lo, s1
	v_mov_b32_e32 v3, v1
.LBB318_36:
	s_and_saveexec_b32 s1, s0
	s_cbranch_execz .LBB318_38
; %bb.37:
	v_lshlrev_b32_e32 v1, 2, v2
	ds_load_b32 v2, v3
	ds_load_b32 v1, v1
	s_waitcnt lgkmcnt(0)
	v_add_f32_e32 v6, v2, v1
.LBB318_38:
	s_or_b32 exec_lo, exec_lo, s1
	s_delay_alu instid0(SALU_CYCLE_1)
	s_mov_b32 s0, exec_lo
	v_cmpx_gt_u32_e32 31, v0
	s_cbranch_execz .LBB318_42
; %bb.39:
	v_cmp_eq_f32_e64 s0, s8, 0
	v_mul_f32_e32 v1, s12, v6
	s_delay_alu instid0(VALU_DEP_2)
	s_and_b32 vcc_lo, exec_lo, s0
	s_mov_b32 s0, 0
	s_cbranch_vccz .LBB318_43
; %bb.40:
	s_delay_alu instid0(VALU_DEP_1) | instskip(SKIP_1) | instid1(VALU_DEP_1)
	v_mad_u64_u32 v[2:3], null, s10, 31, v[0:1]
	v_mov_b32_e32 v3, 0
	v_lshlrev_b64 v[2:3], 2, v[2:3]
	s_delay_alu instid0(VALU_DEP_1) | instskip(NEXT) | instid1(VALU_DEP_2)
	v_add_co_u32 v2, vcc_lo, s4, v2
	v_add_co_ci_u32_e32 v3, vcc_lo, s5, v3, vcc_lo
	global_store_b32 v[2:3], v1, off
	s_and_not1_b32 vcc_lo, exec_lo, s0
	s_cbranch_vccnz .LBB318_42
.LBB318_41:
	v_mad_u64_u32 v[2:3], null, s10, 31, v[0:1]
	v_mov_b32_e32 v3, 0
	s_delay_alu instid0(VALU_DEP_1) | instskip(NEXT) | instid1(VALU_DEP_1)
	v_lshlrev_b64 v[2:3], 2, v[2:3]
	v_add_co_u32 v2, vcc_lo, s4, v2
	s_delay_alu instid0(VALU_DEP_2)
	v_add_co_ci_u32_e32 v3, vcc_lo, s5, v3, vcc_lo
	global_load_b32 v0, v[2:3], off
	s_waitcnt vmcnt(0)
	v_fmac_f32_e32 v1, s8, v0
	global_store_b32 v[2:3], v1, off
.LBB318_42:
	s_nop 0
	s_sendmsg sendmsg(MSG_DEALLOC_VGPRS)
	s_endpgm
.LBB318_43:
	s_branch .LBB318_41
	.section	.rodata,"a",@progbits
	.p2align	6, 0x0
	.amdhsa_kernel _ZN9rocsparseL20bsrxmvn_17_32_kernelILj31EfliDF16_DF16_fEEvT2_20rocsparse_direction_NS_24const_host_device_scalarIT0_EES1_PKS1_PKT1_SA_S7_PKT3_PKT4_S5_PT5_21rocsparse_index_base_b
		.amdhsa_group_segment_fixed_size 3844
		.amdhsa_private_segment_fixed_size 0
		.amdhsa_kernarg_size 96
		.amdhsa_user_sgpr_count 15
		.amdhsa_user_sgpr_dispatch_ptr 0
		.amdhsa_user_sgpr_queue_ptr 0
		.amdhsa_user_sgpr_kernarg_segment_ptr 1
		.amdhsa_user_sgpr_dispatch_id 0
		.amdhsa_user_sgpr_private_segment_size 0
		.amdhsa_wavefront_size32 1
		.amdhsa_uses_dynamic_stack 0
		.amdhsa_enable_private_segment 0
		.amdhsa_system_sgpr_workgroup_id_x 1
		.amdhsa_system_sgpr_workgroup_id_y 0
		.amdhsa_system_sgpr_workgroup_id_z 0
		.amdhsa_system_sgpr_workgroup_info 0
		.amdhsa_system_vgpr_workitem_id 0
		.amdhsa_next_free_vgpr 12
		.amdhsa_next_free_sgpr 24
		.amdhsa_reserve_vcc 1
		.amdhsa_float_round_mode_32 0
		.amdhsa_float_round_mode_16_64 0
		.amdhsa_float_denorm_mode_32 3
		.amdhsa_float_denorm_mode_16_64 3
		.amdhsa_dx10_clamp 1
		.amdhsa_ieee_mode 1
		.amdhsa_fp16_overflow 0
		.amdhsa_workgroup_processor_mode 1
		.amdhsa_memory_ordered 1
		.amdhsa_forward_progress 0
		.amdhsa_shared_vgpr_count 0
		.amdhsa_exception_fp_ieee_invalid_op 0
		.amdhsa_exception_fp_denorm_src 0
		.amdhsa_exception_fp_ieee_div_zero 0
		.amdhsa_exception_fp_ieee_overflow 0
		.amdhsa_exception_fp_ieee_underflow 0
		.amdhsa_exception_fp_ieee_inexact 0
		.amdhsa_exception_int_div_zero 0
	.end_amdhsa_kernel
	.section	.text._ZN9rocsparseL20bsrxmvn_17_32_kernelILj31EfliDF16_DF16_fEEvT2_20rocsparse_direction_NS_24const_host_device_scalarIT0_EES1_PKS1_PKT1_SA_S7_PKT3_PKT4_S5_PT5_21rocsparse_index_base_b,"axG",@progbits,_ZN9rocsparseL20bsrxmvn_17_32_kernelILj31EfliDF16_DF16_fEEvT2_20rocsparse_direction_NS_24const_host_device_scalarIT0_EES1_PKS1_PKT1_SA_S7_PKT3_PKT4_S5_PT5_21rocsparse_index_base_b,comdat
.Lfunc_end318:
	.size	_ZN9rocsparseL20bsrxmvn_17_32_kernelILj31EfliDF16_DF16_fEEvT2_20rocsparse_direction_NS_24const_host_device_scalarIT0_EES1_PKS1_PKT1_SA_S7_PKT3_PKT4_S5_PT5_21rocsparse_index_base_b, .Lfunc_end318-_ZN9rocsparseL20bsrxmvn_17_32_kernelILj31EfliDF16_DF16_fEEvT2_20rocsparse_direction_NS_24const_host_device_scalarIT0_EES1_PKS1_PKT1_SA_S7_PKT3_PKT4_S5_PT5_21rocsparse_index_base_b
                                        ; -- End function
	.section	.AMDGPU.csdata,"",@progbits
; Kernel info:
; codeLenInByte = 1616
; NumSgprs: 26
; NumVgprs: 12
; ScratchSize: 0
; MemoryBound: 0
; FloatMode: 240
; IeeeMode: 1
; LDSByteSize: 3844 bytes/workgroup (compile time only)
; SGPRBlocks: 3
; VGPRBlocks: 1
; NumSGPRsForWavesPerEU: 26
; NumVGPRsForWavesPerEU: 12
; Occupancy: 16
; WaveLimiterHint : 1
; COMPUTE_PGM_RSRC2:SCRATCH_EN: 0
; COMPUTE_PGM_RSRC2:USER_SGPR: 15
; COMPUTE_PGM_RSRC2:TRAP_HANDLER: 0
; COMPUTE_PGM_RSRC2:TGID_X_EN: 1
; COMPUTE_PGM_RSRC2:TGID_Y_EN: 0
; COMPUTE_PGM_RSRC2:TGID_Z_EN: 0
; COMPUTE_PGM_RSRC2:TIDIG_COMP_CNT: 0
	.section	.text._ZN9rocsparseL20bsrxmvn_17_32_kernelILj32EfliDF16_DF16_fEEvT2_20rocsparse_direction_NS_24const_host_device_scalarIT0_EES1_PKS1_PKT1_SA_S7_PKT3_PKT4_S5_PT5_21rocsparse_index_base_b,"axG",@progbits,_ZN9rocsparseL20bsrxmvn_17_32_kernelILj32EfliDF16_DF16_fEEvT2_20rocsparse_direction_NS_24const_host_device_scalarIT0_EES1_PKS1_PKT1_SA_S7_PKT3_PKT4_S5_PT5_21rocsparse_index_base_b,comdat
	.globl	_ZN9rocsparseL20bsrxmvn_17_32_kernelILj32EfliDF16_DF16_fEEvT2_20rocsparse_direction_NS_24const_host_device_scalarIT0_EES1_PKS1_PKT1_SA_S7_PKT3_PKT4_S5_PT5_21rocsparse_index_base_b ; -- Begin function _ZN9rocsparseL20bsrxmvn_17_32_kernelILj32EfliDF16_DF16_fEEvT2_20rocsparse_direction_NS_24const_host_device_scalarIT0_EES1_PKS1_PKT1_SA_S7_PKT3_PKT4_S5_PT5_21rocsparse_index_base_b
	.p2align	8
	.type	_ZN9rocsparseL20bsrxmvn_17_32_kernelILj32EfliDF16_DF16_fEEvT2_20rocsparse_direction_NS_24const_host_device_scalarIT0_EES1_PKS1_PKT1_SA_S7_PKT3_PKT4_S5_PT5_21rocsparse_index_base_b,@function
_ZN9rocsparseL20bsrxmvn_17_32_kernelILj32EfliDF16_DF16_fEEvT2_20rocsparse_direction_NS_24const_host_device_scalarIT0_EES1_PKS1_PKT1_SA_S7_PKT3_PKT4_S5_PT5_21rocsparse_index_base_b: ; @_ZN9rocsparseL20bsrxmvn_17_32_kernelILj32EfliDF16_DF16_fEEvT2_20rocsparse_direction_NS_24const_host_device_scalarIT0_EES1_PKS1_PKT1_SA_S7_PKT3_PKT4_S5_PT5_21rocsparse_index_base_b
; %bb.0:
	s_mov_b32 s10, s15
	s_clause 0x2
	s_load_b64 s[14:15], s[0:1], 0x58
	s_load_b64 s[12:13], s[0:1], 0x8
	;; [unrolled: 1-line block ×3, first 2 shown]
	s_waitcnt lgkmcnt(0)
	s_bitcmp1_b32 s15, 0
	s_cselect_b32 s2, -1, 0
	s_delay_alu instid0(SALU_CYCLE_1)
	s_and_b32 vcc_lo, exec_lo, s2
	s_xor_b32 s2, s2, -1
	s_cbranch_vccnz .LBB319_2
; %bb.1:
	s_load_b32 s12, s[12:13], 0x0
.LBB319_2:
	s_and_not1_b32 vcc_lo, exec_lo, s2
	s_cbranch_vccnz .LBB319_4
; %bb.3:
	s_load_b32 s8, s[8:9], 0x0
.LBB319_4:
	s_waitcnt lgkmcnt(0)
	v_cmp_neq_f32_e64 s2, s12, 0
	v_cmp_neq_f32_e64 s3, s8, 1.0
	s_delay_alu instid0(VALU_DEP_1) | instskip(NEXT) | instid1(SALU_CYCLE_1)
	s_or_b32 s2, s2, s3
	s_and_not1_b32 vcc_lo, exec_lo, s2
	s_cbranch_vccnz .LBB319_40
; %bb.5:
	s_clause 0x1
	s_load_b128 s[4:7], s[0:1], 0x18
	s_load_b64 s[16:17], s[0:1], 0x28
	s_waitcnt lgkmcnt(0)
	s_cmp_eq_u64 s[4:5], 0
	s_cbranch_scc1 .LBB319_7
; %bb.6:
	s_ashr_i32 s11, s10, 31
	s_delay_alu instid0(SALU_CYCLE_1) | instskip(NEXT) | instid1(SALU_CYCLE_1)
	s_lshl_b64 s[2:3], s[10:11], 2
	s_add_u32 s2, s4, s2
	s_addc_u32 s3, s5, s3
	s_load_b32 s2, s[2:3], 0x0
	s_waitcnt lgkmcnt(0)
	s_sub_i32 s10, s2, s14
.LBB319_7:
	s_load_b32 s3, s[0:1], 0x4
	v_dual_mov_b32 v3, 0 :: v_dual_and_b32 v4, 31, v0
	s_waitcnt lgkmcnt(0)
	s_cmp_eq_u32 s3, 1
	s_cselect_b32 s2, -1, 0
	s_cmp_lg_u32 s3, 1
	s_cselect_b32 s9, -1, 0
	s_ashr_i32 s11, s10, 31
	s_delay_alu instid0(SALU_CYCLE_1) | instskip(NEXT) | instid1(SALU_CYCLE_1)
	s_lshl_b64 s[4:5], s[10:11], 3
	s_add_u32 s6, s6, s4
	s_addc_u32 s7, s7, s5
	s_add_u32 s3, s6, 8
	s_addc_u32 s11, s7, 0
	;; [unrolled: 2-line block ×3, first 2 shown]
	s_cmp_eq_u64 s[16:17], 0
	s_cselect_b32 s5, s11, s5
	s_cselect_b32 s4, s3, s4
	s_load_b64 s[18:19], s[6:7], 0x0
	s_load_b64 s[6:7], s[4:5], 0x0
	;; [unrolled: 1-line block ×3, first 2 shown]
	s_waitcnt lgkmcnt(0)
	v_cmp_ge_i64_e64 s3, s[18:19], s[6:7]
	s_delay_alu instid0(VALU_DEP_1)
	s_and_b32 vcc_lo, exec_lo, s3
	s_cbranch_vccnz .LBB319_10
; %bb.8:
	s_clause 0x1
	s_load_b128 s[20:23], s[0:1], 0x30
	s_load_b64 s[0:1], s[0:1], 0x40
	s_sub_u32 s6, s6, s14
	s_subb_u32 s7, s7, 0
	s_sub_u32 s16, s18, s14
	s_subb_u32 s17, s19, 0
	v_lshrrev_b32_e32 v1, 5, v0
	s_lshl_b64 s[24:25], s[16:17], 11
	s_mov_b32 s15, 0
	v_lshl_or_b32 v2, v0, 1, s24
	v_mov_b32_e32 v3, s25
	s_lshl_b64 s[18:19], s[18:19], 2
	s_lshl_b64 s[26:27], s[14:15], 2
	v_cndmask_b32_e64 v5, v4, v1, s2
	s_sub_u32 s2, s18, s26
	s_subb_u32 s3, s19, s27
	s_waitcnt lgkmcnt(0)
	v_add_co_u32 v1, vcc_lo, s22, v2
	v_add_co_ci_u32_e32 v2, vcc_lo, s23, v3, vcc_lo
	v_mov_b32_e32 v3, 0
	s_add_u32 s2, s20, s2
	s_addc_u32 s3, s21, s3
	.p2align	6
.LBB319_9:                              ; =>This Inner Loop Header: Depth=1
	s_load_b32 s11, s[2:3], 0x0
	s_waitcnt lgkmcnt(0)
	s_sub_i32 s11, s11, s14
	s_add_u32 s16, s16, 1
	v_lshl_or_b32 v6, s11, 5, v5
	s_addc_u32 s17, s17, 0
	s_add_u32 s2, s2, 4
	v_cmp_lt_i64_e64 s11, s[16:17], s[6:7]
	s_addc_u32 s3, s3, 0
	v_ashrrev_i32_e32 v7, 31, v6
	s_delay_alu instid0(VALU_DEP_1) | instskip(NEXT) | instid1(VALU_DEP_1)
	v_lshlrev_b64 v[6:7], 1, v[6:7]
	v_add_co_u32 v6, vcc_lo, s0, v6
	s_delay_alu instid0(VALU_DEP_2)
	v_add_co_ci_u32_e32 v7, vcc_lo, s1, v7, vcc_lo
	global_load_u16 v8, v[1:2], off
	global_load_u16 v6, v[6:7], off
	v_add_co_u32 v1, vcc_lo, 0x800, v1
	v_add_co_ci_u32_e32 v2, vcc_lo, 0, v2, vcc_lo
	s_and_b32 vcc_lo, exec_lo, s11
	s_waitcnt vmcnt(0)
	v_fma_mix_f32 v3, v8, v6, v3 op_sel_hi:[1,1,0]
	s_cbranch_vccnz .LBB319_9
.LBB319_10:
	v_lshlrev_b32_e32 v1, 2, v0
	s_and_b32 vcc_lo, exec_lo, s9
	ds_store_b32 v1, v3
	s_waitcnt lgkmcnt(0)
	s_barrier
	buffer_gl0_inv
	s_cbranch_vccz .LBB319_22
; %bb.11:
	s_mov_b32 s0, exec_lo
	v_cmpx_gt_u32_e32 16, v4
	s_cbranch_execz .LBB319_13
; %bb.12:
	ds_load_2addr_b32 v[5:6], v1 offset1:16
	s_waitcnt lgkmcnt(0)
	v_add_f32_e32 v2, v6, v5
	ds_store_b32 v1, v2
.LBB319_13:
	s_or_b32 exec_lo, exec_lo, s0
	s_delay_alu instid0(SALU_CYCLE_1)
	s_mov_b32 s0, exec_lo
	s_waitcnt lgkmcnt(0)
	s_barrier
	buffer_gl0_inv
	v_cmpx_gt_u32_e32 8, v4
	s_cbranch_execz .LBB319_15
; %bb.14:
	ds_load_2addr_b32 v[5:6], v1 offset1:8
	s_waitcnt lgkmcnt(0)
	v_add_f32_e32 v2, v6, v5
	ds_store_b32 v1, v2
.LBB319_15:
	s_or_b32 exec_lo, exec_lo, s0
	s_delay_alu instid0(SALU_CYCLE_1)
	s_mov_b32 s0, exec_lo
	s_waitcnt lgkmcnt(0)
	s_barrier
	buffer_gl0_inv
	;; [unrolled: 14-line block ×3, first 2 shown]
	v_cmpx_gt_u32_e32 2, v4
	s_cbranch_execz .LBB319_19
; %bb.18:
	ds_load_2addr_b32 v[4:5], v1 offset1:2
	s_waitcnt lgkmcnt(0)
	v_add_f32_e32 v2, v5, v4
	ds_store_b32 v1, v2
.LBB319_19:
	s_or_b32 exec_lo, exec_lo, s0
	s_mov_b32 s1, 0
	s_mov_b32 s0, 0
	s_mov_b32 s2, exec_lo
	s_waitcnt lgkmcnt(0)
	s_barrier
	buffer_gl0_inv
                                        ; implicit-def: $vgpr2
                                        ; implicit-def: $vgpr4
	v_cmpx_gt_u32_e32 32, v0
	s_xor_b32 s2, exec_lo, s2
; %bb.20:
	v_lshl_or_b32 v2, v0, 5, 1
	v_mad_u32_u24 v4, 0x7c, v0, v1
	s_mov_b32 s0, exec_lo
; %bb.21:
	s_or_b32 exec_lo, exec_lo, s2
	s_delay_alu instid0(SALU_CYCLE_1)
	s_and_b32 vcc_lo, exec_lo, s1
	s_cbranch_vccnz .LBB319_23
	s_branch .LBB319_34
.LBB319_22:
	s_mov_b32 s0, 0
                                        ; implicit-def: $vgpr2
                                        ; implicit-def: $vgpr4
	s_cbranch_execz .LBB319_34
.LBB319_23:
	s_mov_b32 s1, exec_lo
	v_cmpx_gt_u32_e32 0x200, v0
	s_cbranch_execz .LBB319_25
; %bb.24:
	ds_load_2addr_stride64_b32 v[4:5], v1 offset1:8
	s_waitcnt lgkmcnt(0)
	v_add_f32_e32 v2, v5, v4
	ds_store_b32 v1, v2
.LBB319_25:
	s_or_b32 exec_lo, exec_lo, s1
	s_delay_alu instid0(SALU_CYCLE_1)
	s_mov_b32 s1, exec_lo
	s_waitcnt lgkmcnt(0)
	s_barrier
	buffer_gl0_inv
	v_cmpx_gt_u32_e32 0x100, v0
	s_cbranch_execz .LBB319_27
; %bb.26:
	ds_load_2addr_stride64_b32 v[4:5], v1 offset1:4
	s_waitcnt lgkmcnt(0)
	v_add_f32_e32 v2, v5, v4
	ds_store_b32 v1, v2
.LBB319_27:
	s_or_b32 exec_lo, exec_lo, s1
	s_delay_alu instid0(SALU_CYCLE_1)
	s_mov_b32 s1, exec_lo
	s_waitcnt lgkmcnt(0)
	s_barrier
	buffer_gl0_inv
	;; [unrolled: 14-line block ×3, first 2 shown]
	v_cmpx_gt_u32_e32 64, v0
	s_cbranch_execz .LBB319_31
; %bb.30:
	ds_load_2addr_stride64_b32 v[4:5], v1 offset1:1
	s_waitcnt lgkmcnt(0)
	v_add_f32_e32 v2, v5, v4
	ds_store_b32 v1, v2
.LBB319_31:
	s_or_b32 exec_lo, exec_lo, s1
	s_delay_alu instid0(SALU_CYCLE_1)
	s_mov_b32 s1, exec_lo
	s_waitcnt lgkmcnt(0)
	buffer_gl0_inv
                                        ; implicit-def: $vgpr2
	v_cmpx_gt_u32_e32 32, v0
; %bb.32:
	v_or_b32_e32 v2, 32, v0
	s_or_b32 s0, s0, exec_lo
                                        ; implicit-def: $vgpr3
; %bb.33:
	s_or_b32 exec_lo, exec_lo, s1
	v_mov_b32_e32 v4, v1
.LBB319_34:
	s_and_saveexec_b32 s1, s0
	s_cbranch_execz .LBB319_36
; %bb.35:
	v_lshlrev_b32_e32 v1, 2, v2
	ds_load_b32 v2, v4
	ds_load_b32 v1, v1
	s_waitcnt lgkmcnt(0)
	v_add_f32_e32 v3, v2, v1
.LBB319_36:
	s_or_b32 exec_lo, exec_lo, s1
	s_delay_alu instid0(SALU_CYCLE_1)
	s_mov_b32 s0, exec_lo
	v_cmpx_gt_u32_e32 32, v0
	s_cbranch_execz .LBB319_40
; %bb.37:
	v_cmp_eq_f32_e64 s0, s8, 0
	v_mul_f32_e32 v2, s12, v3
	v_lshl_or_b32 v0, s10, 5, v0
	s_delay_alu instid0(VALU_DEP_3)
	s_and_b32 vcc_lo, exec_lo, s0
	s_mov_b32 s0, 0
	s_cbranch_vccz .LBB319_41
; %bb.38:
	v_mov_b32_e32 v1, 0
	s_delay_alu instid0(VALU_DEP_1) | instskip(NEXT) | instid1(VALU_DEP_1)
	v_lshlrev_b64 v[3:4], 2, v[0:1]
	v_add_co_u32 v3, vcc_lo, s4, v3
	s_delay_alu instid0(VALU_DEP_2)
	v_add_co_ci_u32_e32 v4, vcc_lo, s5, v4, vcc_lo
	global_store_b32 v[3:4], v2, off
	s_and_not1_b32 vcc_lo, exec_lo, s0
	s_cbranch_vccnz .LBB319_40
.LBB319_39:
	v_mov_b32_e32 v1, 0
	s_delay_alu instid0(VALU_DEP_1) | instskip(NEXT) | instid1(VALU_DEP_1)
	v_lshlrev_b64 v[0:1], 2, v[0:1]
	v_add_co_u32 v0, vcc_lo, s4, v0
	s_delay_alu instid0(VALU_DEP_2)
	v_add_co_ci_u32_e32 v1, vcc_lo, s5, v1, vcc_lo
	global_load_b32 v3, v[0:1], off
	s_waitcnt vmcnt(0)
	v_fmac_f32_e32 v2, s8, v3
	global_store_b32 v[0:1], v2, off
.LBB319_40:
	s_nop 0
	s_sendmsg sendmsg(MSG_DEALLOC_VGPRS)
	s_endpgm
.LBB319_41:
	s_branch .LBB319_39
	.section	.rodata,"a",@progbits
	.p2align	6, 0x0
	.amdhsa_kernel _ZN9rocsparseL20bsrxmvn_17_32_kernelILj32EfliDF16_DF16_fEEvT2_20rocsparse_direction_NS_24const_host_device_scalarIT0_EES1_PKS1_PKT1_SA_S7_PKT3_PKT4_S5_PT5_21rocsparse_index_base_b
		.amdhsa_group_segment_fixed_size 4096
		.amdhsa_private_segment_fixed_size 0
		.amdhsa_kernarg_size 96
		.amdhsa_user_sgpr_count 15
		.amdhsa_user_sgpr_dispatch_ptr 0
		.amdhsa_user_sgpr_queue_ptr 0
		.amdhsa_user_sgpr_kernarg_segment_ptr 1
		.amdhsa_user_sgpr_dispatch_id 0
		.amdhsa_user_sgpr_private_segment_size 0
		.amdhsa_wavefront_size32 1
		.amdhsa_uses_dynamic_stack 0
		.amdhsa_enable_private_segment 0
		.amdhsa_system_sgpr_workgroup_id_x 1
		.amdhsa_system_sgpr_workgroup_id_y 0
		.amdhsa_system_sgpr_workgroup_id_z 0
		.amdhsa_system_sgpr_workgroup_info 0
		.amdhsa_system_vgpr_workitem_id 0
		.amdhsa_next_free_vgpr 9
		.amdhsa_next_free_sgpr 28
		.amdhsa_reserve_vcc 1
		.amdhsa_float_round_mode_32 0
		.amdhsa_float_round_mode_16_64 0
		.amdhsa_float_denorm_mode_32 3
		.amdhsa_float_denorm_mode_16_64 3
		.amdhsa_dx10_clamp 1
		.amdhsa_ieee_mode 1
		.amdhsa_fp16_overflow 0
		.amdhsa_workgroup_processor_mode 1
		.amdhsa_memory_ordered 1
		.amdhsa_forward_progress 0
		.amdhsa_shared_vgpr_count 0
		.amdhsa_exception_fp_ieee_invalid_op 0
		.amdhsa_exception_fp_denorm_src 0
		.amdhsa_exception_fp_ieee_div_zero 0
		.amdhsa_exception_fp_ieee_overflow 0
		.amdhsa_exception_fp_ieee_underflow 0
		.amdhsa_exception_fp_ieee_inexact 0
		.amdhsa_exception_int_div_zero 0
	.end_amdhsa_kernel
	.section	.text._ZN9rocsparseL20bsrxmvn_17_32_kernelILj32EfliDF16_DF16_fEEvT2_20rocsparse_direction_NS_24const_host_device_scalarIT0_EES1_PKS1_PKT1_SA_S7_PKT3_PKT4_S5_PT5_21rocsparse_index_base_b,"axG",@progbits,_ZN9rocsparseL20bsrxmvn_17_32_kernelILj32EfliDF16_DF16_fEEvT2_20rocsparse_direction_NS_24const_host_device_scalarIT0_EES1_PKS1_PKT1_SA_S7_PKT3_PKT4_S5_PT5_21rocsparse_index_base_b,comdat
.Lfunc_end319:
	.size	_ZN9rocsparseL20bsrxmvn_17_32_kernelILj32EfliDF16_DF16_fEEvT2_20rocsparse_direction_NS_24const_host_device_scalarIT0_EES1_PKS1_PKT1_SA_S7_PKT3_PKT4_S5_PT5_21rocsparse_index_base_b, .Lfunc_end319-_ZN9rocsparseL20bsrxmvn_17_32_kernelILj32EfliDF16_DF16_fEEvT2_20rocsparse_direction_NS_24const_host_device_scalarIT0_EES1_PKS1_PKT1_SA_S7_PKT3_PKT4_S5_PT5_21rocsparse_index_base_b
                                        ; -- End function
	.section	.AMDGPU.csdata,"",@progbits
; Kernel info:
; codeLenInByte = 1392
; NumSgprs: 30
; NumVgprs: 9
; ScratchSize: 0
; MemoryBound: 0
; FloatMode: 240
; IeeeMode: 1
; LDSByteSize: 4096 bytes/workgroup (compile time only)
; SGPRBlocks: 3
; VGPRBlocks: 1
; NumSGPRsForWavesPerEU: 30
; NumVGPRsForWavesPerEU: 9
; Occupancy: 16
; WaveLimiterHint : 1
; COMPUTE_PGM_RSRC2:SCRATCH_EN: 0
; COMPUTE_PGM_RSRC2:USER_SGPR: 15
; COMPUTE_PGM_RSRC2:TRAP_HANDLER: 0
; COMPUTE_PGM_RSRC2:TGID_X_EN: 1
; COMPUTE_PGM_RSRC2:TGID_Y_EN: 0
; COMPUTE_PGM_RSRC2:TGID_Z_EN: 0
; COMPUTE_PGM_RSRC2:TIDIG_COMP_CNT: 0
	.section	.text._ZN9rocsparseL20bsrxmvn_17_32_kernelILj17EfllDF16_DF16_fEEvT2_20rocsparse_direction_NS_24const_host_device_scalarIT0_EES1_PKS1_PKT1_SA_S7_PKT3_PKT4_S5_PT5_21rocsparse_index_base_b,"axG",@progbits,_ZN9rocsparseL20bsrxmvn_17_32_kernelILj17EfllDF16_DF16_fEEvT2_20rocsparse_direction_NS_24const_host_device_scalarIT0_EES1_PKS1_PKT1_SA_S7_PKT3_PKT4_S5_PT5_21rocsparse_index_base_b,comdat
	.globl	_ZN9rocsparseL20bsrxmvn_17_32_kernelILj17EfllDF16_DF16_fEEvT2_20rocsparse_direction_NS_24const_host_device_scalarIT0_EES1_PKS1_PKT1_SA_S7_PKT3_PKT4_S5_PT5_21rocsparse_index_base_b ; -- Begin function _ZN9rocsparseL20bsrxmvn_17_32_kernelILj17EfllDF16_DF16_fEEvT2_20rocsparse_direction_NS_24const_host_device_scalarIT0_EES1_PKS1_PKT1_SA_S7_PKT3_PKT4_S5_PT5_21rocsparse_index_base_b
	.p2align	8
	.type	_ZN9rocsparseL20bsrxmvn_17_32_kernelILj17EfllDF16_DF16_fEEvT2_20rocsparse_direction_NS_24const_host_device_scalarIT0_EES1_PKS1_PKT1_SA_S7_PKT3_PKT4_S5_PT5_21rocsparse_index_base_b,@function
_ZN9rocsparseL20bsrxmvn_17_32_kernelILj17EfllDF16_DF16_fEEvT2_20rocsparse_direction_NS_24const_host_device_scalarIT0_EES1_PKS1_PKT1_SA_S7_PKT3_PKT4_S5_PT5_21rocsparse_index_base_b: ; @_ZN9rocsparseL20bsrxmvn_17_32_kernelILj17EfllDF16_DF16_fEEvT2_20rocsparse_direction_NS_24const_host_device_scalarIT0_EES1_PKS1_PKT1_SA_S7_PKT3_PKT4_S5_PT5_21rocsparse_index_base_b
; %bb.0:
	s_clause 0x2
	s_load_b64 s[16:17], s[0:1], 0x60
	s_load_b64 s[12:13], s[0:1], 0x10
	;; [unrolled: 1-line block ×3, first 2 shown]
	s_mov_b32 s10, s15
	s_waitcnt lgkmcnt(0)
	s_bitcmp1_b32 s17, 0
	s_cselect_b32 s2, -1, 0
	s_delay_alu instid0(SALU_CYCLE_1)
	s_and_b32 vcc_lo, exec_lo, s2
	s_xor_b32 s2, s2, -1
	s_cbranch_vccnz .LBB320_2
; %bb.1:
	s_load_b32 s12, s[12:13], 0x0
.LBB320_2:
	s_and_not1_b32 vcc_lo, exec_lo, s2
	s_cbranch_vccnz .LBB320_4
; %bb.3:
	s_load_b32 s8, s[8:9], 0x0
.LBB320_4:
	s_waitcnt lgkmcnt(0)
	v_cmp_neq_f32_e64 s2, s12, 0
	v_cmp_neq_f32_e64 s3, s8, 1.0
	s_mov_b32 s11, 0
	s_delay_alu instid0(VALU_DEP_1) | instskip(NEXT) | instid1(SALU_CYCLE_1)
	s_or_b32 s2, s2, s3
	s_and_not1_b32 vcc_lo, exec_lo, s2
	s_cbranch_vccnz .LBB320_42
; %bb.5:
	s_clause 0x1
	s_load_b128 s[4:7], s[0:1], 0x20
	s_load_b64 s[14:15], s[0:1], 0x30
	s_waitcnt lgkmcnt(0)
	s_cmp_eq_u64 s[4:5], 0
	s_cbranch_scc1 .LBB320_7
; %bb.6:
	s_lshl_b64 s[2:3], s[10:11], 3
	s_delay_alu instid0(SALU_CYCLE_1)
	s_add_u32 s2, s4, s2
	s_addc_u32 s3, s5, s3
	s_load_b64 s[2:3], s[2:3], 0x0
	s_waitcnt lgkmcnt(0)
	s_sub_u32 s10, s2, s16
	s_subb_u32 s11, s3, 0
.LBB320_7:
	s_load_b32 s3, s[0:1], 0x8
	v_mul_u32_u24_e32 v1, 0xf10, v0
	v_mov_b32_e32 v7, 0
	s_delay_alu instid0(VALU_DEP_2) | instskip(NEXT) | instid1(VALU_DEP_1)
	v_lshrrev_b32_e32 v1, 16, v1
	v_mul_lo_u16 v2, v1, 17
	s_delay_alu instid0(VALU_DEP_1)
	v_sub_nc_u16 v8, v0, v2
	s_waitcnt lgkmcnt(0)
	s_cmp_eq_u32 s3, 1
	s_cselect_b32 s2, -1, 0
	s_cmp_lg_u32 s3, 1
	s_cselect_b32 s3, -1, 0
	s_lshl_b64 s[4:5], s[10:11], 3
	s_delay_alu instid0(SALU_CYCLE_1)
	s_add_u32 s6, s6, s4
	s_addc_u32 s7, s7, s5
	s_add_u32 s9, s6, 8
	s_addc_u32 s13, s7, 0
	;; [unrolled: 2-line block ×3, first 2 shown]
	s_cmp_eq_u64 s[14:15], 0
	s_load_b64 s[14:15], s[0:1], 0x58
	s_cselect_b32 s5, s13, s5
	s_cselect_b32 s4, s9, s4
	s_load_b64 s[20:21], s[6:7], 0x0
	s_load_b64 s[18:19], s[4:5], 0x0
	s_waitcnt lgkmcnt(0)
	v_cmp_ge_i64_e64 s4, s[20:21], s[18:19]
	s_delay_alu instid0(VALU_DEP_1)
	s_and_b32 vcc_lo, exec_lo, s4
	s_cbranch_vccnz .LBB320_12
; %bb.8:
	v_mul_lo_u16 v2, v1, 31
	v_dual_mov_b32 v7, 0 :: v_dual_and_b32 v4, 0xffff, v0
	v_and_b32_e32 v3, 0xffff, v8
	s_clause 0x1
	s_load_b128 s[4:7], s[0:1], 0x38
	s_load_b64 s[22:23], s[0:1], 0x48
	v_lshrrev_b16 v2, 9, v2
	s_sub_u32 s0, s18, s16
	s_subb_u32 s1, s19, 0
	s_sub_u32 s18, s20, s16
	s_subb_u32 s19, s21, 0
	v_mul_lo_u16 v2, v2, 17
	v_lshlrev_b32_e32 v10, 1, v0
	s_mul_hi_u32 s9, s18, 0x242
	s_mul_i32 s13, s19, 0x242
	s_mul_i32 s17, s18, 0x242
	v_sub_nc_u16 v1, v1, v2
	v_mul_u32_u24_e32 v2, 0xe3, v4
	s_add_i32 s9, s9, s13
	s_delay_alu instid0(VALU_DEP_2) | instskip(NEXT) | instid1(VALU_DEP_2)
	v_and_b32_e32 v1, 0xff, v1
	v_lshrrev_b32_e32 v9, 16, v2
	s_delay_alu instid0(VALU_DEP_2) | instskip(NEXT) | instid1(VALU_DEP_2)
	v_cndmask_b32_e64 v1, v3, v1, s2
	v_add_co_u32 v2, s2, s20, v9
	s_delay_alu instid0(VALU_DEP_1) | instskip(NEXT) | instid1(VALU_DEP_3)
	v_add_co_ci_u32_e64 v4, null, s21, 0, s2
	v_lshlrev_b32_e32 v1, 1, v1
	s_delay_alu instid0(VALU_DEP_3) | instskip(NEXT) | instid1(VALU_DEP_3)
	v_sub_co_u32 v3, vcc_lo, v2, s16
	v_subrev_co_ci_u32_e32 v4, vcc_lo, 0, v4, vcc_lo
	s_waitcnt lgkmcnt(0)
	s_add_u32 s2, s6, s17
	v_add_co_u32 v1, s6, s22, v1
	s_delay_alu instid0(VALU_DEP_2) | instskip(SKIP_3) | instid1(VALU_DEP_3)
	v_lshlrev_b64 v[5:6], 3, v[3:4]
	v_add_co_ci_u32_e64 v2, null, s23, 0, s6
	s_addc_u32 s6, s7, s9
	v_add_co_u32 v3, s2, s2, v10
	v_add_co_u32 v5, vcc_lo, s4, v5
	v_add_co_ci_u32_e64 v4, null, s6, 0, s2
	v_add_co_ci_u32_e32 v6, vcc_lo, s5, v6, vcc_lo
	s_set_inst_prefetch_distance 0x1
	s_branch .LBB320_10
	.p2align	6
.LBB320_9:                              ;   in Loop: Header=BB320_10 Depth=1
	s_or_b32 exec_lo, exec_lo, s2
	s_add_u32 s18, s18, 1
	s_addc_u32 s19, s19, 0
	v_add_co_u32 v5, vcc_lo, v5, 8
	v_cmp_lt_i64_e64 s2, s[18:19], s[0:1]
	v_add_co_ci_u32_e32 v6, vcc_lo, 0, v6, vcc_lo
	s_delay_alu instid0(VALU_DEP_2)
	s_and_b32 vcc_lo, exec_lo, s2
	s_cbranch_vccz .LBB320_12
.LBB320_10:                             ; =>This Inner Loop Header: Depth=1
	v_add_co_u32 v10, s2, v9, s18
	s_delay_alu instid0(VALU_DEP_1) | instskip(SKIP_1) | instid1(VALU_DEP_1)
	v_add_co_ci_u32_e64 v11, null, 0, s19, s2
	s_mov_b32 s2, exec_lo
	v_cmpx_gt_i64_e64 s[0:1], v[10:11]
	s_cbranch_execz .LBB320_9
; %bb.11:                               ;   in Loop: Header=BB320_10 Depth=1
	global_load_b64 v[10:11], v[5:6], off
	s_waitcnt vmcnt(0)
	v_sub_co_u32 v12, vcc_lo, v10, s16
	v_subrev_co_ci_u32_e32 v14, vcc_lo, 0, v11, vcc_lo
	s_delay_alu instid0(VALU_DEP_2) | instskip(NEXT) | instid1(VALU_DEP_1)
	v_mad_u64_u32 v[10:11], null, v12, 34, v[1:2]
	v_mad_u64_u32 v[12:13], null, v14, 34, v[11:12]
	s_delay_alu instid0(VALU_DEP_1)
	v_mov_b32_e32 v11, v12
	global_load_u16 v12, v[3:4], off
	global_load_u16 v10, v[10:11], off
	v_add_co_u32 v3, vcc_lo, 0x242, v3
	v_add_co_ci_u32_e32 v4, vcc_lo, 0, v4, vcc_lo
	s_waitcnt vmcnt(0)
	v_fma_mix_f32 v7, v12, v10, v7 op_sel_hi:[1,1,0]
	s_branch .LBB320_9
.LBB320_12:
	s_set_inst_prefetch_distance 0x2
	v_lshlrev_b32_e32 v1, 2, v0
	s_and_b32 vcc_lo, exec_lo, s3
	ds_store_b32 v1, v7
	s_waitcnt lgkmcnt(0)
	s_barrier
	buffer_gl0_inv
	s_cbranch_vccz .LBB320_24
; %bb.13:
	s_mov_b32 s0, exec_lo
	v_cmpx_eq_u16_e32 0, v8
	s_cbranch_execz .LBB320_15
; %bb.14:
	ds_load_2addr_b32 v[2:3], v1 offset1:16
	s_waitcnt lgkmcnt(0)
	v_add_f32_e32 v2, v3, v2
	ds_store_b32 v1, v2
.LBB320_15:
	s_or_b32 exec_lo, exec_lo, s0
	s_delay_alu instid0(SALU_CYCLE_1)
	s_mov_b32 s0, exec_lo
	s_waitcnt lgkmcnt(0)
	s_barrier
	buffer_gl0_inv
	v_cmpx_gt_u16_e32 8, v8
	s_cbranch_execz .LBB320_17
; %bb.16:
	ds_load_2addr_b32 v[2:3], v1 offset1:8
	s_waitcnt lgkmcnt(0)
	v_add_f32_e32 v2, v3, v2
	ds_store_b32 v1, v2
.LBB320_17:
	s_or_b32 exec_lo, exec_lo, s0
	s_delay_alu instid0(SALU_CYCLE_1)
	s_mov_b32 s0, exec_lo
	s_waitcnt lgkmcnt(0)
	s_barrier
	buffer_gl0_inv
	v_cmpx_gt_u16_e32 4, v8
	;; [unrolled: 14-line block ×3, first 2 shown]
	s_cbranch_execz .LBB320_21
; %bb.20:
	ds_load_2addr_b32 v[2:3], v1 offset1:2
	s_waitcnt lgkmcnt(0)
	v_add_f32_e32 v2, v3, v2
	ds_store_b32 v1, v2
.LBB320_21:
	s_or_b32 exec_lo, exec_lo, s0
	s_mov_b32 s0, 0
	s_mov_b32 s1, 0
	s_mov_b32 s2, exec_lo
	s_waitcnt lgkmcnt(0)
	s_barrier
	buffer_gl0_inv
                                        ; implicit-def: $vgpr2
                                        ; implicit-def: $vgpr3
	v_cmpx_gt_u32_e32 17, v0
	s_xor_b32 s2, exec_lo, s2
; %bb.22:
	v_mad_u32_u24 v2, v0, 17, 1
	v_lshl_add_u32 v3, v0, 6, v1
	s_mov_b32 s1, exec_lo
; %bb.23:
	s_or_b32 exec_lo, exec_lo, s2
	s_delay_alu instid0(SALU_CYCLE_1)
	s_and_b32 vcc_lo, exec_lo, s0
	v_cmp_gt_u32_e64 s0, 17, v0
	s_cbranch_vccnz .LBB320_25
	s_branch .LBB320_36
.LBB320_24:
	s_mov_b32 s1, 0
                                        ; implicit-def: $vgpr2
                                        ; implicit-def: $vgpr3
	v_cmp_gt_u32_e64 s0, 17, v0
	s_cbranch_execz .LBB320_36
.LBB320_25:
	s_delay_alu instid0(VALU_DEP_1)
	s_and_saveexec_b32 s2, s0
	s_cbranch_execz .LBB320_27
; %bb.26:
	ds_load_b32 v2, v1 offset:1088
	ds_load_b32 v3, v1
	s_waitcnt lgkmcnt(0)
	v_add_f32_e32 v2, v2, v3
	ds_store_b32 v1, v2
.LBB320_27:
	s_or_b32 exec_lo, exec_lo, s2
	s_delay_alu instid0(SALU_CYCLE_1)
	s_mov_b32 s2, exec_lo
	s_waitcnt lgkmcnt(0)
	s_barrier
	buffer_gl0_inv
	v_cmpx_gt_u32_e32 0x88, v0
	s_cbranch_execz .LBB320_29
; %bb.28:
	ds_load_2addr_b32 v[2:3], v1 offset1:136
	s_waitcnt lgkmcnt(0)
	v_add_f32_e32 v2, v3, v2
	ds_store_b32 v1, v2
.LBB320_29:
	s_or_b32 exec_lo, exec_lo, s2
	s_delay_alu instid0(SALU_CYCLE_1)
	s_mov_b32 s2, exec_lo
	s_waitcnt lgkmcnt(0)
	s_barrier
	buffer_gl0_inv
	v_cmpx_gt_u32_e32 0x44, v0
	s_cbranch_execz .LBB320_31
; %bb.30:
	ds_load_2addr_b32 v[2:3], v1 offset1:68
	s_waitcnt lgkmcnt(0)
	v_add_f32_e32 v2, v3, v2
	ds_store_b32 v1, v2
.LBB320_31:
	;; [unrolled: 14-line block ×3, first 2 shown]
	s_or_b32 exec_lo, exec_lo, s2
	s_waitcnt lgkmcnt(0)
	buffer_gl0_inv
                                        ; implicit-def: $vgpr2
	s_and_saveexec_b32 s2, s0
; %bb.34:
	v_add_nc_u32_e32 v2, 17, v0
	s_or_b32 s1, s1, exec_lo
                                        ; implicit-def: $vgpr7
; %bb.35:
	s_or_b32 exec_lo, exec_lo, s2
	v_mov_b32_e32 v3, v1
.LBB320_36:
	s_and_saveexec_b32 s0, s1
	s_cbranch_execz .LBB320_38
; %bb.37:
	v_lshlrev_b32_e32 v1, 2, v2
	ds_load_b32 v2, v3
	ds_load_b32 v1, v1
	s_waitcnt lgkmcnt(0)
	v_add_f32_e32 v7, v2, v1
.LBB320_38:
	s_or_b32 exec_lo, exec_lo, s0
	s_delay_alu instid0(SALU_CYCLE_1)
	s_mov_b32 s0, exec_lo
	v_cmpx_gt_u32_e32 17, v0
	s_cbranch_execz .LBB320_42
; %bb.39:
	v_cmp_eq_f32_e64 s1, s8, 0
	v_mul_f32_e32 v1, s12, v7
	s_mov_b32 s3, 0
	s_mul_i32 s0, s11, 0x44
	s_mul_i32 s2, s10, 0x44
	s_and_b32 vcc_lo, exec_lo, s1
	s_mul_hi_u32 s1, s10, 0x44
	s_cbranch_vccz .LBB320_43
; %bb.40:
	v_lshlrev_b32_e32 v2, 2, v0
	s_add_i32 s5, s1, s0
	s_add_u32 s4, s14, s2
	s_addc_u32 s5, s15, s5
	global_store_b32 v2, v1, s[4:5]
	s_and_not1_b32 vcc_lo, exec_lo, s3
	s_cbranch_vccnz .LBB320_42
.LBB320_41:
	v_lshlrev_b32_e32 v0, 2, v0
	s_add_i32 s1, s1, s0
	s_add_u32 s0, s14, s2
	s_addc_u32 s1, s15, s1
	global_load_b32 v2, v0, s[0:1]
	s_waitcnt vmcnt(0)
	v_fmac_f32_e32 v1, s8, v2
	global_store_b32 v0, v1, s[0:1]
.LBB320_42:
	s_nop 0
	s_sendmsg sendmsg(MSG_DEALLOC_VGPRS)
	s_endpgm
.LBB320_43:
	s_branch .LBB320_41
	.section	.rodata,"a",@progbits
	.p2align	6, 0x0
	.amdhsa_kernel _ZN9rocsparseL20bsrxmvn_17_32_kernelILj17EfllDF16_DF16_fEEvT2_20rocsparse_direction_NS_24const_host_device_scalarIT0_EES1_PKS1_PKT1_SA_S7_PKT3_PKT4_S5_PT5_21rocsparse_index_base_b
		.amdhsa_group_segment_fixed_size 1156
		.amdhsa_private_segment_fixed_size 0
		.amdhsa_kernarg_size 104
		.amdhsa_user_sgpr_count 15
		.amdhsa_user_sgpr_dispatch_ptr 0
		.amdhsa_user_sgpr_queue_ptr 0
		.amdhsa_user_sgpr_kernarg_segment_ptr 1
		.amdhsa_user_sgpr_dispatch_id 0
		.amdhsa_user_sgpr_private_segment_size 0
		.amdhsa_wavefront_size32 1
		.amdhsa_uses_dynamic_stack 0
		.amdhsa_enable_private_segment 0
		.amdhsa_system_sgpr_workgroup_id_x 1
		.amdhsa_system_sgpr_workgroup_id_y 0
		.amdhsa_system_sgpr_workgroup_id_z 0
		.amdhsa_system_sgpr_workgroup_info 0
		.amdhsa_system_vgpr_workitem_id 0
		.amdhsa_next_free_vgpr 15
		.amdhsa_next_free_sgpr 24
		.amdhsa_reserve_vcc 1
		.amdhsa_float_round_mode_32 0
		.amdhsa_float_round_mode_16_64 0
		.amdhsa_float_denorm_mode_32 3
		.amdhsa_float_denorm_mode_16_64 3
		.amdhsa_dx10_clamp 1
		.amdhsa_ieee_mode 1
		.amdhsa_fp16_overflow 0
		.amdhsa_workgroup_processor_mode 1
		.amdhsa_memory_ordered 1
		.amdhsa_forward_progress 0
		.amdhsa_shared_vgpr_count 0
		.amdhsa_exception_fp_ieee_invalid_op 0
		.amdhsa_exception_fp_denorm_src 0
		.amdhsa_exception_fp_ieee_div_zero 0
		.amdhsa_exception_fp_ieee_overflow 0
		.amdhsa_exception_fp_ieee_underflow 0
		.amdhsa_exception_fp_ieee_inexact 0
		.amdhsa_exception_int_div_zero 0
	.end_amdhsa_kernel
	.section	.text._ZN9rocsparseL20bsrxmvn_17_32_kernelILj17EfllDF16_DF16_fEEvT2_20rocsparse_direction_NS_24const_host_device_scalarIT0_EES1_PKS1_PKT1_SA_S7_PKT3_PKT4_S5_PT5_21rocsparse_index_base_b,"axG",@progbits,_ZN9rocsparseL20bsrxmvn_17_32_kernelILj17EfllDF16_DF16_fEEvT2_20rocsparse_direction_NS_24const_host_device_scalarIT0_EES1_PKS1_PKT1_SA_S7_PKT3_PKT4_S5_PT5_21rocsparse_index_base_b,comdat
.Lfunc_end320:
	.size	_ZN9rocsparseL20bsrxmvn_17_32_kernelILj17EfllDF16_DF16_fEEvT2_20rocsparse_direction_NS_24const_host_device_scalarIT0_EES1_PKS1_PKT1_SA_S7_PKT3_PKT4_S5_PT5_21rocsparse_index_base_b, .Lfunc_end320-_ZN9rocsparseL20bsrxmvn_17_32_kernelILj17EfllDF16_DF16_fEEvT2_20rocsparse_direction_NS_24const_host_device_scalarIT0_EES1_PKS1_PKT1_SA_S7_PKT3_PKT4_S5_PT5_21rocsparse_index_base_b
                                        ; -- End function
	.section	.AMDGPU.csdata,"",@progbits
; Kernel info:
; codeLenInByte = 1624
; NumSgprs: 26
; NumVgprs: 15
; ScratchSize: 0
; MemoryBound: 0
; FloatMode: 240
; IeeeMode: 1
; LDSByteSize: 1156 bytes/workgroup (compile time only)
; SGPRBlocks: 3
; VGPRBlocks: 1
; NumSGPRsForWavesPerEU: 26
; NumVGPRsForWavesPerEU: 15
; Occupancy: 15
; WaveLimiterHint : 1
; COMPUTE_PGM_RSRC2:SCRATCH_EN: 0
; COMPUTE_PGM_RSRC2:USER_SGPR: 15
; COMPUTE_PGM_RSRC2:TRAP_HANDLER: 0
; COMPUTE_PGM_RSRC2:TGID_X_EN: 1
; COMPUTE_PGM_RSRC2:TGID_Y_EN: 0
; COMPUTE_PGM_RSRC2:TGID_Z_EN: 0
; COMPUTE_PGM_RSRC2:TIDIG_COMP_CNT: 0
	.section	.text._ZN9rocsparseL20bsrxmvn_17_32_kernelILj18EfllDF16_DF16_fEEvT2_20rocsparse_direction_NS_24const_host_device_scalarIT0_EES1_PKS1_PKT1_SA_S7_PKT3_PKT4_S5_PT5_21rocsparse_index_base_b,"axG",@progbits,_ZN9rocsparseL20bsrxmvn_17_32_kernelILj18EfllDF16_DF16_fEEvT2_20rocsparse_direction_NS_24const_host_device_scalarIT0_EES1_PKS1_PKT1_SA_S7_PKT3_PKT4_S5_PT5_21rocsparse_index_base_b,comdat
	.globl	_ZN9rocsparseL20bsrxmvn_17_32_kernelILj18EfllDF16_DF16_fEEvT2_20rocsparse_direction_NS_24const_host_device_scalarIT0_EES1_PKS1_PKT1_SA_S7_PKT3_PKT4_S5_PT5_21rocsparse_index_base_b ; -- Begin function _ZN9rocsparseL20bsrxmvn_17_32_kernelILj18EfllDF16_DF16_fEEvT2_20rocsparse_direction_NS_24const_host_device_scalarIT0_EES1_PKS1_PKT1_SA_S7_PKT3_PKT4_S5_PT5_21rocsparse_index_base_b
	.p2align	8
	.type	_ZN9rocsparseL20bsrxmvn_17_32_kernelILj18EfllDF16_DF16_fEEvT2_20rocsparse_direction_NS_24const_host_device_scalarIT0_EES1_PKS1_PKT1_SA_S7_PKT3_PKT4_S5_PT5_21rocsparse_index_base_b,@function
_ZN9rocsparseL20bsrxmvn_17_32_kernelILj18EfllDF16_DF16_fEEvT2_20rocsparse_direction_NS_24const_host_device_scalarIT0_EES1_PKS1_PKT1_SA_S7_PKT3_PKT4_S5_PT5_21rocsparse_index_base_b: ; @_ZN9rocsparseL20bsrxmvn_17_32_kernelILj18EfllDF16_DF16_fEEvT2_20rocsparse_direction_NS_24const_host_device_scalarIT0_EES1_PKS1_PKT1_SA_S7_PKT3_PKT4_S5_PT5_21rocsparse_index_base_b
; %bb.0:
	s_clause 0x2
	s_load_b64 s[16:17], s[0:1], 0x60
	s_load_b64 s[12:13], s[0:1], 0x10
	;; [unrolled: 1-line block ×3, first 2 shown]
	s_mov_b32 s10, s15
	s_waitcnt lgkmcnt(0)
	s_bitcmp1_b32 s17, 0
	s_cselect_b32 s2, -1, 0
	s_delay_alu instid0(SALU_CYCLE_1)
	s_and_b32 vcc_lo, exec_lo, s2
	s_xor_b32 s2, s2, -1
	s_cbranch_vccnz .LBB321_2
; %bb.1:
	s_load_b32 s12, s[12:13], 0x0
.LBB321_2:
	s_and_not1_b32 vcc_lo, exec_lo, s2
	s_cbranch_vccnz .LBB321_4
; %bb.3:
	s_load_b32 s8, s[8:9], 0x0
.LBB321_4:
	s_waitcnt lgkmcnt(0)
	v_cmp_neq_f32_e64 s2, s12, 0
	v_cmp_neq_f32_e64 s3, s8, 1.0
	s_mov_b32 s11, 0
	s_delay_alu instid0(VALU_DEP_1) | instskip(NEXT) | instid1(SALU_CYCLE_1)
	s_or_b32 s2, s2, s3
	s_and_not1_b32 vcc_lo, exec_lo, s2
	s_cbranch_vccnz .LBB321_42
; %bb.5:
	s_clause 0x1
	s_load_b128 s[4:7], s[0:1], 0x20
	s_load_b64 s[14:15], s[0:1], 0x30
	s_waitcnt lgkmcnt(0)
	s_cmp_eq_u64 s[4:5], 0
	s_cbranch_scc1 .LBB321_7
; %bb.6:
	s_lshl_b64 s[2:3], s[10:11], 3
	s_delay_alu instid0(SALU_CYCLE_1)
	s_add_u32 s2, s4, s2
	s_addc_u32 s3, s5, s3
	s_load_b64 s[2:3], s[2:3], 0x0
	s_waitcnt lgkmcnt(0)
	s_sub_u32 s10, s2, s16
	s_subb_u32 s11, s3, 0
.LBB321_7:
	s_load_b32 s3, s[0:1], 0x8
	v_mul_u32_u24_e32 v1, 0xe39, v0
	v_mov_b32_e32 v7, 0
	s_delay_alu instid0(VALU_DEP_2) | instskip(NEXT) | instid1(VALU_DEP_1)
	v_lshrrev_b32_e32 v1, 16, v1
	v_mul_lo_u16 v2, v1, 18
	s_delay_alu instid0(VALU_DEP_1)
	v_sub_nc_u16 v8, v0, v2
	s_waitcnt lgkmcnt(0)
	s_cmp_eq_u32 s3, 1
	s_cselect_b32 s2, -1, 0
	s_cmp_lg_u32 s3, 1
	s_cselect_b32 s3, -1, 0
	s_lshl_b64 s[4:5], s[10:11], 3
	s_delay_alu instid0(SALU_CYCLE_1)
	s_add_u32 s6, s6, s4
	s_addc_u32 s7, s7, s5
	s_add_u32 s9, s6, 8
	s_addc_u32 s13, s7, 0
	;; [unrolled: 2-line block ×3, first 2 shown]
	s_cmp_eq_u64 s[14:15], 0
	s_load_b64 s[14:15], s[0:1], 0x58
	s_cselect_b32 s5, s13, s5
	s_cselect_b32 s4, s9, s4
	s_load_b64 s[20:21], s[6:7], 0x0
	s_load_b64 s[18:19], s[4:5], 0x0
	s_waitcnt lgkmcnt(0)
	v_cmp_ge_i64_e64 s4, s[20:21], s[18:19]
	s_delay_alu instid0(VALU_DEP_1)
	s_and_b32 vcc_lo, exec_lo, s4
	s_cbranch_vccnz .LBB321_12
; %bb.8:
	v_mul_lo_u16 v2, v1, 15
	v_dual_mov_b32 v7, 0 :: v_dual_and_b32 v4, 0xffff, v0
	v_and_b32_e32 v3, 0xffff, v8
	s_clause 0x1
	s_load_b128 s[4:7], s[0:1], 0x38
	s_load_b64 s[22:23], s[0:1], 0x48
	v_lshrrev_b16 v2, 8, v2
	s_sub_u32 s0, s18, s16
	s_subb_u32 s1, s19, 0
	s_sub_u32 s18, s20, s16
	s_subb_u32 s19, s21, 0
	v_mul_lo_u16 v2, v2, 18
	v_lshlrev_b32_e32 v10, 1, v0
	s_mul_hi_u32 s9, s18, 0x288
	s_mul_i32 s13, s19, 0x288
	s_mul_i32 s17, s18, 0x288
	v_sub_nc_u16 v1, v1, v2
	v_mul_u32_u24_e32 v2, 0x195, v4
	s_add_i32 s9, s9, s13
	s_delay_alu instid0(VALU_DEP_2) | instskip(NEXT) | instid1(VALU_DEP_2)
	v_and_b32_e32 v1, 0xff, v1
	v_lshrrev_b32_e32 v9, 17, v2
	s_delay_alu instid0(VALU_DEP_2) | instskip(NEXT) | instid1(VALU_DEP_2)
	v_cndmask_b32_e64 v1, v3, v1, s2
	v_add_co_u32 v2, s2, s20, v9
	s_delay_alu instid0(VALU_DEP_1) | instskip(NEXT) | instid1(VALU_DEP_3)
	v_add_co_ci_u32_e64 v4, null, s21, 0, s2
	v_lshlrev_b32_e32 v1, 1, v1
	s_delay_alu instid0(VALU_DEP_3) | instskip(NEXT) | instid1(VALU_DEP_3)
	v_sub_co_u32 v3, vcc_lo, v2, s16
	v_subrev_co_ci_u32_e32 v4, vcc_lo, 0, v4, vcc_lo
	s_waitcnt lgkmcnt(0)
	s_add_u32 s2, s6, s17
	v_add_co_u32 v1, s6, s22, v1
	s_delay_alu instid0(VALU_DEP_2) | instskip(SKIP_3) | instid1(VALU_DEP_3)
	v_lshlrev_b64 v[5:6], 3, v[3:4]
	v_add_co_ci_u32_e64 v2, null, s23, 0, s6
	s_addc_u32 s6, s7, s9
	v_add_co_u32 v3, s2, s2, v10
	v_add_co_u32 v5, vcc_lo, s4, v5
	v_add_co_ci_u32_e64 v4, null, s6, 0, s2
	v_add_co_ci_u32_e32 v6, vcc_lo, s5, v6, vcc_lo
	s_set_inst_prefetch_distance 0x1
	s_branch .LBB321_10
	.p2align	6
.LBB321_9:                              ;   in Loop: Header=BB321_10 Depth=1
	s_or_b32 exec_lo, exec_lo, s2
	s_add_u32 s18, s18, 1
	s_addc_u32 s19, s19, 0
	v_add_co_u32 v5, vcc_lo, v5, 8
	v_cmp_lt_i64_e64 s2, s[18:19], s[0:1]
	v_add_co_ci_u32_e32 v6, vcc_lo, 0, v6, vcc_lo
	s_delay_alu instid0(VALU_DEP_2)
	s_and_b32 vcc_lo, exec_lo, s2
	s_cbranch_vccz .LBB321_12
.LBB321_10:                             ; =>This Inner Loop Header: Depth=1
	v_add_co_u32 v10, s2, v9, s18
	s_delay_alu instid0(VALU_DEP_1) | instskip(SKIP_1) | instid1(VALU_DEP_1)
	v_add_co_ci_u32_e64 v11, null, 0, s19, s2
	s_mov_b32 s2, exec_lo
	v_cmpx_gt_i64_e64 s[0:1], v[10:11]
	s_cbranch_execz .LBB321_9
; %bb.11:                               ;   in Loop: Header=BB321_10 Depth=1
	global_load_b64 v[10:11], v[5:6], off
	s_waitcnt vmcnt(0)
	v_sub_co_u32 v12, vcc_lo, v10, s16
	v_subrev_co_ci_u32_e32 v14, vcc_lo, 0, v11, vcc_lo
	s_delay_alu instid0(VALU_DEP_2) | instskip(NEXT) | instid1(VALU_DEP_1)
	v_mad_u64_u32 v[10:11], null, v12, 36, v[1:2]
	v_mad_u64_u32 v[12:13], null, v14, 36, v[11:12]
	s_delay_alu instid0(VALU_DEP_1)
	v_mov_b32_e32 v11, v12
	global_load_u16 v12, v[3:4], off
	global_load_u16 v10, v[10:11], off
	v_add_co_u32 v3, vcc_lo, 0x288, v3
	v_add_co_ci_u32_e32 v4, vcc_lo, 0, v4, vcc_lo
	s_waitcnt vmcnt(0)
	v_fma_mix_f32 v7, v12, v10, v7 op_sel_hi:[1,1,0]
	s_branch .LBB321_9
.LBB321_12:
	s_set_inst_prefetch_distance 0x2
	v_lshlrev_b32_e32 v1, 2, v0
	s_and_b32 vcc_lo, exec_lo, s3
	ds_store_b32 v1, v7
	s_waitcnt lgkmcnt(0)
	s_barrier
	buffer_gl0_inv
	s_cbranch_vccz .LBB321_24
; %bb.13:
	v_cmp_gt_u16_e32 vcc_lo, 2, v8
	s_and_saveexec_b32 s0, vcc_lo
	s_cbranch_execz .LBB321_15
; %bb.14:
	ds_load_2addr_b32 v[2:3], v1 offset1:16
	s_waitcnt lgkmcnt(0)
	v_add_f32_e32 v2, v3, v2
	ds_store_b32 v1, v2
.LBB321_15:
	s_or_b32 exec_lo, exec_lo, s0
	s_delay_alu instid0(SALU_CYCLE_1)
	s_mov_b32 s1, exec_lo
	s_waitcnt lgkmcnt(0)
	s_barrier
	buffer_gl0_inv
	v_cmpx_gt_u16_e32 8, v8
	s_cbranch_execz .LBB321_17
; %bb.16:
	ds_load_2addr_b32 v[2:3], v1 offset1:8
	s_waitcnt lgkmcnt(0)
	v_add_f32_e32 v2, v3, v2
	ds_store_b32 v1, v2
.LBB321_17:
	s_or_b32 exec_lo, exec_lo, s1
	s_delay_alu instid0(SALU_CYCLE_1)
	s_mov_b32 s1, exec_lo
	s_waitcnt lgkmcnt(0)
	s_barrier
	buffer_gl0_inv
	v_cmpx_gt_u16_e32 4, v8
	s_cbranch_execz .LBB321_19
; %bb.18:
	ds_load_2addr_b32 v[2:3], v1 offset1:4
	s_waitcnt lgkmcnt(0)
	v_add_f32_e32 v2, v3, v2
	ds_store_b32 v1, v2
.LBB321_19:
	s_or_b32 exec_lo, exec_lo, s1
	s_waitcnt lgkmcnt(0)
	s_barrier
	buffer_gl0_inv
	s_and_saveexec_b32 s0, vcc_lo
	s_cbranch_execz .LBB321_21
; %bb.20:
	ds_load_2addr_b32 v[2:3], v1 offset1:2
	s_waitcnt lgkmcnt(0)
	v_add_f32_e32 v2, v3, v2
	ds_store_b32 v1, v2
.LBB321_21:
	s_or_b32 exec_lo, exec_lo, s0
	s_mov_b32 s0, 0
	s_mov_b32 s1, 0
	s_mov_b32 s2, exec_lo
	s_waitcnt lgkmcnt(0)
	s_barrier
	buffer_gl0_inv
                                        ; implicit-def: $vgpr2
                                        ; implicit-def: $vgpr3
	v_cmpx_gt_u32_e32 18, v0
	s_xor_b32 s2, exec_lo, s2
; %bb.22:
	v_mul_u32_u24_e32 v2, 18, v0
	v_mad_u32_u24 v3, 0x44, v0, v1
	s_mov_b32 s1, exec_lo
	s_delay_alu instid0(VALU_DEP_2)
	v_or_b32_e32 v2, 1, v2
; %bb.23:
	s_or_b32 exec_lo, exec_lo, s2
	s_delay_alu instid0(SALU_CYCLE_1)
	s_and_b32 vcc_lo, exec_lo, s0
	s_cbranch_vccnz .LBB321_25
	s_branch .LBB321_36
.LBB321_24:
	s_mov_b32 s1, 0
                                        ; implicit-def: $vgpr2
                                        ; implicit-def: $vgpr3
	s_cbranch_execz .LBB321_36
.LBB321_25:
	v_cmp_gt_u32_e32 vcc_lo, 36, v0
	s_and_saveexec_b32 s0, vcc_lo
	s_cbranch_execz .LBB321_27
; %bb.26:
	ds_load_b32 v2, v1 offset:1152
	ds_load_b32 v3, v1
	s_waitcnt lgkmcnt(0)
	v_add_f32_e32 v2, v2, v3
	ds_store_b32 v1, v2
.LBB321_27:
	s_or_b32 exec_lo, exec_lo, s0
	s_delay_alu instid0(SALU_CYCLE_1)
	s_mov_b32 s2, exec_lo
	s_waitcnt lgkmcnt(0)
	s_barrier
	buffer_gl0_inv
	v_cmpx_gt_u32_e32 0x90, v0
	s_cbranch_execz .LBB321_29
; %bb.28:
	ds_load_2addr_b32 v[2:3], v1 offset1:144
	s_waitcnt lgkmcnt(0)
	v_add_f32_e32 v2, v3, v2
	ds_store_b32 v1, v2
.LBB321_29:
	s_or_b32 exec_lo, exec_lo, s2
	s_delay_alu instid0(SALU_CYCLE_1)
	s_mov_b32 s2, exec_lo
	s_waitcnt lgkmcnt(0)
	s_barrier
	buffer_gl0_inv
	v_cmpx_gt_u32_e32 0x48, v0
	s_cbranch_execz .LBB321_31
; %bb.30:
	ds_load_2addr_b32 v[2:3], v1 offset1:72
	s_waitcnt lgkmcnt(0)
	v_add_f32_e32 v2, v3, v2
	ds_store_b32 v1, v2
.LBB321_31:
	s_or_b32 exec_lo, exec_lo, s2
	s_waitcnt lgkmcnt(0)
	s_barrier
	buffer_gl0_inv
	s_and_saveexec_b32 s0, vcc_lo
	s_cbranch_execz .LBB321_33
; %bb.32:
	ds_load_2addr_b32 v[2:3], v1 offset1:36
	s_waitcnt lgkmcnt(0)
	v_add_f32_e32 v2, v3, v2
	ds_store_b32 v1, v2
.LBB321_33:
	s_or_b32 exec_lo, exec_lo, s0
	s_delay_alu instid0(SALU_CYCLE_1)
	s_mov_b32 s0, exec_lo
	s_waitcnt lgkmcnt(0)
	buffer_gl0_inv
                                        ; implicit-def: $vgpr2
	v_cmpx_gt_u32_e32 18, v0
; %bb.34:
	v_add_nc_u32_e32 v2, 18, v0
	s_or_b32 s1, s1, exec_lo
                                        ; implicit-def: $vgpr7
; %bb.35:
	s_or_b32 exec_lo, exec_lo, s0
	v_mov_b32_e32 v3, v1
.LBB321_36:
	s_and_saveexec_b32 s0, s1
	s_cbranch_execz .LBB321_38
; %bb.37:
	v_lshlrev_b32_e32 v1, 2, v2
	ds_load_b32 v2, v3
	ds_load_b32 v1, v1
	s_waitcnt lgkmcnt(0)
	v_add_f32_e32 v7, v2, v1
.LBB321_38:
	s_or_b32 exec_lo, exec_lo, s0
	s_delay_alu instid0(SALU_CYCLE_1)
	s_mov_b32 s0, exec_lo
	v_cmpx_gt_u32_e32 18, v0
	s_cbranch_execz .LBB321_42
; %bb.39:
	v_cmp_eq_f32_e64 s1, s8, 0
	v_mul_f32_e32 v1, s12, v7
	s_mov_b32 s3, 0
	s_mul_i32 s0, s11, 0x48
	s_mul_i32 s2, s10, 0x48
	s_and_b32 vcc_lo, exec_lo, s1
	s_mul_hi_u32 s1, s10, 0x48
	s_cbranch_vccz .LBB321_43
; %bb.40:
	v_lshlrev_b32_e32 v2, 2, v0
	s_add_i32 s5, s1, s0
	s_add_u32 s4, s14, s2
	s_addc_u32 s5, s15, s5
	global_store_b32 v2, v1, s[4:5]
	s_and_not1_b32 vcc_lo, exec_lo, s3
	s_cbranch_vccnz .LBB321_42
.LBB321_41:
	v_lshlrev_b32_e32 v0, 2, v0
	s_add_i32 s1, s1, s0
	s_add_u32 s0, s14, s2
	s_addc_u32 s1, s15, s1
	global_load_b32 v2, v0, s[0:1]
	s_waitcnt vmcnt(0)
	v_fmac_f32_e32 v1, s8, v2
	global_store_b32 v0, v1, s[0:1]
.LBB321_42:
	s_nop 0
	s_sendmsg sendmsg(MSG_DEALLOC_VGPRS)
	s_endpgm
.LBB321_43:
	s_branch .LBB321_41
	.section	.rodata,"a",@progbits
	.p2align	6, 0x0
	.amdhsa_kernel _ZN9rocsparseL20bsrxmvn_17_32_kernelILj18EfllDF16_DF16_fEEvT2_20rocsparse_direction_NS_24const_host_device_scalarIT0_EES1_PKS1_PKT1_SA_S7_PKT3_PKT4_S5_PT5_21rocsparse_index_base_b
		.amdhsa_group_segment_fixed_size 1296
		.amdhsa_private_segment_fixed_size 0
		.amdhsa_kernarg_size 104
		.amdhsa_user_sgpr_count 15
		.amdhsa_user_sgpr_dispatch_ptr 0
		.amdhsa_user_sgpr_queue_ptr 0
		.amdhsa_user_sgpr_kernarg_segment_ptr 1
		.amdhsa_user_sgpr_dispatch_id 0
		.amdhsa_user_sgpr_private_segment_size 0
		.amdhsa_wavefront_size32 1
		.amdhsa_uses_dynamic_stack 0
		.amdhsa_enable_private_segment 0
		.amdhsa_system_sgpr_workgroup_id_x 1
		.amdhsa_system_sgpr_workgroup_id_y 0
		.amdhsa_system_sgpr_workgroup_id_z 0
		.amdhsa_system_sgpr_workgroup_info 0
		.amdhsa_system_vgpr_workitem_id 0
		.amdhsa_next_free_vgpr 15
		.amdhsa_next_free_sgpr 24
		.amdhsa_reserve_vcc 1
		.amdhsa_float_round_mode_32 0
		.amdhsa_float_round_mode_16_64 0
		.amdhsa_float_denorm_mode_32 3
		.amdhsa_float_denorm_mode_16_64 3
		.amdhsa_dx10_clamp 1
		.amdhsa_ieee_mode 1
		.amdhsa_fp16_overflow 0
		.amdhsa_workgroup_processor_mode 1
		.amdhsa_memory_ordered 1
		.amdhsa_forward_progress 0
		.amdhsa_shared_vgpr_count 0
		.amdhsa_exception_fp_ieee_invalid_op 0
		.amdhsa_exception_fp_denorm_src 0
		.amdhsa_exception_fp_ieee_div_zero 0
		.amdhsa_exception_fp_ieee_overflow 0
		.amdhsa_exception_fp_ieee_underflow 0
		.amdhsa_exception_fp_ieee_inexact 0
		.amdhsa_exception_int_div_zero 0
	.end_amdhsa_kernel
	.section	.text._ZN9rocsparseL20bsrxmvn_17_32_kernelILj18EfllDF16_DF16_fEEvT2_20rocsparse_direction_NS_24const_host_device_scalarIT0_EES1_PKS1_PKT1_SA_S7_PKT3_PKT4_S5_PT5_21rocsparse_index_base_b,"axG",@progbits,_ZN9rocsparseL20bsrxmvn_17_32_kernelILj18EfllDF16_DF16_fEEvT2_20rocsparse_direction_NS_24const_host_device_scalarIT0_EES1_PKS1_PKT1_SA_S7_PKT3_PKT4_S5_PT5_21rocsparse_index_base_b,comdat
.Lfunc_end321:
	.size	_ZN9rocsparseL20bsrxmvn_17_32_kernelILj18EfllDF16_DF16_fEEvT2_20rocsparse_direction_NS_24const_host_device_scalarIT0_EES1_PKS1_PKT1_SA_S7_PKT3_PKT4_S5_PT5_21rocsparse_index_base_b, .Lfunc_end321-_ZN9rocsparseL20bsrxmvn_17_32_kernelILj18EfllDF16_DF16_fEEvT2_20rocsparse_direction_NS_24const_host_device_scalarIT0_EES1_PKS1_PKT1_SA_S7_PKT3_PKT4_S5_PT5_21rocsparse_index_base_b
                                        ; -- End function
	.section	.AMDGPU.csdata,"",@progbits
; Kernel info:
; codeLenInByte = 1608
; NumSgprs: 26
; NumVgprs: 15
; ScratchSize: 0
; MemoryBound: 0
; FloatMode: 240
; IeeeMode: 1
; LDSByteSize: 1296 bytes/workgroup (compile time only)
; SGPRBlocks: 3
; VGPRBlocks: 1
; NumSGPRsForWavesPerEU: 26
; NumVGPRsForWavesPerEU: 15
; Occupancy: 14
; WaveLimiterHint : 1
; COMPUTE_PGM_RSRC2:SCRATCH_EN: 0
; COMPUTE_PGM_RSRC2:USER_SGPR: 15
; COMPUTE_PGM_RSRC2:TRAP_HANDLER: 0
; COMPUTE_PGM_RSRC2:TGID_X_EN: 1
; COMPUTE_PGM_RSRC2:TGID_Y_EN: 0
; COMPUTE_PGM_RSRC2:TGID_Z_EN: 0
; COMPUTE_PGM_RSRC2:TIDIG_COMP_CNT: 0
	.section	.text._ZN9rocsparseL20bsrxmvn_17_32_kernelILj19EfllDF16_DF16_fEEvT2_20rocsparse_direction_NS_24const_host_device_scalarIT0_EES1_PKS1_PKT1_SA_S7_PKT3_PKT4_S5_PT5_21rocsparse_index_base_b,"axG",@progbits,_ZN9rocsparseL20bsrxmvn_17_32_kernelILj19EfllDF16_DF16_fEEvT2_20rocsparse_direction_NS_24const_host_device_scalarIT0_EES1_PKS1_PKT1_SA_S7_PKT3_PKT4_S5_PT5_21rocsparse_index_base_b,comdat
	.globl	_ZN9rocsparseL20bsrxmvn_17_32_kernelILj19EfllDF16_DF16_fEEvT2_20rocsparse_direction_NS_24const_host_device_scalarIT0_EES1_PKS1_PKT1_SA_S7_PKT3_PKT4_S5_PT5_21rocsparse_index_base_b ; -- Begin function _ZN9rocsparseL20bsrxmvn_17_32_kernelILj19EfllDF16_DF16_fEEvT2_20rocsparse_direction_NS_24const_host_device_scalarIT0_EES1_PKS1_PKT1_SA_S7_PKT3_PKT4_S5_PT5_21rocsparse_index_base_b
	.p2align	8
	.type	_ZN9rocsparseL20bsrxmvn_17_32_kernelILj19EfllDF16_DF16_fEEvT2_20rocsparse_direction_NS_24const_host_device_scalarIT0_EES1_PKS1_PKT1_SA_S7_PKT3_PKT4_S5_PT5_21rocsparse_index_base_b,@function
_ZN9rocsparseL20bsrxmvn_17_32_kernelILj19EfllDF16_DF16_fEEvT2_20rocsparse_direction_NS_24const_host_device_scalarIT0_EES1_PKS1_PKT1_SA_S7_PKT3_PKT4_S5_PT5_21rocsparse_index_base_b: ; @_ZN9rocsparseL20bsrxmvn_17_32_kernelILj19EfllDF16_DF16_fEEvT2_20rocsparse_direction_NS_24const_host_device_scalarIT0_EES1_PKS1_PKT1_SA_S7_PKT3_PKT4_S5_PT5_21rocsparse_index_base_b
; %bb.0:
	s_clause 0x2
	s_load_b64 s[16:17], s[0:1], 0x60
	s_load_b64 s[12:13], s[0:1], 0x10
	;; [unrolled: 1-line block ×3, first 2 shown]
	s_mov_b32 s10, s15
	s_waitcnt lgkmcnt(0)
	s_bitcmp1_b32 s17, 0
	s_cselect_b32 s2, -1, 0
	s_delay_alu instid0(SALU_CYCLE_1)
	s_and_b32 vcc_lo, exec_lo, s2
	s_xor_b32 s2, s2, -1
	s_cbranch_vccnz .LBB322_2
; %bb.1:
	s_load_b32 s12, s[12:13], 0x0
.LBB322_2:
	s_and_not1_b32 vcc_lo, exec_lo, s2
	s_cbranch_vccnz .LBB322_4
; %bb.3:
	s_load_b32 s8, s[8:9], 0x0
.LBB322_4:
	s_waitcnt lgkmcnt(0)
	v_cmp_neq_f32_e64 s2, s12, 0
	v_cmp_neq_f32_e64 s3, s8, 1.0
	s_mov_b32 s11, 0
	s_delay_alu instid0(VALU_DEP_1) | instskip(NEXT) | instid1(SALU_CYCLE_1)
	s_or_b32 s2, s2, s3
	s_and_not1_b32 vcc_lo, exec_lo, s2
	s_cbranch_vccnz .LBB322_42
; %bb.5:
	s_clause 0x1
	s_load_b128 s[4:7], s[0:1], 0x20
	s_load_b64 s[14:15], s[0:1], 0x30
	s_waitcnt lgkmcnt(0)
	s_cmp_eq_u64 s[4:5], 0
	s_cbranch_scc1 .LBB322_7
; %bb.6:
	s_lshl_b64 s[2:3], s[10:11], 3
	s_delay_alu instid0(SALU_CYCLE_1)
	s_add_u32 s2, s4, s2
	s_addc_u32 s3, s5, s3
	s_load_b64 s[2:3], s[2:3], 0x0
	s_waitcnt lgkmcnt(0)
	s_sub_u32 s10, s2, s16
	s_subb_u32 s11, s3, 0
.LBB322_7:
	s_load_b32 s3, s[0:1], 0x8
	v_mul_u32_u24_e32 v1, 0xd7a, v0
	v_mov_b32_e32 v7, 0
	s_delay_alu instid0(VALU_DEP_2) | instskip(NEXT) | instid1(VALU_DEP_1)
	v_lshrrev_b32_e32 v1, 16, v1
	v_mul_lo_u16 v2, v1, 19
	s_delay_alu instid0(VALU_DEP_1)
	v_sub_nc_u16 v8, v0, v2
	s_waitcnt lgkmcnt(0)
	s_cmp_eq_u32 s3, 1
	s_cselect_b32 s2, -1, 0
	s_cmp_lg_u32 s3, 1
	s_cselect_b32 s3, -1, 0
	s_lshl_b64 s[4:5], s[10:11], 3
	s_delay_alu instid0(SALU_CYCLE_1)
	s_add_u32 s6, s6, s4
	s_addc_u32 s7, s7, s5
	s_add_u32 s9, s6, 8
	s_addc_u32 s13, s7, 0
	;; [unrolled: 2-line block ×3, first 2 shown]
	s_cmp_eq_u64 s[14:15], 0
	s_load_b64 s[14:15], s[0:1], 0x58
	s_cselect_b32 s5, s13, s5
	s_cselect_b32 s4, s9, s4
	s_load_b64 s[20:21], s[6:7], 0x0
	s_load_b64 s[18:19], s[4:5], 0x0
	s_waitcnt lgkmcnt(0)
	v_cmp_ge_i64_e64 s4, s[20:21], s[18:19]
	s_delay_alu instid0(VALU_DEP_1)
	s_and_b32 vcc_lo, exec_lo, s4
	s_cbranch_vccnz .LBB322_12
; %bb.8:
	v_mul_lo_u16 v2, v1, 14
	v_dual_mov_b32 v7, 0 :: v_dual_and_b32 v4, 0xffff, v0
	v_and_b32_e32 v3, 0xffff, v8
	s_clause 0x1
	s_load_b128 s[4:7], s[0:1], 0x38
	s_load_b64 s[22:23], s[0:1], 0x48
	v_lshrrev_b16 v2, 8, v2
	s_sub_u32 s0, s18, s16
	s_subb_u32 s1, s19, 0
	s_sub_u32 s18, s20, s16
	s_subb_u32 s19, s21, 0
	v_mul_lo_u16 v2, v2, 19
	v_lshlrev_b32_e32 v10, 1, v0
	s_mul_hi_u32 s9, s18, 0x2d2
	s_mul_i32 s13, s19, 0x2d2
	s_mul_i32 s17, s18, 0x2d2
	v_sub_nc_u16 v1, v1, v2
	v_mul_u32_u24_e32 v2, 0xb6, v4
	s_add_i32 s9, s9, s13
	s_delay_alu instid0(VALU_DEP_2) | instskip(NEXT) | instid1(VALU_DEP_2)
	v_and_b32_e32 v1, 0xff, v1
	v_lshrrev_b32_e32 v9, 16, v2
	s_delay_alu instid0(VALU_DEP_2) | instskip(NEXT) | instid1(VALU_DEP_2)
	v_cndmask_b32_e64 v1, v3, v1, s2
	v_add_co_u32 v2, s2, s20, v9
	s_delay_alu instid0(VALU_DEP_1) | instskip(NEXT) | instid1(VALU_DEP_3)
	v_add_co_ci_u32_e64 v4, null, s21, 0, s2
	v_lshlrev_b32_e32 v1, 1, v1
	s_delay_alu instid0(VALU_DEP_3) | instskip(NEXT) | instid1(VALU_DEP_3)
	v_sub_co_u32 v3, vcc_lo, v2, s16
	v_subrev_co_ci_u32_e32 v4, vcc_lo, 0, v4, vcc_lo
	s_waitcnt lgkmcnt(0)
	s_add_u32 s2, s6, s17
	v_add_co_u32 v1, s6, s22, v1
	s_delay_alu instid0(VALU_DEP_2) | instskip(SKIP_3) | instid1(VALU_DEP_3)
	v_lshlrev_b64 v[5:6], 3, v[3:4]
	v_add_co_ci_u32_e64 v2, null, s23, 0, s6
	s_addc_u32 s6, s7, s9
	v_add_co_u32 v3, s2, s2, v10
	v_add_co_u32 v5, vcc_lo, s4, v5
	v_add_co_ci_u32_e64 v4, null, s6, 0, s2
	v_add_co_ci_u32_e32 v6, vcc_lo, s5, v6, vcc_lo
	s_set_inst_prefetch_distance 0x1
	s_branch .LBB322_10
	.p2align	6
.LBB322_9:                              ;   in Loop: Header=BB322_10 Depth=1
	s_or_b32 exec_lo, exec_lo, s2
	s_add_u32 s18, s18, 1
	s_addc_u32 s19, s19, 0
	v_add_co_u32 v5, vcc_lo, v5, 8
	v_cmp_lt_i64_e64 s2, s[18:19], s[0:1]
	v_add_co_ci_u32_e32 v6, vcc_lo, 0, v6, vcc_lo
	s_delay_alu instid0(VALU_DEP_2)
	s_and_b32 vcc_lo, exec_lo, s2
	s_cbranch_vccz .LBB322_12
.LBB322_10:                             ; =>This Inner Loop Header: Depth=1
	v_add_co_u32 v10, s2, v9, s18
	s_delay_alu instid0(VALU_DEP_1) | instskip(SKIP_1) | instid1(VALU_DEP_1)
	v_add_co_ci_u32_e64 v11, null, 0, s19, s2
	s_mov_b32 s2, exec_lo
	v_cmpx_gt_i64_e64 s[0:1], v[10:11]
	s_cbranch_execz .LBB322_9
; %bb.11:                               ;   in Loop: Header=BB322_10 Depth=1
	global_load_b64 v[10:11], v[5:6], off
	s_waitcnt vmcnt(0)
	v_sub_co_u32 v12, vcc_lo, v10, s16
	v_subrev_co_ci_u32_e32 v14, vcc_lo, 0, v11, vcc_lo
	s_delay_alu instid0(VALU_DEP_2) | instskip(NEXT) | instid1(VALU_DEP_1)
	v_mad_u64_u32 v[10:11], null, v12, 38, v[1:2]
	v_mad_u64_u32 v[12:13], null, v14, 38, v[11:12]
	s_delay_alu instid0(VALU_DEP_1)
	v_mov_b32_e32 v11, v12
	global_load_u16 v12, v[3:4], off
	global_load_u16 v10, v[10:11], off
	v_add_co_u32 v3, vcc_lo, 0x2d2, v3
	v_add_co_ci_u32_e32 v4, vcc_lo, 0, v4, vcc_lo
	s_waitcnt vmcnt(0)
	v_fma_mix_f32 v7, v12, v10, v7 op_sel_hi:[1,1,0]
	s_branch .LBB322_9
.LBB322_12:
	s_set_inst_prefetch_distance 0x2
	v_lshlrev_b32_e32 v1, 2, v0
	s_and_b32 vcc_lo, exec_lo, s3
	ds_store_b32 v1, v7
	s_waitcnt lgkmcnt(0)
	s_barrier
	buffer_gl0_inv
	s_cbranch_vccz .LBB322_24
; %bb.13:
	s_mov_b32 s0, exec_lo
	v_cmpx_gt_u16_e32 3, v8
	s_cbranch_execz .LBB322_15
; %bb.14:
	ds_load_2addr_b32 v[2:3], v1 offset1:16
	s_waitcnt lgkmcnt(0)
	v_add_f32_e32 v2, v3, v2
	ds_store_b32 v1, v2
.LBB322_15:
	s_or_b32 exec_lo, exec_lo, s0
	s_delay_alu instid0(SALU_CYCLE_1)
	s_mov_b32 s0, exec_lo
	s_waitcnt lgkmcnt(0)
	s_barrier
	buffer_gl0_inv
	v_cmpx_gt_u16_e32 8, v8
	s_cbranch_execz .LBB322_17
; %bb.16:
	ds_load_2addr_b32 v[2:3], v1 offset1:8
	s_waitcnt lgkmcnt(0)
	v_add_f32_e32 v2, v3, v2
	ds_store_b32 v1, v2
.LBB322_17:
	s_or_b32 exec_lo, exec_lo, s0
	s_delay_alu instid0(SALU_CYCLE_1)
	s_mov_b32 s0, exec_lo
	s_waitcnt lgkmcnt(0)
	s_barrier
	buffer_gl0_inv
	;; [unrolled: 14-line block ×3, first 2 shown]
	v_cmpx_gt_u16_e32 2, v8
	s_cbranch_execz .LBB322_21
; %bb.20:
	ds_load_2addr_b32 v[2:3], v1 offset1:2
	s_waitcnt lgkmcnt(0)
	v_add_f32_e32 v2, v3, v2
	ds_store_b32 v1, v2
.LBB322_21:
	s_or_b32 exec_lo, exec_lo, s0
	s_mov_b32 s1, 0
	s_mov_b32 s0, 0
	s_mov_b32 s2, exec_lo
	s_waitcnt lgkmcnt(0)
	s_barrier
	buffer_gl0_inv
                                        ; implicit-def: $vgpr2
                                        ; implicit-def: $vgpr3
	v_cmpx_gt_u32_e32 19, v0
	s_xor_b32 s2, exec_lo, s2
; %bb.22:
	v_mad_u32_u24 v2, v0, 19, 1
	v_mad_u32_u24 v3, 0x48, v0, v1
	s_mov_b32 s0, exec_lo
; %bb.23:
	s_or_b32 exec_lo, exec_lo, s2
	s_delay_alu instid0(SALU_CYCLE_1)
	s_and_b32 vcc_lo, exec_lo, s1
	s_cbranch_vccnz .LBB322_25
	s_branch .LBB322_36
.LBB322_24:
	s_mov_b32 s0, 0
                                        ; implicit-def: $vgpr2
                                        ; implicit-def: $vgpr3
	s_cbranch_execz .LBB322_36
.LBB322_25:
	s_mov_b32 s1, exec_lo
	v_cmpx_gt_u32_e32 57, v0
	s_cbranch_execz .LBB322_27
; %bb.26:
	ds_load_b32 v2, v1 offset:1216
	ds_load_b32 v3, v1
	s_waitcnt lgkmcnt(0)
	v_add_f32_e32 v2, v2, v3
	ds_store_b32 v1, v2
.LBB322_27:
	s_or_b32 exec_lo, exec_lo, s1
	s_delay_alu instid0(SALU_CYCLE_1)
	s_mov_b32 s1, exec_lo
	s_waitcnt lgkmcnt(0)
	s_barrier
	buffer_gl0_inv
	v_cmpx_gt_u32_e32 0x98, v0
	s_cbranch_execz .LBB322_29
; %bb.28:
	ds_load_2addr_b32 v[2:3], v1 offset1:152
	s_waitcnt lgkmcnt(0)
	v_add_f32_e32 v2, v3, v2
	ds_store_b32 v1, v2
.LBB322_29:
	s_or_b32 exec_lo, exec_lo, s1
	s_delay_alu instid0(SALU_CYCLE_1)
	s_mov_b32 s1, exec_lo
	s_waitcnt lgkmcnt(0)
	s_barrier
	buffer_gl0_inv
	v_cmpx_gt_u32_e32 0x4c, v0
	s_cbranch_execz .LBB322_31
; %bb.30:
	ds_load_2addr_b32 v[2:3], v1 offset1:76
	s_waitcnt lgkmcnt(0)
	v_add_f32_e32 v2, v3, v2
	ds_store_b32 v1, v2
.LBB322_31:
	s_or_b32 exec_lo, exec_lo, s1
	s_delay_alu instid0(SALU_CYCLE_1)
	s_mov_b32 s1, exec_lo
	s_waitcnt lgkmcnt(0)
	s_barrier
	buffer_gl0_inv
	v_cmpx_gt_u32_e32 38, v0
	s_cbranch_execz .LBB322_33
; %bb.32:
	ds_load_2addr_b32 v[2:3], v1 offset1:38
	s_waitcnt lgkmcnt(0)
	v_add_f32_e32 v2, v3, v2
	ds_store_b32 v1, v2
.LBB322_33:
	s_or_b32 exec_lo, exec_lo, s1
	s_delay_alu instid0(SALU_CYCLE_1)
	s_mov_b32 s1, exec_lo
	s_waitcnt lgkmcnt(0)
	buffer_gl0_inv
                                        ; implicit-def: $vgpr2
	v_cmpx_gt_u32_e32 19, v0
; %bb.34:
	v_add_nc_u32_e32 v2, 19, v0
	s_or_b32 s0, s0, exec_lo
                                        ; implicit-def: $vgpr7
; %bb.35:
	s_or_b32 exec_lo, exec_lo, s1
	v_mov_b32_e32 v3, v1
.LBB322_36:
	s_and_saveexec_b32 s1, s0
	s_cbranch_execz .LBB322_38
; %bb.37:
	v_lshlrev_b32_e32 v1, 2, v2
	ds_load_b32 v2, v3
	ds_load_b32 v1, v1
	s_waitcnt lgkmcnt(0)
	v_add_f32_e32 v7, v2, v1
.LBB322_38:
	s_or_b32 exec_lo, exec_lo, s1
	s_delay_alu instid0(SALU_CYCLE_1)
	s_mov_b32 s0, exec_lo
	v_cmpx_gt_u32_e32 19, v0
	s_cbranch_execz .LBB322_42
; %bb.39:
	v_cmp_eq_f32_e64 s1, s8, 0
	v_mul_f32_e32 v1, s12, v7
	s_mov_b32 s3, 0
	s_mul_i32 s0, s11, 0x4c
	s_mul_i32 s2, s10, 0x4c
	s_and_b32 vcc_lo, exec_lo, s1
	s_mul_hi_u32 s1, s10, 0x4c
	s_cbranch_vccz .LBB322_43
; %bb.40:
	v_lshlrev_b32_e32 v2, 2, v0
	s_add_i32 s5, s1, s0
	s_add_u32 s4, s14, s2
	s_addc_u32 s5, s15, s5
	global_store_b32 v2, v1, s[4:5]
	s_and_not1_b32 vcc_lo, exec_lo, s3
	s_cbranch_vccnz .LBB322_42
.LBB322_41:
	v_lshlrev_b32_e32 v0, 2, v0
	s_add_i32 s1, s1, s0
	s_add_u32 s0, s14, s2
	s_addc_u32 s1, s15, s1
	global_load_b32 v2, v0, s[0:1]
	s_waitcnt vmcnt(0)
	v_fmac_f32_e32 v1, s8, v2
	global_store_b32 v0, v1, s[0:1]
.LBB322_42:
	s_nop 0
	s_sendmsg sendmsg(MSG_DEALLOC_VGPRS)
	s_endpgm
.LBB322_43:
	s_branch .LBB322_41
	.section	.rodata,"a",@progbits
	.p2align	6, 0x0
	.amdhsa_kernel _ZN9rocsparseL20bsrxmvn_17_32_kernelILj19EfllDF16_DF16_fEEvT2_20rocsparse_direction_NS_24const_host_device_scalarIT0_EES1_PKS1_PKT1_SA_S7_PKT3_PKT4_S5_PT5_21rocsparse_index_base_b
		.amdhsa_group_segment_fixed_size 1444
		.amdhsa_private_segment_fixed_size 0
		.amdhsa_kernarg_size 104
		.amdhsa_user_sgpr_count 15
		.amdhsa_user_sgpr_dispatch_ptr 0
		.amdhsa_user_sgpr_queue_ptr 0
		.amdhsa_user_sgpr_kernarg_segment_ptr 1
		.amdhsa_user_sgpr_dispatch_id 0
		.amdhsa_user_sgpr_private_segment_size 0
		.amdhsa_wavefront_size32 1
		.amdhsa_uses_dynamic_stack 0
		.amdhsa_enable_private_segment 0
		.amdhsa_system_sgpr_workgroup_id_x 1
		.amdhsa_system_sgpr_workgroup_id_y 0
		.amdhsa_system_sgpr_workgroup_id_z 0
		.amdhsa_system_sgpr_workgroup_info 0
		.amdhsa_system_vgpr_workitem_id 0
		.amdhsa_next_free_vgpr 15
		.amdhsa_next_free_sgpr 24
		.amdhsa_reserve_vcc 1
		.amdhsa_float_round_mode_32 0
		.amdhsa_float_round_mode_16_64 0
		.amdhsa_float_denorm_mode_32 3
		.amdhsa_float_denorm_mode_16_64 3
		.amdhsa_dx10_clamp 1
		.amdhsa_ieee_mode 1
		.amdhsa_fp16_overflow 0
		.amdhsa_workgroup_processor_mode 1
		.amdhsa_memory_ordered 1
		.amdhsa_forward_progress 0
		.amdhsa_shared_vgpr_count 0
		.amdhsa_exception_fp_ieee_invalid_op 0
		.amdhsa_exception_fp_denorm_src 0
		.amdhsa_exception_fp_ieee_div_zero 0
		.amdhsa_exception_fp_ieee_overflow 0
		.amdhsa_exception_fp_ieee_underflow 0
		.amdhsa_exception_fp_ieee_inexact 0
		.amdhsa_exception_int_div_zero 0
	.end_amdhsa_kernel
	.section	.text._ZN9rocsparseL20bsrxmvn_17_32_kernelILj19EfllDF16_DF16_fEEvT2_20rocsparse_direction_NS_24const_host_device_scalarIT0_EES1_PKS1_PKT1_SA_S7_PKT3_PKT4_S5_PT5_21rocsparse_index_base_b,"axG",@progbits,_ZN9rocsparseL20bsrxmvn_17_32_kernelILj19EfllDF16_DF16_fEEvT2_20rocsparse_direction_NS_24const_host_device_scalarIT0_EES1_PKS1_PKT1_SA_S7_PKT3_PKT4_S5_PT5_21rocsparse_index_base_b,comdat
.Lfunc_end322:
	.size	_ZN9rocsparseL20bsrxmvn_17_32_kernelILj19EfllDF16_DF16_fEEvT2_20rocsparse_direction_NS_24const_host_device_scalarIT0_EES1_PKS1_PKT1_SA_S7_PKT3_PKT4_S5_PT5_21rocsparse_index_base_b, .Lfunc_end322-_ZN9rocsparseL20bsrxmvn_17_32_kernelILj19EfllDF16_DF16_fEEvT2_20rocsparse_direction_NS_24const_host_device_scalarIT0_EES1_PKS1_PKT1_SA_S7_PKT3_PKT4_S5_PT5_21rocsparse_index_base_b
                                        ; -- End function
	.section	.AMDGPU.csdata,"",@progbits
; Kernel info:
; codeLenInByte = 1620
; NumSgprs: 26
; NumVgprs: 15
; ScratchSize: 0
; MemoryBound: 0
; FloatMode: 240
; IeeeMode: 1
; LDSByteSize: 1444 bytes/workgroup (compile time only)
; SGPRBlocks: 3
; VGPRBlocks: 1
; NumSGPRsForWavesPerEU: 26
; NumVGPRsForWavesPerEU: 15
; Occupancy: 15
; WaveLimiterHint : 1
; COMPUTE_PGM_RSRC2:SCRATCH_EN: 0
; COMPUTE_PGM_RSRC2:USER_SGPR: 15
; COMPUTE_PGM_RSRC2:TRAP_HANDLER: 0
; COMPUTE_PGM_RSRC2:TGID_X_EN: 1
; COMPUTE_PGM_RSRC2:TGID_Y_EN: 0
; COMPUTE_PGM_RSRC2:TGID_Z_EN: 0
; COMPUTE_PGM_RSRC2:TIDIG_COMP_CNT: 0
	.section	.text._ZN9rocsparseL20bsrxmvn_17_32_kernelILj20EfllDF16_DF16_fEEvT2_20rocsparse_direction_NS_24const_host_device_scalarIT0_EES1_PKS1_PKT1_SA_S7_PKT3_PKT4_S5_PT5_21rocsparse_index_base_b,"axG",@progbits,_ZN9rocsparseL20bsrxmvn_17_32_kernelILj20EfllDF16_DF16_fEEvT2_20rocsparse_direction_NS_24const_host_device_scalarIT0_EES1_PKS1_PKT1_SA_S7_PKT3_PKT4_S5_PT5_21rocsparse_index_base_b,comdat
	.globl	_ZN9rocsparseL20bsrxmvn_17_32_kernelILj20EfllDF16_DF16_fEEvT2_20rocsparse_direction_NS_24const_host_device_scalarIT0_EES1_PKS1_PKT1_SA_S7_PKT3_PKT4_S5_PT5_21rocsparse_index_base_b ; -- Begin function _ZN9rocsparseL20bsrxmvn_17_32_kernelILj20EfllDF16_DF16_fEEvT2_20rocsparse_direction_NS_24const_host_device_scalarIT0_EES1_PKS1_PKT1_SA_S7_PKT3_PKT4_S5_PT5_21rocsparse_index_base_b
	.p2align	8
	.type	_ZN9rocsparseL20bsrxmvn_17_32_kernelILj20EfllDF16_DF16_fEEvT2_20rocsparse_direction_NS_24const_host_device_scalarIT0_EES1_PKS1_PKT1_SA_S7_PKT3_PKT4_S5_PT5_21rocsparse_index_base_b,@function
_ZN9rocsparseL20bsrxmvn_17_32_kernelILj20EfllDF16_DF16_fEEvT2_20rocsparse_direction_NS_24const_host_device_scalarIT0_EES1_PKS1_PKT1_SA_S7_PKT3_PKT4_S5_PT5_21rocsparse_index_base_b: ; @_ZN9rocsparseL20bsrxmvn_17_32_kernelILj20EfllDF16_DF16_fEEvT2_20rocsparse_direction_NS_24const_host_device_scalarIT0_EES1_PKS1_PKT1_SA_S7_PKT3_PKT4_S5_PT5_21rocsparse_index_base_b
; %bb.0:
	s_clause 0x2
	s_load_b64 s[16:17], s[0:1], 0x60
	s_load_b64 s[12:13], s[0:1], 0x10
	;; [unrolled: 1-line block ×3, first 2 shown]
	s_mov_b32 s10, s15
	s_waitcnt lgkmcnt(0)
	s_bitcmp1_b32 s17, 0
	s_cselect_b32 s2, -1, 0
	s_delay_alu instid0(SALU_CYCLE_1)
	s_and_b32 vcc_lo, exec_lo, s2
	s_xor_b32 s2, s2, -1
	s_cbranch_vccnz .LBB323_2
; %bb.1:
	s_load_b32 s12, s[12:13], 0x0
.LBB323_2:
	s_and_not1_b32 vcc_lo, exec_lo, s2
	s_cbranch_vccnz .LBB323_4
; %bb.3:
	s_load_b32 s8, s[8:9], 0x0
.LBB323_4:
	s_waitcnt lgkmcnt(0)
	v_cmp_neq_f32_e64 s2, s12, 0
	v_cmp_neq_f32_e64 s3, s8, 1.0
	s_mov_b32 s11, 0
	s_delay_alu instid0(VALU_DEP_1) | instskip(NEXT) | instid1(SALU_CYCLE_1)
	s_or_b32 s2, s2, s3
	s_and_not1_b32 vcc_lo, exec_lo, s2
	s_cbranch_vccnz .LBB323_42
; %bb.5:
	s_clause 0x1
	s_load_b128 s[4:7], s[0:1], 0x20
	s_load_b64 s[14:15], s[0:1], 0x30
	s_waitcnt lgkmcnt(0)
	s_cmp_eq_u64 s[4:5], 0
	s_cbranch_scc1 .LBB323_7
; %bb.6:
	s_lshl_b64 s[2:3], s[10:11], 3
	s_delay_alu instid0(SALU_CYCLE_1)
	s_add_u32 s2, s4, s2
	s_addc_u32 s3, s5, s3
	s_load_b64 s[2:3], s[2:3], 0x0
	s_waitcnt lgkmcnt(0)
	s_sub_u32 s10, s2, s16
	s_subb_u32 s11, s3, 0
.LBB323_7:
	s_load_b32 s3, s[0:1], 0x8
	v_mul_u32_u24_e32 v1, 0xccd, v0
	v_mov_b32_e32 v7, 0
	s_delay_alu instid0(VALU_DEP_2) | instskip(NEXT) | instid1(VALU_DEP_1)
	v_lshrrev_b32_e32 v1, 16, v1
	v_mul_lo_u16 v2, v1, 20
	s_delay_alu instid0(VALU_DEP_1)
	v_sub_nc_u16 v8, v0, v2
	s_waitcnt lgkmcnt(0)
	s_cmp_eq_u32 s3, 1
	s_cselect_b32 s2, -1, 0
	s_cmp_lg_u32 s3, 1
	s_cselect_b32 s3, -1, 0
	s_lshl_b64 s[4:5], s[10:11], 3
	s_delay_alu instid0(SALU_CYCLE_1)
	s_add_u32 s6, s6, s4
	s_addc_u32 s7, s7, s5
	s_add_u32 s9, s6, 8
	s_addc_u32 s13, s7, 0
	;; [unrolled: 2-line block ×3, first 2 shown]
	s_cmp_eq_u64 s[14:15], 0
	s_load_b64 s[14:15], s[0:1], 0x58
	s_cselect_b32 s5, s13, s5
	s_cselect_b32 s4, s9, s4
	s_load_b64 s[20:21], s[6:7], 0x0
	s_load_b64 s[18:19], s[4:5], 0x0
	s_waitcnt lgkmcnt(0)
	v_cmp_ge_i64_e64 s4, s[20:21], s[18:19]
	s_delay_alu instid0(VALU_DEP_1)
	s_and_b32 vcc_lo, exec_lo, s4
	s_cbranch_vccnz .LBB323_12
; %bb.8:
	v_mul_lo_u16 v2, v1, 13
	v_dual_mov_b32 v7, 0 :: v_dual_and_b32 v4, 0xffff, v0
	v_and_b32_e32 v3, 0xffff, v8
	s_clause 0x1
	s_load_b128 s[4:7], s[0:1], 0x38
	s_load_b64 s[22:23], s[0:1], 0x48
	v_lshrrev_b16 v2, 8, v2
	s_sub_u32 s0, s18, s16
	s_subb_u32 s1, s19, 0
	s_sub_u32 s18, s20, s16
	s_subb_u32 s19, s21, 0
	v_mul_lo_u16 v2, v2, 20
	v_lshlrev_b32_e32 v10, 1, v0
	s_mul_hi_u32 s9, s18, 0x320
	s_mul_i32 s13, s19, 0x320
	s_mul_i32 s17, s18, 0x320
	v_sub_nc_u16 v1, v1, v2
	v_mul_u32_u24_e32 v2, 0xa4, v4
	s_add_i32 s9, s9, s13
	s_delay_alu instid0(VALU_DEP_2) | instskip(NEXT) | instid1(VALU_DEP_2)
	v_and_b32_e32 v1, 0xff, v1
	v_lshrrev_b32_e32 v9, 16, v2
	s_delay_alu instid0(VALU_DEP_2) | instskip(NEXT) | instid1(VALU_DEP_2)
	v_cndmask_b32_e64 v1, v3, v1, s2
	v_add_co_u32 v2, s2, s20, v9
	s_delay_alu instid0(VALU_DEP_1) | instskip(NEXT) | instid1(VALU_DEP_3)
	v_add_co_ci_u32_e64 v4, null, s21, 0, s2
	v_lshlrev_b32_e32 v1, 1, v1
	s_delay_alu instid0(VALU_DEP_3) | instskip(NEXT) | instid1(VALU_DEP_3)
	v_sub_co_u32 v3, vcc_lo, v2, s16
	v_subrev_co_ci_u32_e32 v4, vcc_lo, 0, v4, vcc_lo
	s_waitcnt lgkmcnt(0)
	s_add_u32 s2, s6, s17
	v_add_co_u32 v1, s6, s22, v1
	s_delay_alu instid0(VALU_DEP_2) | instskip(SKIP_3) | instid1(VALU_DEP_3)
	v_lshlrev_b64 v[5:6], 3, v[3:4]
	v_add_co_ci_u32_e64 v2, null, s23, 0, s6
	s_addc_u32 s6, s7, s9
	v_add_co_u32 v3, s2, s2, v10
	v_add_co_u32 v5, vcc_lo, s4, v5
	v_add_co_ci_u32_e64 v4, null, s6, 0, s2
	v_add_co_ci_u32_e32 v6, vcc_lo, s5, v6, vcc_lo
	s_set_inst_prefetch_distance 0x1
	s_branch .LBB323_10
	.p2align	6
.LBB323_9:                              ;   in Loop: Header=BB323_10 Depth=1
	s_or_b32 exec_lo, exec_lo, s2
	s_add_u32 s18, s18, 1
	s_addc_u32 s19, s19, 0
	v_add_co_u32 v5, vcc_lo, v5, 8
	v_cmp_lt_i64_e64 s2, s[18:19], s[0:1]
	v_add_co_ci_u32_e32 v6, vcc_lo, 0, v6, vcc_lo
	s_delay_alu instid0(VALU_DEP_2)
	s_and_b32 vcc_lo, exec_lo, s2
	s_cbranch_vccz .LBB323_12
.LBB323_10:                             ; =>This Inner Loop Header: Depth=1
	v_add_co_u32 v10, s2, v9, s18
	s_delay_alu instid0(VALU_DEP_1) | instskip(SKIP_1) | instid1(VALU_DEP_1)
	v_add_co_ci_u32_e64 v11, null, 0, s19, s2
	s_mov_b32 s2, exec_lo
	v_cmpx_gt_i64_e64 s[0:1], v[10:11]
	s_cbranch_execz .LBB323_9
; %bb.11:                               ;   in Loop: Header=BB323_10 Depth=1
	global_load_b64 v[10:11], v[5:6], off
	s_waitcnt vmcnt(0)
	v_sub_co_u32 v12, vcc_lo, v10, s16
	v_subrev_co_ci_u32_e32 v14, vcc_lo, 0, v11, vcc_lo
	s_delay_alu instid0(VALU_DEP_2) | instskip(NEXT) | instid1(VALU_DEP_1)
	v_mad_u64_u32 v[10:11], null, v12, 40, v[1:2]
	v_mad_u64_u32 v[12:13], null, v14, 40, v[11:12]
	s_delay_alu instid0(VALU_DEP_1)
	v_mov_b32_e32 v11, v12
	global_load_u16 v12, v[3:4], off
	global_load_u16 v10, v[10:11], off
	v_add_co_u32 v3, vcc_lo, 0x320, v3
	v_add_co_ci_u32_e32 v4, vcc_lo, 0, v4, vcc_lo
	s_waitcnt vmcnt(0)
	v_fma_mix_f32 v7, v12, v10, v7 op_sel_hi:[1,1,0]
	s_branch .LBB323_9
.LBB323_12:
	s_set_inst_prefetch_distance 0x2
	v_lshlrev_b32_e32 v1, 2, v0
	s_and_b32 vcc_lo, exec_lo, s3
	ds_store_b32 v1, v7
	s_waitcnt lgkmcnt(0)
	s_barrier
	buffer_gl0_inv
	s_cbranch_vccz .LBB323_24
; %bb.13:
	v_cmp_gt_u16_e32 vcc_lo, 4, v8
	s_and_saveexec_b32 s0, vcc_lo
	s_cbranch_execz .LBB323_15
; %bb.14:
	ds_load_2addr_b32 v[2:3], v1 offset1:16
	s_waitcnt lgkmcnt(0)
	v_add_f32_e32 v2, v3, v2
	ds_store_b32 v1, v2
.LBB323_15:
	s_or_b32 exec_lo, exec_lo, s0
	s_delay_alu instid0(SALU_CYCLE_1)
	s_mov_b32 s1, exec_lo
	s_waitcnt lgkmcnt(0)
	s_barrier
	buffer_gl0_inv
	v_cmpx_gt_u16_e32 8, v8
	s_cbranch_execz .LBB323_17
; %bb.16:
	ds_load_2addr_b32 v[2:3], v1 offset1:8
	s_waitcnt lgkmcnt(0)
	v_add_f32_e32 v2, v3, v2
	ds_store_b32 v1, v2
.LBB323_17:
	s_or_b32 exec_lo, exec_lo, s1
	s_waitcnt lgkmcnt(0)
	s_barrier
	buffer_gl0_inv
	s_and_saveexec_b32 s0, vcc_lo
	s_cbranch_execz .LBB323_19
; %bb.18:
	ds_load_2addr_b32 v[2:3], v1 offset1:4
	s_waitcnt lgkmcnt(0)
	v_add_f32_e32 v2, v3, v2
	ds_store_b32 v1, v2
.LBB323_19:
	s_or_b32 exec_lo, exec_lo, s0
	s_delay_alu instid0(SALU_CYCLE_1)
	s_mov_b32 s0, exec_lo
	s_waitcnt lgkmcnt(0)
	s_barrier
	buffer_gl0_inv
	v_cmpx_gt_u16_e32 2, v8
	s_cbranch_execz .LBB323_21
; %bb.20:
	ds_load_2addr_b32 v[2:3], v1 offset1:2
	s_waitcnt lgkmcnt(0)
	v_add_f32_e32 v2, v3, v2
	ds_store_b32 v1, v2
.LBB323_21:
	s_or_b32 exec_lo, exec_lo, s0
	s_mov_b32 s0, 0
	s_mov_b32 s1, 0
	s_mov_b32 s2, exec_lo
	s_waitcnt lgkmcnt(0)
	s_barrier
	buffer_gl0_inv
                                        ; implicit-def: $vgpr2
                                        ; implicit-def: $vgpr3
	v_cmpx_gt_u32_e32 20, v0
	s_xor_b32 s2, exec_lo, s2
; %bb.22:
	v_mul_u32_u24_e32 v2, 20, v0
	v_mad_u32_u24 v3, 0x4c, v0, v1
	s_mov_b32 s1, exec_lo
	s_delay_alu instid0(VALU_DEP_2)
	v_or_b32_e32 v2, 1, v2
; %bb.23:
	s_or_b32 exec_lo, exec_lo, s2
	s_delay_alu instid0(SALU_CYCLE_1)
	s_and_b32 vcc_lo, exec_lo, s0
	s_cbranch_vccnz .LBB323_25
	s_branch .LBB323_36
.LBB323_24:
	s_mov_b32 s1, 0
                                        ; implicit-def: $vgpr2
                                        ; implicit-def: $vgpr3
	s_cbranch_execz .LBB323_36
.LBB323_25:
	v_cmp_gt_u32_e32 vcc_lo, 0x50, v0
	s_and_saveexec_b32 s0, vcc_lo
	s_cbranch_execz .LBB323_27
; %bb.26:
	ds_load_2addr_stride64_b32 v[2:3], v1 offset1:5
	s_waitcnt lgkmcnt(0)
	v_add_f32_e32 v2, v3, v2
	ds_store_b32 v1, v2
.LBB323_27:
	s_or_b32 exec_lo, exec_lo, s0
	s_delay_alu instid0(SALU_CYCLE_1)
	s_mov_b32 s2, exec_lo
	s_waitcnt lgkmcnt(0)
	s_barrier
	buffer_gl0_inv
	v_cmpx_gt_u32_e32 0xa0, v0
	s_cbranch_execz .LBB323_29
; %bb.28:
	ds_load_2addr_b32 v[2:3], v1 offset1:160
	s_waitcnt lgkmcnt(0)
	v_add_f32_e32 v2, v3, v2
	ds_store_b32 v1, v2
.LBB323_29:
	s_or_b32 exec_lo, exec_lo, s2
	s_waitcnt lgkmcnt(0)
	s_barrier
	buffer_gl0_inv
	s_and_saveexec_b32 s0, vcc_lo
	s_cbranch_execz .LBB323_31
; %bb.30:
	ds_load_2addr_b32 v[2:3], v1 offset1:80
	s_waitcnt lgkmcnt(0)
	v_add_f32_e32 v2, v3, v2
	ds_store_b32 v1, v2
.LBB323_31:
	s_or_b32 exec_lo, exec_lo, s0
	s_delay_alu instid0(SALU_CYCLE_1)
	s_mov_b32 s0, exec_lo
	s_waitcnt lgkmcnt(0)
	s_barrier
	buffer_gl0_inv
	v_cmpx_gt_u32_e32 40, v0
	s_cbranch_execz .LBB323_33
; %bb.32:
	ds_load_2addr_b32 v[2:3], v1 offset1:40
	s_waitcnt lgkmcnt(0)
	v_add_f32_e32 v2, v3, v2
	ds_store_b32 v1, v2
.LBB323_33:
	s_or_b32 exec_lo, exec_lo, s0
	s_delay_alu instid0(SALU_CYCLE_1)
	s_mov_b32 s0, exec_lo
	s_waitcnt lgkmcnt(0)
	buffer_gl0_inv
                                        ; implicit-def: $vgpr2
	v_cmpx_gt_u32_e32 20, v0
; %bb.34:
	v_add_nc_u32_e32 v2, 20, v0
	s_or_b32 s1, s1, exec_lo
                                        ; implicit-def: $vgpr7
; %bb.35:
	s_or_b32 exec_lo, exec_lo, s0
	v_mov_b32_e32 v3, v1
.LBB323_36:
	s_and_saveexec_b32 s0, s1
	s_cbranch_execz .LBB323_38
; %bb.37:
	v_lshlrev_b32_e32 v1, 2, v2
	ds_load_b32 v2, v3
	ds_load_b32 v1, v1
	s_waitcnt lgkmcnt(0)
	v_add_f32_e32 v7, v2, v1
.LBB323_38:
	s_or_b32 exec_lo, exec_lo, s0
	s_delay_alu instid0(SALU_CYCLE_1)
	s_mov_b32 s0, exec_lo
	v_cmpx_gt_u32_e32 20, v0
	s_cbranch_execz .LBB323_42
; %bb.39:
	v_cmp_eq_f32_e64 s1, s8, 0
	v_mul_f32_e32 v1, s12, v7
	s_mov_b32 s3, 0
	s_mul_i32 s0, s11, 0x50
	s_mul_i32 s2, s10, 0x50
	s_and_b32 vcc_lo, exec_lo, s1
	s_mul_hi_u32 s1, s10, 0x50
	s_cbranch_vccz .LBB323_43
; %bb.40:
	v_lshlrev_b32_e32 v2, 2, v0
	s_add_i32 s5, s1, s0
	s_add_u32 s4, s14, s2
	s_addc_u32 s5, s15, s5
	global_store_b32 v2, v1, s[4:5]
	s_and_not1_b32 vcc_lo, exec_lo, s3
	s_cbranch_vccnz .LBB323_42
.LBB323_41:
	v_lshlrev_b32_e32 v0, 2, v0
	s_add_i32 s1, s1, s0
	s_add_u32 s0, s14, s2
	s_addc_u32 s1, s15, s1
	global_load_b32 v2, v0, s[0:1]
	s_waitcnt vmcnt(0)
	v_fmac_f32_e32 v1, s8, v2
	global_store_b32 v0, v1, s[0:1]
.LBB323_42:
	s_nop 0
	s_sendmsg sendmsg(MSG_DEALLOC_VGPRS)
	s_endpgm
.LBB323_43:
	s_branch .LBB323_41
	.section	.rodata,"a",@progbits
	.p2align	6, 0x0
	.amdhsa_kernel _ZN9rocsparseL20bsrxmvn_17_32_kernelILj20EfllDF16_DF16_fEEvT2_20rocsparse_direction_NS_24const_host_device_scalarIT0_EES1_PKS1_PKT1_SA_S7_PKT3_PKT4_S5_PT5_21rocsparse_index_base_b
		.amdhsa_group_segment_fixed_size 1600
		.amdhsa_private_segment_fixed_size 0
		.amdhsa_kernarg_size 104
		.amdhsa_user_sgpr_count 15
		.amdhsa_user_sgpr_dispatch_ptr 0
		.amdhsa_user_sgpr_queue_ptr 0
		.amdhsa_user_sgpr_kernarg_segment_ptr 1
		.amdhsa_user_sgpr_dispatch_id 0
		.amdhsa_user_sgpr_private_segment_size 0
		.amdhsa_wavefront_size32 1
		.amdhsa_uses_dynamic_stack 0
		.amdhsa_enable_private_segment 0
		.amdhsa_system_sgpr_workgroup_id_x 1
		.amdhsa_system_sgpr_workgroup_id_y 0
		.amdhsa_system_sgpr_workgroup_id_z 0
		.amdhsa_system_sgpr_workgroup_info 0
		.amdhsa_system_vgpr_workitem_id 0
		.amdhsa_next_free_vgpr 15
		.amdhsa_next_free_sgpr 24
		.amdhsa_reserve_vcc 1
		.amdhsa_float_round_mode_32 0
		.amdhsa_float_round_mode_16_64 0
		.amdhsa_float_denorm_mode_32 3
		.amdhsa_float_denorm_mode_16_64 3
		.amdhsa_dx10_clamp 1
		.amdhsa_ieee_mode 1
		.amdhsa_fp16_overflow 0
		.amdhsa_workgroup_processor_mode 1
		.amdhsa_memory_ordered 1
		.amdhsa_forward_progress 0
		.amdhsa_shared_vgpr_count 0
		.amdhsa_exception_fp_ieee_invalid_op 0
		.amdhsa_exception_fp_denorm_src 0
		.amdhsa_exception_fp_ieee_div_zero 0
		.amdhsa_exception_fp_ieee_overflow 0
		.amdhsa_exception_fp_ieee_underflow 0
		.amdhsa_exception_fp_ieee_inexact 0
		.amdhsa_exception_int_div_zero 0
	.end_amdhsa_kernel
	.section	.text._ZN9rocsparseL20bsrxmvn_17_32_kernelILj20EfllDF16_DF16_fEEvT2_20rocsparse_direction_NS_24const_host_device_scalarIT0_EES1_PKS1_PKT1_SA_S7_PKT3_PKT4_S5_PT5_21rocsparse_index_base_b,"axG",@progbits,_ZN9rocsparseL20bsrxmvn_17_32_kernelILj20EfllDF16_DF16_fEEvT2_20rocsparse_direction_NS_24const_host_device_scalarIT0_EES1_PKS1_PKT1_SA_S7_PKT3_PKT4_S5_PT5_21rocsparse_index_base_b,comdat
.Lfunc_end323:
	.size	_ZN9rocsparseL20bsrxmvn_17_32_kernelILj20EfllDF16_DF16_fEEvT2_20rocsparse_direction_NS_24const_host_device_scalarIT0_EES1_PKS1_PKT1_SA_S7_PKT3_PKT4_S5_PT5_21rocsparse_index_base_b, .Lfunc_end323-_ZN9rocsparseL20bsrxmvn_17_32_kernelILj20EfllDF16_DF16_fEEvT2_20rocsparse_direction_NS_24const_host_device_scalarIT0_EES1_PKS1_PKT1_SA_S7_PKT3_PKT4_S5_PT5_21rocsparse_index_base_b
                                        ; -- End function
	.section	.AMDGPU.csdata,"",@progbits
; Kernel info:
; codeLenInByte = 1600
; NumSgprs: 26
; NumVgprs: 15
; ScratchSize: 0
; MemoryBound: 0
; FloatMode: 240
; IeeeMode: 1
; LDSByteSize: 1600 bytes/workgroup (compile time only)
; SGPRBlocks: 3
; VGPRBlocks: 1
; NumSGPRsForWavesPerEU: 26
; NumVGPRsForWavesPerEU: 15
; Occupancy: 13
; WaveLimiterHint : 1
; COMPUTE_PGM_RSRC2:SCRATCH_EN: 0
; COMPUTE_PGM_RSRC2:USER_SGPR: 15
; COMPUTE_PGM_RSRC2:TRAP_HANDLER: 0
; COMPUTE_PGM_RSRC2:TGID_X_EN: 1
; COMPUTE_PGM_RSRC2:TGID_Y_EN: 0
; COMPUTE_PGM_RSRC2:TGID_Z_EN: 0
; COMPUTE_PGM_RSRC2:TIDIG_COMP_CNT: 0
	.section	.text._ZN9rocsparseL20bsrxmvn_17_32_kernelILj21EfllDF16_DF16_fEEvT2_20rocsparse_direction_NS_24const_host_device_scalarIT0_EES1_PKS1_PKT1_SA_S7_PKT3_PKT4_S5_PT5_21rocsparse_index_base_b,"axG",@progbits,_ZN9rocsparseL20bsrxmvn_17_32_kernelILj21EfllDF16_DF16_fEEvT2_20rocsparse_direction_NS_24const_host_device_scalarIT0_EES1_PKS1_PKT1_SA_S7_PKT3_PKT4_S5_PT5_21rocsparse_index_base_b,comdat
	.globl	_ZN9rocsparseL20bsrxmvn_17_32_kernelILj21EfllDF16_DF16_fEEvT2_20rocsparse_direction_NS_24const_host_device_scalarIT0_EES1_PKS1_PKT1_SA_S7_PKT3_PKT4_S5_PT5_21rocsparse_index_base_b ; -- Begin function _ZN9rocsparseL20bsrxmvn_17_32_kernelILj21EfllDF16_DF16_fEEvT2_20rocsparse_direction_NS_24const_host_device_scalarIT0_EES1_PKS1_PKT1_SA_S7_PKT3_PKT4_S5_PT5_21rocsparse_index_base_b
	.p2align	8
	.type	_ZN9rocsparseL20bsrxmvn_17_32_kernelILj21EfllDF16_DF16_fEEvT2_20rocsparse_direction_NS_24const_host_device_scalarIT0_EES1_PKS1_PKT1_SA_S7_PKT3_PKT4_S5_PT5_21rocsparse_index_base_b,@function
_ZN9rocsparseL20bsrxmvn_17_32_kernelILj21EfllDF16_DF16_fEEvT2_20rocsparse_direction_NS_24const_host_device_scalarIT0_EES1_PKS1_PKT1_SA_S7_PKT3_PKT4_S5_PT5_21rocsparse_index_base_b: ; @_ZN9rocsparseL20bsrxmvn_17_32_kernelILj21EfllDF16_DF16_fEEvT2_20rocsparse_direction_NS_24const_host_device_scalarIT0_EES1_PKS1_PKT1_SA_S7_PKT3_PKT4_S5_PT5_21rocsparse_index_base_b
; %bb.0:
	s_clause 0x2
	s_load_b64 s[16:17], s[0:1], 0x60
	s_load_b64 s[12:13], s[0:1], 0x10
	;; [unrolled: 1-line block ×3, first 2 shown]
	s_mov_b32 s10, s15
	s_waitcnt lgkmcnt(0)
	s_bitcmp1_b32 s17, 0
	s_cselect_b32 s2, -1, 0
	s_delay_alu instid0(SALU_CYCLE_1)
	s_and_b32 vcc_lo, exec_lo, s2
	s_xor_b32 s2, s2, -1
	s_cbranch_vccnz .LBB324_2
; %bb.1:
	s_load_b32 s12, s[12:13], 0x0
.LBB324_2:
	s_and_not1_b32 vcc_lo, exec_lo, s2
	s_cbranch_vccnz .LBB324_4
; %bb.3:
	s_load_b32 s8, s[8:9], 0x0
.LBB324_4:
	s_waitcnt lgkmcnt(0)
	v_cmp_neq_f32_e64 s2, s12, 0
	v_cmp_neq_f32_e64 s3, s8, 1.0
	s_mov_b32 s11, 0
	s_delay_alu instid0(VALU_DEP_1) | instskip(NEXT) | instid1(SALU_CYCLE_1)
	s_or_b32 s2, s2, s3
	s_and_not1_b32 vcc_lo, exec_lo, s2
	s_cbranch_vccnz .LBB324_42
; %bb.5:
	s_clause 0x1
	s_load_b128 s[4:7], s[0:1], 0x20
	s_load_b64 s[14:15], s[0:1], 0x30
	s_waitcnt lgkmcnt(0)
	s_cmp_eq_u64 s[4:5], 0
	s_cbranch_scc1 .LBB324_7
; %bb.6:
	s_lshl_b64 s[2:3], s[10:11], 3
	s_delay_alu instid0(SALU_CYCLE_1)
	s_add_u32 s2, s4, s2
	s_addc_u32 s3, s5, s3
	s_load_b64 s[2:3], s[2:3], 0x0
	s_waitcnt lgkmcnt(0)
	s_sub_u32 s10, s2, s16
	s_subb_u32 s11, s3, 0
.LBB324_7:
	s_load_b32 s3, s[0:1], 0x8
	v_mul_u32_u24_e32 v1, 0xc31, v0
	v_mov_b32_e32 v7, 0
	s_delay_alu instid0(VALU_DEP_2) | instskip(NEXT) | instid1(VALU_DEP_1)
	v_lshrrev_b32_e32 v1, 16, v1
	v_mul_lo_u16 v2, v1, 21
	s_delay_alu instid0(VALU_DEP_1)
	v_sub_nc_u16 v8, v0, v2
	s_waitcnt lgkmcnt(0)
	s_cmp_eq_u32 s3, 1
	s_cselect_b32 s2, -1, 0
	s_cmp_lg_u32 s3, 1
	s_cselect_b32 s3, -1, 0
	s_lshl_b64 s[4:5], s[10:11], 3
	s_delay_alu instid0(SALU_CYCLE_1)
	s_add_u32 s6, s6, s4
	s_addc_u32 s7, s7, s5
	s_add_u32 s9, s6, 8
	s_addc_u32 s13, s7, 0
	;; [unrolled: 2-line block ×3, first 2 shown]
	s_cmp_eq_u64 s[14:15], 0
	s_load_b64 s[14:15], s[0:1], 0x58
	s_cselect_b32 s5, s13, s5
	s_cselect_b32 s4, s9, s4
	s_load_b64 s[20:21], s[6:7], 0x0
	s_load_b64 s[18:19], s[4:5], 0x0
	s_waitcnt lgkmcnt(0)
	v_cmp_ge_i64_e64 s4, s[20:21], s[18:19]
	s_delay_alu instid0(VALU_DEP_1)
	s_and_b32 vcc_lo, exec_lo, s4
	s_cbranch_vccnz .LBB324_12
; %bb.8:
	v_mul_lo_u16 v2, v1, 25
	v_dual_mov_b32 v7, 0 :: v_dual_and_b32 v4, 0xffff, v0
	v_and_b32_e32 v3, 0xffff, v8
	s_clause 0x1
	s_load_b128 s[4:7], s[0:1], 0x38
	s_load_b64 s[22:23], s[0:1], 0x48
	v_lshrrev_b16 v2, 9, v2
	s_sub_u32 s0, s18, s16
	s_subb_u32 s1, s19, 0
	s_sub_u32 s18, s20, s16
	s_subb_u32 s19, s21, 0
	v_mul_lo_u16 v2, v2, 21
	v_lshlrev_b32_e32 v10, 1, v0
	s_mul_hi_u32 s9, s18, 0x372
	s_mul_i32 s13, s19, 0x372
	s_mul_i32 s17, s18, 0x372
	v_sub_nc_u16 v1, v1, v2
	v_mul_u32_u24_e32 v2, 0x253, v4
	s_add_i32 s9, s9, s13
	s_delay_alu instid0(VALU_DEP_2) | instskip(NEXT) | instid1(VALU_DEP_2)
	v_and_b32_e32 v1, 0xff, v1
	v_lshrrev_b32_e32 v9, 18, v2
	s_delay_alu instid0(VALU_DEP_2) | instskip(NEXT) | instid1(VALU_DEP_2)
	v_cndmask_b32_e64 v1, v3, v1, s2
	v_add_co_u32 v2, s2, s20, v9
	s_delay_alu instid0(VALU_DEP_1) | instskip(NEXT) | instid1(VALU_DEP_3)
	v_add_co_ci_u32_e64 v4, null, s21, 0, s2
	v_lshlrev_b32_e32 v1, 1, v1
	s_delay_alu instid0(VALU_DEP_3) | instskip(NEXT) | instid1(VALU_DEP_3)
	v_sub_co_u32 v3, vcc_lo, v2, s16
	v_subrev_co_ci_u32_e32 v4, vcc_lo, 0, v4, vcc_lo
	s_waitcnt lgkmcnt(0)
	s_add_u32 s2, s6, s17
	v_add_co_u32 v1, s6, s22, v1
	s_delay_alu instid0(VALU_DEP_2) | instskip(SKIP_3) | instid1(VALU_DEP_3)
	v_lshlrev_b64 v[5:6], 3, v[3:4]
	v_add_co_ci_u32_e64 v2, null, s23, 0, s6
	s_addc_u32 s6, s7, s9
	v_add_co_u32 v3, s2, s2, v10
	v_add_co_u32 v5, vcc_lo, s4, v5
	v_add_co_ci_u32_e64 v4, null, s6, 0, s2
	v_add_co_ci_u32_e32 v6, vcc_lo, s5, v6, vcc_lo
	s_set_inst_prefetch_distance 0x1
	s_branch .LBB324_10
	.p2align	6
.LBB324_9:                              ;   in Loop: Header=BB324_10 Depth=1
	s_or_b32 exec_lo, exec_lo, s2
	s_add_u32 s18, s18, 1
	s_addc_u32 s19, s19, 0
	v_add_co_u32 v5, vcc_lo, v5, 8
	v_cmp_lt_i64_e64 s2, s[18:19], s[0:1]
	v_add_co_ci_u32_e32 v6, vcc_lo, 0, v6, vcc_lo
	s_delay_alu instid0(VALU_DEP_2)
	s_and_b32 vcc_lo, exec_lo, s2
	s_cbranch_vccz .LBB324_12
.LBB324_10:                             ; =>This Inner Loop Header: Depth=1
	v_add_co_u32 v10, s2, v9, s18
	s_delay_alu instid0(VALU_DEP_1) | instskip(SKIP_1) | instid1(VALU_DEP_1)
	v_add_co_ci_u32_e64 v11, null, 0, s19, s2
	s_mov_b32 s2, exec_lo
	v_cmpx_gt_i64_e64 s[0:1], v[10:11]
	s_cbranch_execz .LBB324_9
; %bb.11:                               ;   in Loop: Header=BB324_10 Depth=1
	global_load_b64 v[10:11], v[5:6], off
	s_waitcnt vmcnt(0)
	v_sub_co_u32 v12, vcc_lo, v10, s16
	v_subrev_co_ci_u32_e32 v14, vcc_lo, 0, v11, vcc_lo
	s_delay_alu instid0(VALU_DEP_2) | instskip(NEXT) | instid1(VALU_DEP_1)
	v_mad_u64_u32 v[10:11], null, v12, 42, v[1:2]
	v_mad_u64_u32 v[12:13], null, v14, 42, v[11:12]
	s_delay_alu instid0(VALU_DEP_1)
	v_mov_b32_e32 v11, v12
	global_load_u16 v12, v[3:4], off
	global_load_u16 v10, v[10:11], off
	v_add_co_u32 v3, vcc_lo, 0x372, v3
	v_add_co_ci_u32_e32 v4, vcc_lo, 0, v4, vcc_lo
	s_waitcnt vmcnt(0)
	v_fma_mix_f32 v7, v12, v10, v7 op_sel_hi:[1,1,0]
	s_branch .LBB324_9
.LBB324_12:
	s_set_inst_prefetch_distance 0x2
	v_lshlrev_b32_e32 v1, 2, v0
	s_and_b32 vcc_lo, exec_lo, s3
	ds_store_b32 v1, v7
	s_waitcnt lgkmcnt(0)
	s_barrier
	buffer_gl0_inv
	s_cbranch_vccz .LBB324_24
; %bb.13:
	s_mov_b32 s0, exec_lo
	v_cmpx_gt_u16_e32 5, v8
	s_cbranch_execz .LBB324_15
; %bb.14:
	ds_load_2addr_b32 v[2:3], v1 offset1:16
	s_waitcnt lgkmcnt(0)
	v_add_f32_e32 v2, v3, v2
	ds_store_b32 v1, v2
.LBB324_15:
	s_or_b32 exec_lo, exec_lo, s0
	s_delay_alu instid0(SALU_CYCLE_1)
	s_mov_b32 s0, exec_lo
	s_waitcnt lgkmcnt(0)
	s_barrier
	buffer_gl0_inv
	v_cmpx_gt_u16_e32 8, v8
	s_cbranch_execz .LBB324_17
; %bb.16:
	ds_load_2addr_b32 v[2:3], v1 offset1:8
	s_waitcnt lgkmcnt(0)
	v_add_f32_e32 v2, v3, v2
	ds_store_b32 v1, v2
.LBB324_17:
	s_or_b32 exec_lo, exec_lo, s0
	s_delay_alu instid0(SALU_CYCLE_1)
	s_mov_b32 s0, exec_lo
	s_waitcnt lgkmcnt(0)
	s_barrier
	buffer_gl0_inv
	;; [unrolled: 14-line block ×3, first 2 shown]
	v_cmpx_gt_u16_e32 2, v8
	s_cbranch_execz .LBB324_21
; %bb.20:
	ds_load_2addr_b32 v[2:3], v1 offset1:2
	s_waitcnt lgkmcnt(0)
	v_add_f32_e32 v2, v3, v2
	ds_store_b32 v1, v2
.LBB324_21:
	s_or_b32 exec_lo, exec_lo, s0
	s_mov_b32 s1, 0
	s_mov_b32 s0, 0
	s_mov_b32 s2, exec_lo
	s_waitcnt lgkmcnt(0)
	s_barrier
	buffer_gl0_inv
                                        ; implicit-def: $vgpr2
                                        ; implicit-def: $vgpr3
	v_cmpx_gt_u32_e32 21, v0
	s_xor_b32 s2, exec_lo, s2
; %bb.22:
	v_mad_u32_u24 v2, v0, 21, 1
	v_mad_u32_u24 v3, 0x50, v0, v1
	s_mov_b32 s0, exec_lo
; %bb.23:
	s_or_b32 exec_lo, exec_lo, s2
	s_delay_alu instid0(SALU_CYCLE_1)
	s_and_b32 vcc_lo, exec_lo, s1
	s_cbranch_vccnz .LBB324_25
	s_branch .LBB324_36
.LBB324_24:
	s_mov_b32 s0, 0
                                        ; implicit-def: $vgpr2
                                        ; implicit-def: $vgpr3
	s_cbranch_execz .LBB324_36
.LBB324_25:
	s_mov_b32 s1, exec_lo
	v_cmpx_gt_u32_e32 0x69, v0
	s_cbranch_execz .LBB324_27
; %bb.26:
	ds_load_b32 v2, v1 offset:1344
	ds_load_b32 v3, v1
	s_waitcnt lgkmcnt(0)
	v_add_f32_e32 v2, v2, v3
	ds_store_b32 v1, v2
.LBB324_27:
	s_or_b32 exec_lo, exec_lo, s1
	s_delay_alu instid0(SALU_CYCLE_1)
	s_mov_b32 s1, exec_lo
	s_waitcnt lgkmcnt(0)
	s_barrier
	buffer_gl0_inv
	v_cmpx_gt_u32_e32 0xa8, v0
	s_cbranch_execz .LBB324_29
; %bb.28:
	ds_load_2addr_b32 v[2:3], v1 offset1:168
	s_waitcnt lgkmcnt(0)
	v_add_f32_e32 v2, v3, v2
	ds_store_b32 v1, v2
.LBB324_29:
	s_or_b32 exec_lo, exec_lo, s1
	s_delay_alu instid0(SALU_CYCLE_1)
	s_mov_b32 s1, exec_lo
	s_waitcnt lgkmcnt(0)
	s_barrier
	buffer_gl0_inv
	v_cmpx_gt_u32_e32 0x54, v0
	s_cbranch_execz .LBB324_31
; %bb.30:
	ds_load_2addr_b32 v[2:3], v1 offset1:84
	s_waitcnt lgkmcnt(0)
	v_add_f32_e32 v2, v3, v2
	ds_store_b32 v1, v2
.LBB324_31:
	;; [unrolled: 14-line block ×3, first 2 shown]
	s_or_b32 exec_lo, exec_lo, s1
	s_delay_alu instid0(SALU_CYCLE_1)
	s_mov_b32 s1, exec_lo
	s_waitcnt lgkmcnt(0)
	buffer_gl0_inv
                                        ; implicit-def: $vgpr2
	v_cmpx_gt_u32_e32 21, v0
; %bb.34:
	v_add_nc_u32_e32 v2, 21, v0
	s_or_b32 s0, s0, exec_lo
                                        ; implicit-def: $vgpr7
; %bb.35:
	s_or_b32 exec_lo, exec_lo, s1
	v_mov_b32_e32 v3, v1
.LBB324_36:
	s_and_saveexec_b32 s1, s0
	s_cbranch_execz .LBB324_38
; %bb.37:
	v_lshlrev_b32_e32 v1, 2, v2
	ds_load_b32 v2, v3
	ds_load_b32 v1, v1
	s_waitcnt lgkmcnt(0)
	v_add_f32_e32 v7, v2, v1
.LBB324_38:
	s_or_b32 exec_lo, exec_lo, s1
	s_delay_alu instid0(SALU_CYCLE_1)
	s_mov_b32 s0, exec_lo
	v_cmpx_gt_u32_e32 21, v0
	s_cbranch_execz .LBB324_42
; %bb.39:
	v_cmp_eq_f32_e64 s1, s8, 0
	v_mul_f32_e32 v1, s12, v7
	s_mov_b32 s3, 0
	s_mul_i32 s0, s11, 0x54
	s_mul_i32 s2, s10, 0x54
	s_and_b32 vcc_lo, exec_lo, s1
	s_mul_hi_u32 s1, s10, 0x54
	s_cbranch_vccz .LBB324_43
; %bb.40:
	v_lshlrev_b32_e32 v2, 2, v0
	s_add_i32 s5, s1, s0
	s_add_u32 s4, s14, s2
	s_addc_u32 s5, s15, s5
	global_store_b32 v2, v1, s[4:5]
	s_and_not1_b32 vcc_lo, exec_lo, s3
	s_cbranch_vccnz .LBB324_42
.LBB324_41:
	v_lshlrev_b32_e32 v0, 2, v0
	s_add_i32 s1, s1, s0
	s_add_u32 s0, s14, s2
	s_addc_u32 s1, s15, s1
	global_load_b32 v2, v0, s[0:1]
	s_waitcnt vmcnt(0)
	v_fmac_f32_e32 v1, s8, v2
	global_store_b32 v0, v1, s[0:1]
.LBB324_42:
	s_nop 0
	s_sendmsg sendmsg(MSG_DEALLOC_VGPRS)
	s_endpgm
.LBB324_43:
	s_branch .LBB324_41
	.section	.rodata,"a",@progbits
	.p2align	6, 0x0
	.amdhsa_kernel _ZN9rocsparseL20bsrxmvn_17_32_kernelILj21EfllDF16_DF16_fEEvT2_20rocsparse_direction_NS_24const_host_device_scalarIT0_EES1_PKS1_PKT1_SA_S7_PKT3_PKT4_S5_PT5_21rocsparse_index_base_b
		.amdhsa_group_segment_fixed_size 1764
		.amdhsa_private_segment_fixed_size 0
		.amdhsa_kernarg_size 104
		.amdhsa_user_sgpr_count 15
		.amdhsa_user_sgpr_dispatch_ptr 0
		.amdhsa_user_sgpr_queue_ptr 0
		.amdhsa_user_sgpr_kernarg_segment_ptr 1
		.amdhsa_user_sgpr_dispatch_id 0
		.amdhsa_user_sgpr_private_segment_size 0
		.amdhsa_wavefront_size32 1
		.amdhsa_uses_dynamic_stack 0
		.amdhsa_enable_private_segment 0
		.amdhsa_system_sgpr_workgroup_id_x 1
		.amdhsa_system_sgpr_workgroup_id_y 0
		.amdhsa_system_sgpr_workgroup_id_z 0
		.amdhsa_system_sgpr_workgroup_info 0
		.amdhsa_system_vgpr_workitem_id 0
		.amdhsa_next_free_vgpr 15
		.amdhsa_next_free_sgpr 24
		.amdhsa_reserve_vcc 1
		.amdhsa_float_round_mode_32 0
		.amdhsa_float_round_mode_16_64 0
		.amdhsa_float_denorm_mode_32 3
		.amdhsa_float_denorm_mode_16_64 3
		.amdhsa_dx10_clamp 1
		.amdhsa_ieee_mode 1
		.amdhsa_fp16_overflow 0
		.amdhsa_workgroup_processor_mode 1
		.amdhsa_memory_ordered 1
		.amdhsa_forward_progress 0
		.amdhsa_shared_vgpr_count 0
		.amdhsa_exception_fp_ieee_invalid_op 0
		.amdhsa_exception_fp_denorm_src 0
		.amdhsa_exception_fp_ieee_div_zero 0
		.amdhsa_exception_fp_ieee_overflow 0
		.amdhsa_exception_fp_ieee_underflow 0
		.amdhsa_exception_fp_ieee_inexact 0
		.amdhsa_exception_int_div_zero 0
	.end_amdhsa_kernel
	.section	.text._ZN9rocsparseL20bsrxmvn_17_32_kernelILj21EfllDF16_DF16_fEEvT2_20rocsparse_direction_NS_24const_host_device_scalarIT0_EES1_PKS1_PKT1_SA_S7_PKT3_PKT4_S5_PT5_21rocsparse_index_base_b,"axG",@progbits,_ZN9rocsparseL20bsrxmvn_17_32_kernelILj21EfllDF16_DF16_fEEvT2_20rocsparse_direction_NS_24const_host_device_scalarIT0_EES1_PKS1_PKT1_SA_S7_PKT3_PKT4_S5_PT5_21rocsparse_index_base_b,comdat
.Lfunc_end324:
	.size	_ZN9rocsparseL20bsrxmvn_17_32_kernelILj21EfllDF16_DF16_fEEvT2_20rocsparse_direction_NS_24const_host_device_scalarIT0_EES1_PKS1_PKT1_SA_S7_PKT3_PKT4_S5_PT5_21rocsparse_index_base_b, .Lfunc_end324-_ZN9rocsparseL20bsrxmvn_17_32_kernelILj21EfllDF16_DF16_fEEvT2_20rocsparse_direction_NS_24const_host_device_scalarIT0_EES1_PKS1_PKT1_SA_S7_PKT3_PKT4_S5_PT5_21rocsparse_index_base_b
                                        ; -- End function
	.section	.AMDGPU.csdata,"",@progbits
; Kernel info:
; codeLenInByte = 1624
; NumSgprs: 26
; NumVgprs: 15
; ScratchSize: 0
; MemoryBound: 0
; FloatMode: 240
; IeeeMode: 1
; LDSByteSize: 1764 bytes/workgroup (compile time only)
; SGPRBlocks: 3
; VGPRBlocks: 1
; NumSGPRsForWavesPerEU: 26
; NumVGPRsForWavesPerEU: 15
; Occupancy: 14
; WaveLimiterHint : 1
; COMPUTE_PGM_RSRC2:SCRATCH_EN: 0
; COMPUTE_PGM_RSRC2:USER_SGPR: 15
; COMPUTE_PGM_RSRC2:TRAP_HANDLER: 0
; COMPUTE_PGM_RSRC2:TGID_X_EN: 1
; COMPUTE_PGM_RSRC2:TGID_Y_EN: 0
; COMPUTE_PGM_RSRC2:TGID_Z_EN: 0
; COMPUTE_PGM_RSRC2:TIDIG_COMP_CNT: 0
	.section	.text._ZN9rocsparseL20bsrxmvn_17_32_kernelILj22EfllDF16_DF16_fEEvT2_20rocsparse_direction_NS_24const_host_device_scalarIT0_EES1_PKS1_PKT1_SA_S7_PKT3_PKT4_S5_PT5_21rocsparse_index_base_b,"axG",@progbits,_ZN9rocsparseL20bsrxmvn_17_32_kernelILj22EfllDF16_DF16_fEEvT2_20rocsparse_direction_NS_24const_host_device_scalarIT0_EES1_PKS1_PKT1_SA_S7_PKT3_PKT4_S5_PT5_21rocsparse_index_base_b,comdat
	.globl	_ZN9rocsparseL20bsrxmvn_17_32_kernelILj22EfllDF16_DF16_fEEvT2_20rocsparse_direction_NS_24const_host_device_scalarIT0_EES1_PKS1_PKT1_SA_S7_PKT3_PKT4_S5_PT5_21rocsparse_index_base_b ; -- Begin function _ZN9rocsparseL20bsrxmvn_17_32_kernelILj22EfllDF16_DF16_fEEvT2_20rocsparse_direction_NS_24const_host_device_scalarIT0_EES1_PKS1_PKT1_SA_S7_PKT3_PKT4_S5_PT5_21rocsparse_index_base_b
	.p2align	8
	.type	_ZN9rocsparseL20bsrxmvn_17_32_kernelILj22EfllDF16_DF16_fEEvT2_20rocsparse_direction_NS_24const_host_device_scalarIT0_EES1_PKS1_PKT1_SA_S7_PKT3_PKT4_S5_PT5_21rocsparse_index_base_b,@function
_ZN9rocsparseL20bsrxmvn_17_32_kernelILj22EfllDF16_DF16_fEEvT2_20rocsparse_direction_NS_24const_host_device_scalarIT0_EES1_PKS1_PKT1_SA_S7_PKT3_PKT4_S5_PT5_21rocsparse_index_base_b: ; @_ZN9rocsparseL20bsrxmvn_17_32_kernelILj22EfllDF16_DF16_fEEvT2_20rocsparse_direction_NS_24const_host_device_scalarIT0_EES1_PKS1_PKT1_SA_S7_PKT3_PKT4_S5_PT5_21rocsparse_index_base_b
; %bb.0:
	s_clause 0x2
	s_load_b64 s[16:17], s[0:1], 0x60
	s_load_b64 s[12:13], s[0:1], 0x10
	;; [unrolled: 1-line block ×3, first 2 shown]
	s_mov_b32 s10, s15
	s_waitcnt lgkmcnt(0)
	s_bitcmp1_b32 s17, 0
	s_cselect_b32 s2, -1, 0
	s_delay_alu instid0(SALU_CYCLE_1)
	s_and_b32 vcc_lo, exec_lo, s2
	s_xor_b32 s2, s2, -1
	s_cbranch_vccnz .LBB325_2
; %bb.1:
	s_load_b32 s12, s[12:13], 0x0
.LBB325_2:
	s_and_not1_b32 vcc_lo, exec_lo, s2
	s_cbranch_vccnz .LBB325_4
; %bb.3:
	s_load_b32 s8, s[8:9], 0x0
.LBB325_4:
	s_waitcnt lgkmcnt(0)
	v_cmp_neq_f32_e64 s2, s12, 0
	v_cmp_neq_f32_e64 s3, s8, 1.0
	s_mov_b32 s11, 0
	s_delay_alu instid0(VALU_DEP_1) | instskip(NEXT) | instid1(SALU_CYCLE_1)
	s_or_b32 s2, s2, s3
	s_and_not1_b32 vcc_lo, exec_lo, s2
	s_cbranch_vccnz .LBB325_42
; %bb.5:
	s_clause 0x1
	s_load_b128 s[4:7], s[0:1], 0x20
	s_load_b64 s[14:15], s[0:1], 0x30
	s_waitcnt lgkmcnt(0)
	s_cmp_eq_u64 s[4:5], 0
	s_cbranch_scc1 .LBB325_7
; %bb.6:
	s_lshl_b64 s[2:3], s[10:11], 3
	s_delay_alu instid0(SALU_CYCLE_1)
	s_add_u32 s2, s4, s2
	s_addc_u32 s3, s5, s3
	s_load_b64 s[2:3], s[2:3], 0x0
	s_waitcnt lgkmcnt(0)
	s_sub_u32 s10, s2, s16
	s_subb_u32 s11, s3, 0
.LBB325_7:
	s_load_b32 s3, s[0:1], 0x8
	v_mul_u32_u24_e32 v1, 0xba3, v0
	v_mov_b32_e32 v7, 0
	s_delay_alu instid0(VALU_DEP_2) | instskip(NEXT) | instid1(VALU_DEP_1)
	v_lshrrev_b32_e32 v1, 16, v1
	v_mul_lo_u16 v2, v1, 22
	s_delay_alu instid0(VALU_DEP_1)
	v_sub_nc_u16 v8, v0, v2
	s_waitcnt lgkmcnt(0)
	s_cmp_eq_u32 s3, 1
	s_cselect_b32 s2, -1, 0
	s_cmp_lg_u32 s3, 1
	s_cselect_b32 s3, -1, 0
	s_lshl_b64 s[4:5], s[10:11], 3
	s_delay_alu instid0(SALU_CYCLE_1)
	s_add_u32 s6, s6, s4
	s_addc_u32 s7, s7, s5
	s_add_u32 s9, s6, 8
	s_addc_u32 s13, s7, 0
	;; [unrolled: 2-line block ×3, first 2 shown]
	s_cmp_eq_u64 s[14:15], 0
	s_load_b64 s[14:15], s[0:1], 0x58
	s_cselect_b32 s5, s13, s5
	s_cselect_b32 s4, s9, s4
	s_load_b64 s[20:21], s[6:7], 0x0
	s_load_b64 s[18:19], s[4:5], 0x0
	s_waitcnt lgkmcnt(0)
	v_cmp_ge_i64_e64 s4, s[20:21], s[18:19]
	s_delay_alu instid0(VALU_DEP_1)
	s_and_b32 vcc_lo, exec_lo, s4
	s_cbranch_vccnz .LBB325_12
; %bb.8:
	v_mul_lo_u16 v2, v1, 12
	v_dual_mov_b32 v7, 0 :: v_dual_and_b32 v4, 0xffff, v0
	v_and_b32_e32 v3, 0xffff, v8
	s_clause 0x1
	s_load_b128 s[4:7], s[0:1], 0x38
	s_load_b64 s[22:23], s[0:1], 0x48
	v_lshrrev_b16 v2, 8, v2
	s_sub_u32 s0, s18, s16
	s_subb_u32 s1, s19, 0
	s_sub_u32 s18, s20, s16
	s_subb_u32 s19, s21, 0
	v_mul_lo_u16 v2, v2, 22
	v_lshlrev_b32_e32 v10, 1, v0
	s_mul_hi_u32 s9, s18, 0x3c8
	s_mul_i32 s13, s19, 0x3c8
	s_mul_i32 s17, s18, 0x3c8
	v_sub_nc_u16 v1, v1, v2
	v_mul_u32_u24_e32 v2, 0x10f, v4
	s_add_i32 s9, s9, s13
	s_delay_alu instid0(VALU_DEP_2) | instskip(NEXT) | instid1(VALU_DEP_2)
	v_and_b32_e32 v1, 0xff, v1
	v_lshrrev_b32_e32 v9, 17, v2
	s_delay_alu instid0(VALU_DEP_2) | instskip(NEXT) | instid1(VALU_DEP_2)
	v_cndmask_b32_e64 v1, v3, v1, s2
	v_add_co_u32 v2, s2, s20, v9
	s_delay_alu instid0(VALU_DEP_1) | instskip(NEXT) | instid1(VALU_DEP_3)
	v_add_co_ci_u32_e64 v4, null, s21, 0, s2
	v_lshlrev_b32_e32 v1, 1, v1
	s_delay_alu instid0(VALU_DEP_3) | instskip(NEXT) | instid1(VALU_DEP_3)
	v_sub_co_u32 v3, vcc_lo, v2, s16
	v_subrev_co_ci_u32_e32 v4, vcc_lo, 0, v4, vcc_lo
	s_waitcnt lgkmcnt(0)
	s_add_u32 s2, s6, s17
	v_add_co_u32 v1, s6, s22, v1
	s_delay_alu instid0(VALU_DEP_2) | instskip(SKIP_3) | instid1(VALU_DEP_3)
	v_lshlrev_b64 v[5:6], 3, v[3:4]
	v_add_co_ci_u32_e64 v2, null, s23, 0, s6
	s_addc_u32 s6, s7, s9
	v_add_co_u32 v3, s2, s2, v10
	v_add_co_u32 v5, vcc_lo, s4, v5
	v_add_co_ci_u32_e64 v4, null, s6, 0, s2
	v_add_co_ci_u32_e32 v6, vcc_lo, s5, v6, vcc_lo
	s_set_inst_prefetch_distance 0x1
	s_branch .LBB325_10
	.p2align	6
.LBB325_9:                              ;   in Loop: Header=BB325_10 Depth=1
	s_or_b32 exec_lo, exec_lo, s2
	s_add_u32 s18, s18, 1
	s_addc_u32 s19, s19, 0
	v_add_co_u32 v5, vcc_lo, v5, 8
	v_cmp_lt_i64_e64 s2, s[18:19], s[0:1]
	v_add_co_ci_u32_e32 v6, vcc_lo, 0, v6, vcc_lo
	s_delay_alu instid0(VALU_DEP_2)
	s_and_b32 vcc_lo, exec_lo, s2
	s_cbranch_vccz .LBB325_12
.LBB325_10:                             ; =>This Inner Loop Header: Depth=1
	v_add_co_u32 v10, s2, v9, s18
	s_delay_alu instid0(VALU_DEP_1) | instskip(SKIP_1) | instid1(VALU_DEP_1)
	v_add_co_ci_u32_e64 v11, null, 0, s19, s2
	s_mov_b32 s2, exec_lo
	v_cmpx_gt_i64_e64 s[0:1], v[10:11]
	s_cbranch_execz .LBB325_9
; %bb.11:                               ;   in Loop: Header=BB325_10 Depth=1
	global_load_b64 v[10:11], v[5:6], off
	s_waitcnt vmcnt(0)
	v_sub_co_u32 v12, vcc_lo, v10, s16
	v_subrev_co_ci_u32_e32 v14, vcc_lo, 0, v11, vcc_lo
	s_delay_alu instid0(VALU_DEP_2) | instskip(NEXT) | instid1(VALU_DEP_1)
	v_mad_u64_u32 v[10:11], null, v12, 44, v[1:2]
	v_mad_u64_u32 v[12:13], null, v14, 44, v[11:12]
	s_delay_alu instid0(VALU_DEP_1)
	v_mov_b32_e32 v11, v12
	global_load_u16 v12, v[3:4], off
	global_load_u16 v10, v[10:11], off
	v_add_co_u32 v3, vcc_lo, 0x3c8, v3
	v_add_co_ci_u32_e32 v4, vcc_lo, 0, v4, vcc_lo
	s_waitcnt vmcnt(0)
	v_fma_mix_f32 v7, v12, v10, v7 op_sel_hi:[1,1,0]
	s_branch .LBB325_9
.LBB325_12:
	s_set_inst_prefetch_distance 0x2
	v_lshlrev_b32_e32 v1, 2, v0
	s_and_b32 vcc_lo, exec_lo, s3
	ds_store_b32 v1, v7
	s_waitcnt lgkmcnt(0)
	s_barrier
	buffer_gl0_inv
	s_cbranch_vccz .LBB325_24
; %bb.13:
	s_mov_b32 s0, exec_lo
	v_cmpx_gt_u16_e32 6, v8
	s_cbranch_execz .LBB325_15
; %bb.14:
	ds_load_2addr_b32 v[2:3], v1 offset1:16
	s_waitcnt lgkmcnt(0)
	v_add_f32_e32 v2, v3, v2
	ds_store_b32 v1, v2
.LBB325_15:
	s_or_b32 exec_lo, exec_lo, s0
	s_delay_alu instid0(SALU_CYCLE_1)
	s_mov_b32 s0, exec_lo
	s_waitcnt lgkmcnt(0)
	s_barrier
	buffer_gl0_inv
	v_cmpx_gt_u16_e32 8, v8
	s_cbranch_execz .LBB325_17
; %bb.16:
	ds_load_2addr_b32 v[2:3], v1 offset1:8
	s_waitcnt lgkmcnt(0)
	v_add_f32_e32 v2, v3, v2
	ds_store_b32 v1, v2
.LBB325_17:
	s_or_b32 exec_lo, exec_lo, s0
	s_delay_alu instid0(SALU_CYCLE_1)
	s_mov_b32 s0, exec_lo
	s_waitcnt lgkmcnt(0)
	s_barrier
	buffer_gl0_inv
	;; [unrolled: 14-line block ×3, first 2 shown]
	v_cmpx_gt_u16_e32 2, v8
	s_cbranch_execz .LBB325_21
; %bb.20:
	ds_load_2addr_b32 v[2:3], v1 offset1:2
	s_waitcnt lgkmcnt(0)
	v_add_f32_e32 v2, v3, v2
	ds_store_b32 v1, v2
.LBB325_21:
	s_or_b32 exec_lo, exec_lo, s0
	s_mov_b32 s1, 0
	s_mov_b32 s0, 0
	s_mov_b32 s2, exec_lo
	s_waitcnt lgkmcnt(0)
	s_barrier
	buffer_gl0_inv
                                        ; implicit-def: $vgpr2
                                        ; implicit-def: $vgpr3
	v_cmpx_gt_u32_e32 22, v0
	s_xor_b32 s2, exec_lo, s2
; %bb.22:
	v_mul_u32_u24_e32 v2, 22, v0
	v_mad_u32_u24 v3, 0x54, v0, v1
	s_mov_b32 s0, exec_lo
	s_delay_alu instid0(VALU_DEP_2)
	v_or_b32_e32 v2, 1, v2
; %bb.23:
	s_or_b32 exec_lo, exec_lo, s2
	s_delay_alu instid0(SALU_CYCLE_1)
	s_and_b32 vcc_lo, exec_lo, s1
	s_cbranch_vccnz .LBB325_25
	s_branch .LBB325_36
.LBB325_24:
	s_mov_b32 s0, 0
                                        ; implicit-def: $vgpr2
                                        ; implicit-def: $vgpr3
	s_cbranch_execz .LBB325_36
.LBB325_25:
	s_mov_b32 s1, exec_lo
	v_cmpx_gt_u32_e32 0x84, v0
	s_cbranch_execz .LBB325_27
; %bb.26:
	ds_load_b32 v2, v1 offset:1408
	ds_load_b32 v3, v1
	s_waitcnt lgkmcnt(0)
	v_add_f32_e32 v2, v2, v3
	ds_store_b32 v1, v2
.LBB325_27:
	s_or_b32 exec_lo, exec_lo, s1
	s_delay_alu instid0(SALU_CYCLE_1)
	s_mov_b32 s1, exec_lo
	s_waitcnt lgkmcnt(0)
	s_barrier
	buffer_gl0_inv
	v_cmpx_gt_u32_e32 0xb0, v0
	s_cbranch_execz .LBB325_29
; %bb.28:
	ds_load_2addr_b32 v[2:3], v1 offset1:176
	s_waitcnt lgkmcnt(0)
	v_add_f32_e32 v2, v3, v2
	ds_store_b32 v1, v2
.LBB325_29:
	s_or_b32 exec_lo, exec_lo, s1
	s_delay_alu instid0(SALU_CYCLE_1)
	s_mov_b32 s1, exec_lo
	s_waitcnt lgkmcnt(0)
	s_barrier
	buffer_gl0_inv
	v_cmpx_gt_u32_e32 0x58, v0
	s_cbranch_execz .LBB325_31
; %bb.30:
	ds_load_2addr_b32 v[2:3], v1 offset1:88
	s_waitcnt lgkmcnt(0)
	v_add_f32_e32 v2, v3, v2
	ds_store_b32 v1, v2
.LBB325_31:
	;; [unrolled: 14-line block ×3, first 2 shown]
	s_or_b32 exec_lo, exec_lo, s1
	s_delay_alu instid0(SALU_CYCLE_1)
	s_mov_b32 s1, exec_lo
	s_waitcnt lgkmcnt(0)
	buffer_gl0_inv
                                        ; implicit-def: $vgpr2
	v_cmpx_gt_u32_e32 22, v0
; %bb.34:
	v_add_nc_u32_e32 v2, 22, v0
	s_or_b32 s0, s0, exec_lo
                                        ; implicit-def: $vgpr7
; %bb.35:
	s_or_b32 exec_lo, exec_lo, s1
	v_mov_b32_e32 v3, v1
.LBB325_36:
	s_and_saveexec_b32 s1, s0
	s_cbranch_execz .LBB325_38
; %bb.37:
	v_lshlrev_b32_e32 v1, 2, v2
	ds_load_b32 v2, v3
	ds_load_b32 v1, v1
	s_waitcnt lgkmcnt(0)
	v_add_f32_e32 v7, v2, v1
.LBB325_38:
	s_or_b32 exec_lo, exec_lo, s1
	s_delay_alu instid0(SALU_CYCLE_1)
	s_mov_b32 s0, exec_lo
	v_cmpx_gt_u32_e32 22, v0
	s_cbranch_execz .LBB325_42
; %bb.39:
	v_cmp_eq_f32_e64 s1, s8, 0
	v_mul_f32_e32 v1, s12, v7
	s_mov_b32 s3, 0
	s_mul_i32 s0, s11, 0x58
	s_mul_i32 s2, s10, 0x58
	s_and_b32 vcc_lo, exec_lo, s1
	s_mul_hi_u32 s1, s10, 0x58
	s_cbranch_vccz .LBB325_43
; %bb.40:
	v_lshlrev_b32_e32 v2, 2, v0
	s_add_i32 s5, s1, s0
	s_add_u32 s4, s14, s2
	s_addc_u32 s5, s15, s5
	global_store_b32 v2, v1, s[4:5]
	s_and_not1_b32 vcc_lo, exec_lo, s3
	s_cbranch_vccnz .LBB325_42
.LBB325_41:
	v_lshlrev_b32_e32 v0, 2, v0
	s_add_i32 s1, s1, s0
	s_add_u32 s0, s14, s2
	s_addc_u32 s1, s15, s1
	global_load_b32 v2, v0, s[0:1]
	s_waitcnt vmcnt(0)
	v_fmac_f32_e32 v1, s8, v2
	global_store_b32 v0, v1, s[0:1]
.LBB325_42:
	s_nop 0
	s_sendmsg sendmsg(MSG_DEALLOC_VGPRS)
	s_endpgm
.LBB325_43:
	s_branch .LBB325_41
	.section	.rodata,"a",@progbits
	.p2align	6, 0x0
	.amdhsa_kernel _ZN9rocsparseL20bsrxmvn_17_32_kernelILj22EfllDF16_DF16_fEEvT2_20rocsparse_direction_NS_24const_host_device_scalarIT0_EES1_PKS1_PKT1_SA_S7_PKT3_PKT4_S5_PT5_21rocsparse_index_base_b
		.amdhsa_group_segment_fixed_size 1936
		.amdhsa_private_segment_fixed_size 0
		.amdhsa_kernarg_size 104
		.amdhsa_user_sgpr_count 15
		.amdhsa_user_sgpr_dispatch_ptr 0
		.amdhsa_user_sgpr_queue_ptr 0
		.amdhsa_user_sgpr_kernarg_segment_ptr 1
		.amdhsa_user_sgpr_dispatch_id 0
		.amdhsa_user_sgpr_private_segment_size 0
		.amdhsa_wavefront_size32 1
		.amdhsa_uses_dynamic_stack 0
		.amdhsa_enable_private_segment 0
		.amdhsa_system_sgpr_workgroup_id_x 1
		.amdhsa_system_sgpr_workgroup_id_y 0
		.amdhsa_system_sgpr_workgroup_id_z 0
		.amdhsa_system_sgpr_workgroup_info 0
		.amdhsa_system_vgpr_workitem_id 0
		.amdhsa_next_free_vgpr 15
		.amdhsa_next_free_sgpr 24
		.amdhsa_reserve_vcc 1
		.amdhsa_float_round_mode_32 0
		.amdhsa_float_round_mode_16_64 0
		.amdhsa_float_denorm_mode_32 3
		.amdhsa_float_denorm_mode_16_64 3
		.amdhsa_dx10_clamp 1
		.amdhsa_ieee_mode 1
		.amdhsa_fp16_overflow 0
		.amdhsa_workgroup_processor_mode 1
		.amdhsa_memory_ordered 1
		.amdhsa_forward_progress 0
		.amdhsa_shared_vgpr_count 0
		.amdhsa_exception_fp_ieee_invalid_op 0
		.amdhsa_exception_fp_denorm_src 0
		.amdhsa_exception_fp_ieee_div_zero 0
		.amdhsa_exception_fp_ieee_overflow 0
		.amdhsa_exception_fp_ieee_underflow 0
		.amdhsa_exception_fp_ieee_inexact 0
		.amdhsa_exception_int_div_zero 0
	.end_amdhsa_kernel
	.section	.text._ZN9rocsparseL20bsrxmvn_17_32_kernelILj22EfllDF16_DF16_fEEvT2_20rocsparse_direction_NS_24const_host_device_scalarIT0_EES1_PKS1_PKT1_SA_S7_PKT3_PKT4_S5_PT5_21rocsparse_index_base_b,"axG",@progbits,_ZN9rocsparseL20bsrxmvn_17_32_kernelILj22EfllDF16_DF16_fEEvT2_20rocsparse_direction_NS_24const_host_device_scalarIT0_EES1_PKS1_PKT1_SA_S7_PKT3_PKT4_S5_PT5_21rocsparse_index_base_b,comdat
.Lfunc_end325:
	.size	_ZN9rocsparseL20bsrxmvn_17_32_kernelILj22EfllDF16_DF16_fEEvT2_20rocsparse_direction_NS_24const_host_device_scalarIT0_EES1_PKS1_PKT1_SA_S7_PKT3_PKT4_S5_PT5_21rocsparse_index_base_b, .Lfunc_end325-_ZN9rocsparseL20bsrxmvn_17_32_kernelILj22EfllDF16_DF16_fEEvT2_20rocsparse_direction_NS_24const_host_device_scalarIT0_EES1_PKS1_PKT1_SA_S7_PKT3_PKT4_S5_PT5_21rocsparse_index_base_b
                                        ; -- End function
	.section	.AMDGPU.csdata,"",@progbits
; Kernel info:
; codeLenInByte = 1628
; NumSgprs: 26
; NumVgprs: 15
; ScratchSize: 0
; MemoryBound: 0
; FloatMode: 240
; IeeeMode: 1
; LDSByteSize: 1936 bytes/workgroup (compile time only)
; SGPRBlocks: 3
; VGPRBlocks: 1
; NumSGPRsForWavesPerEU: 26
; NumVGPRsForWavesPerEU: 15
; Occupancy: 16
; WaveLimiterHint : 1
; COMPUTE_PGM_RSRC2:SCRATCH_EN: 0
; COMPUTE_PGM_RSRC2:USER_SGPR: 15
; COMPUTE_PGM_RSRC2:TRAP_HANDLER: 0
; COMPUTE_PGM_RSRC2:TGID_X_EN: 1
; COMPUTE_PGM_RSRC2:TGID_Y_EN: 0
; COMPUTE_PGM_RSRC2:TGID_Z_EN: 0
; COMPUTE_PGM_RSRC2:TIDIG_COMP_CNT: 0
	.section	.text._ZN9rocsparseL20bsrxmvn_17_32_kernelILj23EfllDF16_DF16_fEEvT2_20rocsparse_direction_NS_24const_host_device_scalarIT0_EES1_PKS1_PKT1_SA_S7_PKT3_PKT4_S5_PT5_21rocsparse_index_base_b,"axG",@progbits,_ZN9rocsparseL20bsrxmvn_17_32_kernelILj23EfllDF16_DF16_fEEvT2_20rocsparse_direction_NS_24const_host_device_scalarIT0_EES1_PKS1_PKT1_SA_S7_PKT3_PKT4_S5_PT5_21rocsparse_index_base_b,comdat
	.globl	_ZN9rocsparseL20bsrxmvn_17_32_kernelILj23EfllDF16_DF16_fEEvT2_20rocsparse_direction_NS_24const_host_device_scalarIT0_EES1_PKS1_PKT1_SA_S7_PKT3_PKT4_S5_PT5_21rocsparse_index_base_b ; -- Begin function _ZN9rocsparseL20bsrxmvn_17_32_kernelILj23EfllDF16_DF16_fEEvT2_20rocsparse_direction_NS_24const_host_device_scalarIT0_EES1_PKS1_PKT1_SA_S7_PKT3_PKT4_S5_PT5_21rocsparse_index_base_b
	.p2align	8
	.type	_ZN9rocsparseL20bsrxmvn_17_32_kernelILj23EfllDF16_DF16_fEEvT2_20rocsparse_direction_NS_24const_host_device_scalarIT0_EES1_PKS1_PKT1_SA_S7_PKT3_PKT4_S5_PT5_21rocsparse_index_base_b,@function
_ZN9rocsparseL20bsrxmvn_17_32_kernelILj23EfllDF16_DF16_fEEvT2_20rocsparse_direction_NS_24const_host_device_scalarIT0_EES1_PKS1_PKT1_SA_S7_PKT3_PKT4_S5_PT5_21rocsparse_index_base_b: ; @_ZN9rocsparseL20bsrxmvn_17_32_kernelILj23EfllDF16_DF16_fEEvT2_20rocsparse_direction_NS_24const_host_device_scalarIT0_EES1_PKS1_PKT1_SA_S7_PKT3_PKT4_S5_PT5_21rocsparse_index_base_b
; %bb.0:
	s_clause 0x2
	s_load_b64 s[16:17], s[0:1], 0x60
	s_load_b64 s[12:13], s[0:1], 0x10
	;; [unrolled: 1-line block ×3, first 2 shown]
	s_mov_b32 s10, s15
	s_waitcnt lgkmcnt(0)
	s_bitcmp1_b32 s17, 0
	s_cselect_b32 s2, -1, 0
	s_delay_alu instid0(SALU_CYCLE_1)
	s_and_b32 vcc_lo, exec_lo, s2
	s_xor_b32 s2, s2, -1
	s_cbranch_vccnz .LBB326_2
; %bb.1:
	s_load_b32 s12, s[12:13], 0x0
.LBB326_2:
	s_and_not1_b32 vcc_lo, exec_lo, s2
	s_cbranch_vccnz .LBB326_4
; %bb.3:
	s_load_b32 s8, s[8:9], 0x0
.LBB326_4:
	s_waitcnt lgkmcnt(0)
	v_cmp_neq_f32_e64 s2, s12, 0
	v_cmp_neq_f32_e64 s3, s8, 1.0
	s_mov_b32 s11, 0
	s_delay_alu instid0(VALU_DEP_1) | instskip(NEXT) | instid1(SALU_CYCLE_1)
	s_or_b32 s2, s2, s3
	s_and_not1_b32 vcc_lo, exec_lo, s2
	s_cbranch_vccnz .LBB326_42
; %bb.5:
	s_clause 0x1
	s_load_b128 s[4:7], s[0:1], 0x20
	s_load_b64 s[14:15], s[0:1], 0x30
	s_waitcnt lgkmcnt(0)
	s_cmp_eq_u64 s[4:5], 0
	s_cbranch_scc1 .LBB326_7
; %bb.6:
	s_lshl_b64 s[2:3], s[10:11], 3
	s_delay_alu instid0(SALU_CYCLE_1)
	s_add_u32 s2, s4, s2
	s_addc_u32 s3, s5, s3
	s_load_b64 s[2:3], s[2:3], 0x0
	s_waitcnt lgkmcnt(0)
	s_sub_u32 s10, s2, s16
	s_subb_u32 s11, s3, 0
.LBB326_7:
	s_load_b32 s3, s[0:1], 0x8
	v_mul_u32_u24_e32 v1, 0xb22, v0
	s_delay_alu instid0(VALU_DEP_1) | instskip(NEXT) | instid1(VALU_DEP_1)
	v_lshrrev_b32_e32 v1, 16, v1
	v_mul_lo_u16 v2, v1, 23
	s_delay_alu instid0(VALU_DEP_1)
	v_sub_nc_u16 v9, v0, v2
	v_mov_b32_e32 v2, 0
	s_waitcnt lgkmcnt(0)
	s_cmp_eq_u32 s3, 1
	s_cselect_b32 s2, -1, 0
	s_cmp_lg_u32 s3, 1
	s_cselect_b32 s9, -1, 0
	s_lshl_b64 s[4:5], s[10:11], 3
	s_delay_alu instid0(SALU_CYCLE_1)
	s_add_u32 s6, s6, s4
	s_addc_u32 s7, s7, s5
	s_add_u32 s3, s6, 8
	s_addc_u32 s13, s7, 0
	;; [unrolled: 2-line block ×3, first 2 shown]
	s_cmp_eq_u64 s[14:15], 0
	s_load_b64 s[14:15], s[0:1], 0x58
	s_cselect_b32 s5, s13, s5
	s_cselect_b32 s4, s3, s4
	s_load_b64 s[18:19], s[6:7], 0x0
	s_load_b64 s[20:21], s[4:5], 0x0
	s_waitcnt lgkmcnt(0)
	v_cmp_ge_i64_e64 s3, s[18:19], s[20:21]
	s_delay_alu instid0(VALU_DEP_1)
	s_and_b32 vcc_lo, exec_lo, s3
	s_cbranch_vccnz .LBB326_12
; %bb.8:
	v_dual_mov_b32 v2, 0 :: v_dual_and_b32 v1, 0xffff, v1
	v_cmp_gt_u32_e32 vcc_lo, 0x211, v0
	s_clause 0x1
	s_load_b128 s[4:7], s[0:1], 0x38
	s_load_b64 s[22:23], s[0:1], 0x48
	v_and_b32_e32 v4, 0xffff, v9
	v_subrev_nc_u32_e32 v3, 23, v1
	s_sub_u32 s0, s20, s16
	s_subb_u32 s1, s21, 0
	s_delay_alu instid0(VALU_DEP_1) | instskip(SKIP_1) | instid1(VALU_DEP_2)
	v_cndmask_b32_e32 v1, v3, v1, vcc_lo
	v_cmp_lt_u32_e32 vcc_lo, 0x210, v0
	v_cndmask_b32_e64 v1, v4, v1, s2
	v_cndmask_b32_e64 v10, 0, 1, vcc_lo
	s_sub_u32 s2, s18, s16
	s_subb_u32 s3, s19, 0
	s_mul_hi_u32 s13, s2, 0x422
	v_lshlrev_b64 v[3:4], 1, v[1:2]
	v_add_co_u32 v1, s18, s18, v10
	s_delay_alu instid0(VALU_DEP_1) | instskip(SKIP_2) | instid1(VALU_DEP_3)
	v_add_co_ci_u32_e64 v6, null, s19, 0, s18
	s_mul_i32 s17, s3, 0x422
	s_waitcnt lgkmcnt(0)
	v_add_co_u32 v3, vcc_lo, s22, v3
	v_add_co_ci_u32_e32 v4, vcc_lo, s23, v4, vcc_lo
	v_sub_co_u32 v5, vcc_lo, v1, s16
	v_subrev_co_ci_u32_e32 v6, vcc_lo, 0, v6, vcc_lo
	v_lshlrev_b32_e32 v1, 1, v0
	s_add_i32 s13, s13, s17
	s_mul_i32 s17, s2, 0x422
	s_delay_alu instid0(VALU_DEP_2) | instskip(SKIP_3) | instid1(VALU_DEP_1)
	v_lshlrev_b64 v[7:8], 3, v[5:6]
	s_add_u32 s6, s6, s17
	s_addc_u32 s7, s7, s13
	v_add_co_u32 v5, s6, s6, v1
	v_add_co_ci_u32_e64 v6, null, s7, 0, s6
	s_delay_alu instid0(VALU_DEP_3)
	v_add_co_u32 v7, vcc_lo, s4, v7
	v_add_co_ci_u32_e32 v8, vcc_lo, s5, v8, vcc_lo
	s_set_inst_prefetch_distance 0x1
	s_branch .LBB326_10
	.p2align	6
.LBB326_9:                              ;   in Loop: Header=BB326_10 Depth=1
	s_or_b32 exec_lo, exec_lo, s4
	s_add_u32 s2, s2, 1
	s_addc_u32 s3, s3, 0
	v_add_co_u32 v7, vcc_lo, v7, 8
	v_cmp_lt_i64_e64 s4, s[2:3], s[0:1]
	v_add_co_ci_u32_e32 v8, vcc_lo, 0, v8, vcc_lo
	s_delay_alu instid0(VALU_DEP_2)
	s_and_b32 vcc_lo, exec_lo, s4
	s_cbranch_vccz .LBB326_12
.LBB326_10:                             ; =>This Inner Loop Header: Depth=1
	v_add_co_u32 v11, s4, v10, s2
	s_delay_alu instid0(VALU_DEP_1) | instskip(SKIP_1) | instid1(VALU_DEP_1)
	v_add_co_ci_u32_e64 v12, null, 0, s3, s4
	s_mov_b32 s4, exec_lo
	v_cmpx_gt_i64_e64 s[0:1], v[11:12]
	s_cbranch_execz .LBB326_9
; %bb.11:                               ;   in Loop: Header=BB326_10 Depth=1
	global_load_b64 v[11:12], v[7:8], off
	s_waitcnt vmcnt(0)
	v_sub_co_u32 v1, vcc_lo, v11, s16
	v_subrev_co_ci_u32_e32 v14, vcc_lo, 0, v12, vcc_lo
	s_delay_alu instid0(VALU_DEP_2) | instskip(NEXT) | instid1(VALU_DEP_1)
	v_mad_u64_u32 v[11:12], null, v1, 46, v[3:4]
	v_mov_b32_e32 v1, v12
	s_delay_alu instid0(VALU_DEP_1)
	v_mad_u64_u32 v[12:13], null, v14, 46, v[1:2]
	global_load_u16 v1, v[5:6], off
	global_load_u16 v11, v[11:12], off
	v_add_co_u32 v5, vcc_lo, 0x422, v5
	v_add_co_ci_u32_e32 v6, vcc_lo, 0, v6, vcc_lo
	s_waitcnt vmcnt(0)
	v_fma_mix_f32 v2, v1, v11, v2 op_sel_hi:[1,1,0]
	s_branch .LBB326_9
.LBB326_12:
	s_set_inst_prefetch_distance 0x2
	v_lshlrev_b32_e32 v1, 2, v0
	s_and_b32 vcc_lo, exec_lo, s9
	ds_store_b32 v1, v2
	s_waitcnt lgkmcnt(0)
	s_barrier
	buffer_gl0_inv
	s_cbranch_vccz .LBB326_24
; %bb.13:
	s_mov_b32 s0, exec_lo
	v_cmpx_gt_u16_e32 7, v9
	s_cbranch_execz .LBB326_15
; %bb.14:
	ds_load_2addr_b32 v[3:4], v1 offset1:16
	s_waitcnt lgkmcnt(0)
	v_add_f32_e32 v3, v4, v3
	ds_store_b32 v1, v3
.LBB326_15:
	s_or_b32 exec_lo, exec_lo, s0
	s_delay_alu instid0(SALU_CYCLE_1)
	s_mov_b32 s0, exec_lo
	s_waitcnt lgkmcnt(0)
	s_barrier
	buffer_gl0_inv
	v_cmpx_gt_u16_e32 8, v9
	s_cbranch_execz .LBB326_17
; %bb.16:
	ds_load_2addr_b32 v[3:4], v1 offset1:8
	s_waitcnt lgkmcnt(0)
	v_add_f32_e32 v3, v4, v3
	ds_store_b32 v1, v3
.LBB326_17:
	s_or_b32 exec_lo, exec_lo, s0
	s_delay_alu instid0(SALU_CYCLE_1)
	s_mov_b32 s0, exec_lo
	s_waitcnt lgkmcnt(0)
	s_barrier
	buffer_gl0_inv
	;; [unrolled: 14-line block ×3, first 2 shown]
	v_cmpx_gt_u16_e32 2, v9
	s_cbranch_execz .LBB326_21
; %bb.20:
	ds_load_2addr_b32 v[3:4], v1 offset1:2
	s_waitcnt lgkmcnt(0)
	v_add_f32_e32 v3, v4, v3
	ds_store_b32 v1, v3
.LBB326_21:
	s_or_b32 exec_lo, exec_lo, s0
	s_mov_b32 s1, 0
	s_mov_b32 s0, 0
	s_mov_b32 s2, exec_lo
	s_waitcnt lgkmcnt(0)
	s_barrier
	buffer_gl0_inv
                                        ; implicit-def: $vgpr3
                                        ; implicit-def: $vgpr4
	v_cmpx_gt_u32_e32 23, v0
	s_xor_b32 s2, exec_lo, s2
; %bb.22:
	v_mad_u32_u24 v3, v0, 23, 1
	v_mad_u32_u24 v4, 0x58, v0, v1
	s_mov_b32 s0, exec_lo
; %bb.23:
	s_or_b32 exec_lo, exec_lo, s2
	s_delay_alu instid0(SALU_CYCLE_1)
	s_and_b32 vcc_lo, exec_lo, s1
	s_cbranch_vccnz .LBB326_25
	s_branch .LBB326_36
.LBB326_24:
	s_mov_b32 s0, 0
                                        ; implicit-def: $vgpr3
                                        ; implicit-def: $vgpr4
	s_cbranch_execz .LBB326_36
.LBB326_25:
	s_mov_b32 s1, exec_lo
	v_cmpx_gt_u32_e32 0xa1, v0
	s_cbranch_execz .LBB326_27
; %bb.26:
	ds_load_b32 v3, v1 offset:1472
	ds_load_b32 v4, v1
	s_waitcnt lgkmcnt(0)
	v_add_f32_e32 v3, v3, v4
	ds_store_b32 v1, v3
.LBB326_27:
	s_or_b32 exec_lo, exec_lo, s1
	s_delay_alu instid0(SALU_CYCLE_1)
	s_mov_b32 s1, exec_lo
	s_waitcnt lgkmcnt(0)
	s_barrier
	buffer_gl0_inv
	v_cmpx_gt_u32_e32 0xb8, v0
	s_cbranch_execz .LBB326_29
; %bb.28:
	ds_load_2addr_b32 v[3:4], v1 offset1:184
	s_waitcnt lgkmcnt(0)
	v_add_f32_e32 v3, v4, v3
	ds_store_b32 v1, v3
.LBB326_29:
	s_or_b32 exec_lo, exec_lo, s1
	s_delay_alu instid0(SALU_CYCLE_1)
	s_mov_b32 s1, exec_lo
	s_waitcnt lgkmcnt(0)
	s_barrier
	buffer_gl0_inv
	v_cmpx_gt_u32_e32 0x5c, v0
	s_cbranch_execz .LBB326_31
; %bb.30:
	ds_load_2addr_b32 v[3:4], v1 offset1:92
	s_waitcnt lgkmcnt(0)
	v_add_f32_e32 v3, v4, v3
	ds_store_b32 v1, v3
.LBB326_31:
	;; [unrolled: 14-line block ×3, first 2 shown]
	s_or_b32 exec_lo, exec_lo, s1
	s_delay_alu instid0(SALU_CYCLE_1)
	s_mov_b32 s1, exec_lo
	s_waitcnt lgkmcnt(0)
	buffer_gl0_inv
                                        ; implicit-def: $vgpr3
	v_cmpx_gt_u32_e32 23, v0
; %bb.34:
	v_add_nc_u32_e32 v3, 23, v0
	s_or_b32 s0, s0, exec_lo
                                        ; implicit-def: $vgpr2
; %bb.35:
	s_or_b32 exec_lo, exec_lo, s1
	v_mov_b32_e32 v4, v1
.LBB326_36:
	s_and_saveexec_b32 s1, s0
	s_cbranch_execz .LBB326_38
; %bb.37:
	v_lshlrev_b32_e32 v1, 2, v3
	ds_load_b32 v2, v4
	ds_load_b32 v1, v1
	s_waitcnt lgkmcnt(0)
	v_add_f32_e32 v2, v2, v1
.LBB326_38:
	s_or_b32 exec_lo, exec_lo, s1
	s_delay_alu instid0(SALU_CYCLE_1)
	s_mov_b32 s0, exec_lo
	v_cmpx_gt_u32_e32 23, v0
	s_cbranch_execz .LBB326_42
; %bb.39:
	v_cmp_eq_f32_e64 s1, s8, 0
	v_mul_f32_e32 v1, s12, v2
	s_mov_b32 s3, 0
	s_mul_i32 s0, s11, 0x5c
	s_mul_i32 s2, s10, 0x5c
	s_and_b32 vcc_lo, exec_lo, s1
	s_mul_hi_u32 s1, s10, 0x5c
	s_cbranch_vccz .LBB326_43
; %bb.40:
	v_lshlrev_b32_e32 v2, 2, v0
	s_add_i32 s5, s1, s0
	s_add_u32 s4, s14, s2
	s_addc_u32 s5, s15, s5
	global_store_b32 v2, v1, s[4:5]
	s_and_not1_b32 vcc_lo, exec_lo, s3
	s_cbranch_vccnz .LBB326_42
.LBB326_41:
	v_lshlrev_b32_e32 v0, 2, v0
	s_add_i32 s1, s1, s0
	s_add_u32 s0, s14, s2
	s_addc_u32 s1, s15, s1
	global_load_b32 v2, v0, s[0:1]
	s_waitcnt vmcnt(0)
	v_fmac_f32_e32 v1, s8, v2
	global_store_b32 v0, v1, s[0:1]
.LBB326_42:
	s_nop 0
	s_sendmsg sendmsg(MSG_DEALLOC_VGPRS)
	s_endpgm
.LBB326_43:
	s_branch .LBB326_41
	.section	.rodata,"a",@progbits
	.p2align	6, 0x0
	.amdhsa_kernel _ZN9rocsparseL20bsrxmvn_17_32_kernelILj23EfllDF16_DF16_fEEvT2_20rocsparse_direction_NS_24const_host_device_scalarIT0_EES1_PKS1_PKT1_SA_S7_PKT3_PKT4_S5_PT5_21rocsparse_index_base_b
		.amdhsa_group_segment_fixed_size 2116
		.amdhsa_private_segment_fixed_size 0
		.amdhsa_kernarg_size 104
		.amdhsa_user_sgpr_count 15
		.amdhsa_user_sgpr_dispatch_ptr 0
		.amdhsa_user_sgpr_queue_ptr 0
		.amdhsa_user_sgpr_kernarg_segment_ptr 1
		.amdhsa_user_sgpr_dispatch_id 0
		.amdhsa_user_sgpr_private_segment_size 0
		.amdhsa_wavefront_size32 1
		.amdhsa_uses_dynamic_stack 0
		.amdhsa_enable_private_segment 0
		.amdhsa_system_sgpr_workgroup_id_x 1
		.amdhsa_system_sgpr_workgroup_id_y 0
		.amdhsa_system_sgpr_workgroup_id_z 0
		.amdhsa_system_sgpr_workgroup_info 0
		.amdhsa_system_vgpr_workitem_id 0
		.amdhsa_next_free_vgpr 15
		.amdhsa_next_free_sgpr 24
		.amdhsa_reserve_vcc 1
		.amdhsa_float_round_mode_32 0
		.amdhsa_float_round_mode_16_64 0
		.amdhsa_float_denorm_mode_32 3
		.amdhsa_float_denorm_mode_16_64 3
		.amdhsa_dx10_clamp 1
		.amdhsa_ieee_mode 1
		.amdhsa_fp16_overflow 0
		.amdhsa_workgroup_processor_mode 1
		.amdhsa_memory_ordered 1
		.amdhsa_forward_progress 0
		.amdhsa_shared_vgpr_count 0
		.amdhsa_exception_fp_ieee_invalid_op 0
		.amdhsa_exception_fp_denorm_src 0
		.amdhsa_exception_fp_ieee_div_zero 0
		.amdhsa_exception_fp_ieee_overflow 0
		.amdhsa_exception_fp_ieee_underflow 0
		.amdhsa_exception_fp_ieee_inexact 0
		.amdhsa_exception_int_div_zero 0
	.end_amdhsa_kernel
	.section	.text._ZN9rocsparseL20bsrxmvn_17_32_kernelILj23EfllDF16_DF16_fEEvT2_20rocsparse_direction_NS_24const_host_device_scalarIT0_EES1_PKS1_PKT1_SA_S7_PKT3_PKT4_S5_PT5_21rocsparse_index_base_b,"axG",@progbits,_ZN9rocsparseL20bsrxmvn_17_32_kernelILj23EfllDF16_DF16_fEEvT2_20rocsparse_direction_NS_24const_host_device_scalarIT0_EES1_PKS1_PKT1_SA_S7_PKT3_PKT4_S5_PT5_21rocsparse_index_base_b,comdat
.Lfunc_end326:
	.size	_ZN9rocsparseL20bsrxmvn_17_32_kernelILj23EfllDF16_DF16_fEEvT2_20rocsparse_direction_NS_24const_host_device_scalarIT0_EES1_PKS1_PKT1_SA_S7_PKT3_PKT4_S5_PT5_21rocsparse_index_base_b, .Lfunc_end326-_ZN9rocsparseL20bsrxmvn_17_32_kernelILj23EfllDF16_DF16_fEEvT2_20rocsparse_direction_NS_24const_host_device_scalarIT0_EES1_PKS1_PKT1_SA_S7_PKT3_PKT4_S5_PT5_21rocsparse_index_base_b
                                        ; -- End function
	.section	.AMDGPU.csdata,"",@progbits
; Kernel info:
; codeLenInByte = 1600
; NumSgprs: 26
; NumVgprs: 15
; ScratchSize: 0
; MemoryBound: 0
; FloatMode: 240
; IeeeMode: 1
; LDSByteSize: 2116 bytes/workgroup (compile time only)
; SGPRBlocks: 3
; VGPRBlocks: 1
; NumSGPRsForWavesPerEU: 26
; NumVGPRsForWavesPerEU: 15
; Occupancy: 13
; WaveLimiterHint : 1
; COMPUTE_PGM_RSRC2:SCRATCH_EN: 0
; COMPUTE_PGM_RSRC2:USER_SGPR: 15
; COMPUTE_PGM_RSRC2:TRAP_HANDLER: 0
; COMPUTE_PGM_RSRC2:TGID_X_EN: 1
; COMPUTE_PGM_RSRC2:TGID_Y_EN: 0
; COMPUTE_PGM_RSRC2:TGID_Z_EN: 0
; COMPUTE_PGM_RSRC2:TIDIG_COMP_CNT: 0
	.section	.text._ZN9rocsparseL20bsrxmvn_17_32_kernelILj24EfllDF16_DF16_fEEvT2_20rocsparse_direction_NS_24const_host_device_scalarIT0_EES1_PKS1_PKT1_SA_S7_PKT3_PKT4_S5_PT5_21rocsparse_index_base_b,"axG",@progbits,_ZN9rocsparseL20bsrxmvn_17_32_kernelILj24EfllDF16_DF16_fEEvT2_20rocsparse_direction_NS_24const_host_device_scalarIT0_EES1_PKS1_PKT1_SA_S7_PKT3_PKT4_S5_PT5_21rocsparse_index_base_b,comdat
	.globl	_ZN9rocsparseL20bsrxmvn_17_32_kernelILj24EfllDF16_DF16_fEEvT2_20rocsparse_direction_NS_24const_host_device_scalarIT0_EES1_PKS1_PKT1_SA_S7_PKT3_PKT4_S5_PT5_21rocsparse_index_base_b ; -- Begin function _ZN9rocsparseL20bsrxmvn_17_32_kernelILj24EfllDF16_DF16_fEEvT2_20rocsparse_direction_NS_24const_host_device_scalarIT0_EES1_PKS1_PKT1_SA_S7_PKT3_PKT4_S5_PT5_21rocsparse_index_base_b
	.p2align	8
	.type	_ZN9rocsparseL20bsrxmvn_17_32_kernelILj24EfllDF16_DF16_fEEvT2_20rocsparse_direction_NS_24const_host_device_scalarIT0_EES1_PKS1_PKT1_SA_S7_PKT3_PKT4_S5_PT5_21rocsparse_index_base_b,@function
_ZN9rocsparseL20bsrxmvn_17_32_kernelILj24EfllDF16_DF16_fEEvT2_20rocsparse_direction_NS_24const_host_device_scalarIT0_EES1_PKS1_PKT1_SA_S7_PKT3_PKT4_S5_PT5_21rocsparse_index_base_b: ; @_ZN9rocsparseL20bsrxmvn_17_32_kernelILj24EfllDF16_DF16_fEEvT2_20rocsparse_direction_NS_24const_host_device_scalarIT0_EES1_PKS1_PKT1_SA_S7_PKT3_PKT4_S5_PT5_21rocsparse_index_base_b
; %bb.0:
	s_clause 0x2
	s_load_b64 s[16:17], s[0:1], 0x60
	s_load_b64 s[12:13], s[0:1], 0x10
	;; [unrolled: 1-line block ×3, first 2 shown]
	s_mov_b32 s10, s15
	s_waitcnt lgkmcnt(0)
	s_bitcmp1_b32 s17, 0
	s_cselect_b32 s2, -1, 0
	s_delay_alu instid0(SALU_CYCLE_1)
	s_and_b32 vcc_lo, exec_lo, s2
	s_xor_b32 s2, s2, -1
	s_cbranch_vccnz .LBB327_2
; %bb.1:
	s_load_b32 s12, s[12:13], 0x0
.LBB327_2:
	s_and_not1_b32 vcc_lo, exec_lo, s2
	s_cbranch_vccnz .LBB327_4
; %bb.3:
	s_load_b32 s8, s[8:9], 0x0
.LBB327_4:
	s_waitcnt lgkmcnt(0)
	v_cmp_neq_f32_e64 s2, s12, 0
	v_cmp_neq_f32_e64 s3, s8, 1.0
	s_mov_b32 s11, 0
	s_delay_alu instid0(VALU_DEP_1) | instskip(NEXT) | instid1(SALU_CYCLE_1)
	s_or_b32 s2, s2, s3
	s_and_not1_b32 vcc_lo, exec_lo, s2
	s_cbranch_vccnz .LBB327_42
; %bb.5:
	s_clause 0x1
	s_load_b128 s[4:7], s[0:1], 0x20
	s_load_b64 s[14:15], s[0:1], 0x30
	s_waitcnt lgkmcnt(0)
	s_cmp_eq_u64 s[4:5], 0
	s_cbranch_scc1 .LBB327_7
; %bb.6:
	s_lshl_b64 s[2:3], s[10:11], 3
	s_delay_alu instid0(SALU_CYCLE_1)
	s_add_u32 s2, s4, s2
	s_addc_u32 s3, s5, s3
	s_load_b64 s[2:3], s[2:3], 0x0
	s_waitcnt lgkmcnt(0)
	s_sub_u32 s10, s2, s16
	s_subb_u32 s11, s3, 0
.LBB327_7:
	s_load_b32 s3, s[0:1], 0x8
	v_mul_u32_u24_e32 v1, 0xaab, v0
	s_delay_alu instid0(VALU_DEP_1) | instskip(NEXT) | instid1(VALU_DEP_1)
	v_lshrrev_b32_e32 v1, 16, v1
	v_mul_lo_u16 v2, v1, 24
	s_delay_alu instid0(VALU_DEP_1)
	v_sub_nc_u16 v9, v0, v2
	v_mov_b32_e32 v2, 0
	s_waitcnt lgkmcnt(0)
	s_cmp_eq_u32 s3, 1
	s_cselect_b32 s2, -1, 0
	s_cmp_lg_u32 s3, 1
	s_cselect_b32 s9, -1, 0
	s_lshl_b64 s[4:5], s[10:11], 3
	s_delay_alu instid0(SALU_CYCLE_1)
	s_add_u32 s6, s6, s4
	s_addc_u32 s7, s7, s5
	s_add_u32 s3, s6, 8
	s_addc_u32 s13, s7, 0
	;; [unrolled: 2-line block ×3, first 2 shown]
	s_cmp_eq_u64 s[14:15], 0
	s_load_b64 s[14:15], s[0:1], 0x58
	s_cselect_b32 s5, s13, s5
	s_cselect_b32 s4, s3, s4
	s_load_b64 s[18:19], s[6:7], 0x0
	s_load_b64 s[20:21], s[4:5], 0x0
	s_waitcnt lgkmcnt(0)
	v_cmp_ge_i64_e64 s3, s[18:19], s[20:21]
	s_delay_alu instid0(VALU_DEP_1)
	s_and_b32 vcc_lo, exec_lo, s3
	s_cbranch_vccnz .LBB327_12
; %bb.8:
	v_dual_mov_b32 v2, 0 :: v_dual_and_b32 v1, 0xffff, v1
	v_cmp_gt_u32_e32 vcc_lo, 0x240, v0
	s_clause 0x1
	s_load_b128 s[4:7], s[0:1], 0x38
	s_load_b64 s[22:23], s[0:1], 0x48
	v_and_b32_e32 v4, 0xffff, v9
	v_subrev_nc_u32_e32 v3, 24, v1
	s_sub_u32 s0, s20, s16
	s_subb_u32 s1, s21, 0
	s_delay_alu instid0(VALU_DEP_1) | instskip(SKIP_1) | instid1(VALU_DEP_2)
	v_cndmask_b32_e32 v1, v3, v1, vcc_lo
	v_cmp_lt_u32_e32 vcc_lo, 0x23f, v0
	v_cndmask_b32_e64 v1, v4, v1, s2
	v_cndmask_b32_e64 v10, 0, 1, vcc_lo
	s_sub_u32 s2, s18, s16
	s_subb_u32 s3, s19, 0
	s_mul_hi_u32 s13, s2, 0x480
	v_lshlrev_b64 v[3:4], 1, v[1:2]
	v_add_co_u32 v1, s18, s18, v10
	s_delay_alu instid0(VALU_DEP_1) | instskip(SKIP_2) | instid1(VALU_DEP_3)
	v_add_co_ci_u32_e64 v6, null, s19, 0, s18
	s_mul_i32 s17, s3, 0x480
	s_waitcnt lgkmcnt(0)
	v_add_co_u32 v3, vcc_lo, s22, v3
	v_add_co_ci_u32_e32 v4, vcc_lo, s23, v4, vcc_lo
	v_sub_co_u32 v5, vcc_lo, v1, s16
	v_subrev_co_ci_u32_e32 v6, vcc_lo, 0, v6, vcc_lo
	v_lshlrev_b32_e32 v1, 1, v0
	s_add_i32 s13, s13, s17
	s_mul_i32 s17, s2, 0x480
	s_delay_alu instid0(VALU_DEP_2) | instskip(SKIP_3) | instid1(VALU_DEP_1)
	v_lshlrev_b64 v[7:8], 3, v[5:6]
	s_add_u32 s6, s6, s17
	s_addc_u32 s7, s7, s13
	v_add_co_u32 v5, s6, s6, v1
	v_add_co_ci_u32_e64 v6, null, s7, 0, s6
	s_delay_alu instid0(VALU_DEP_3)
	v_add_co_u32 v7, vcc_lo, s4, v7
	v_add_co_ci_u32_e32 v8, vcc_lo, s5, v8, vcc_lo
	s_set_inst_prefetch_distance 0x1
	s_branch .LBB327_10
	.p2align	6
.LBB327_9:                              ;   in Loop: Header=BB327_10 Depth=1
	s_or_b32 exec_lo, exec_lo, s4
	s_add_u32 s2, s2, 1
	s_addc_u32 s3, s3, 0
	v_add_co_u32 v7, vcc_lo, v7, 8
	v_cmp_lt_i64_e64 s4, s[2:3], s[0:1]
	v_add_co_ci_u32_e32 v8, vcc_lo, 0, v8, vcc_lo
	s_delay_alu instid0(VALU_DEP_2)
	s_and_b32 vcc_lo, exec_lo, s4
	s_cbranch_vccz .LBB327_12
.LBB327_10:                             ; =>This Inner Loop Header: Depth=1
	v_add_co_u32 v11, s4, v10, s2
	s_delay_alu instid0(VALU_DEP_1) | instskip(SKIP_1) | instid1(VALU_DEP_1)
	v_add_co_ci_u32_e64 v12, null, 0, s3, s4
	s_mov_b32 s4, exec_lo
	v_cmpx_gt_i64_e64 s[0:1], v[11:12]
	s_cbranch_execz .LBB327_9
; %bb.11:                               ;   in Loop: Header=BB327_10 Depth=1
	global_load_b64 v[11:12], v[7:8], off
	s_waitcnt vmcnt(0)
	v_sub_co_u32 v1, vcc_lo, v11, s16
	v_subrev_co_ci_u32_e32 v14, vcc_lo, 0, v12, vcc_lo
	s_delay_alu instid0(VALU_DEP_2) | instskip(NEXT) | instid1(VALU_DEP_1)
	v_mad_u64_u32 v[11:12], null, v1, 48, v[3:4]
	v_mov_b32_e32 v1, v12
	s_delay_alu instid0(VALU_DEP_1)
	v_mad_u64_u32 v[12:13], null, v14, 48, v[1:2]
	global_load_u16 v1, v[5:6], off
	global_load_u16 v11, v[11:12], off
	v_add_co_u32 v5, vcc_lo, 0x480, v5
	v_add_co_ci_u32_e32 v6, vcc_lo, 0, v6, vcc_lo
	s_waitcnt vmcnt(0)
	v_fma_mix_f32 v2, v1, v11, v2 op_sel_hi:[1,1,0]
	s_branch .LBB327_9
.LBB327_12:
	s_set_inst_prefetch_distance 0x2
	v_lshlrev_b32_e32 v1, 2, v0
	s_and_b32 vcc_lo, exec_lo, s9
	ds_store_b32 v1, v2
	s_waitcnt lgkmcnt(0)
	s_barrier
	buffer_gl0_inv
	s_cbranch_vccz .LBB327_24
; %bb.13:
	v_cmp_gt_u16_e32 vcc_lo, 8, v9
	s_and_saveexec_b32 s0, vcc_lo
	s_cbranch_execz .LBB327_15
; %bb.14:
	ds_load_2addr_b32 v[3:4], v1 offset1:16
	s_waitcnt lgkmcnt(0)
	v_add_f32_e32 v3, v4, v3
	ds_store_b32 v1, v3
.LBB327_15:
	s_or_b32 exec_lo, exec_lo, s0
	s_waitcnt lgkmcnt(0)
	s_barrier
	buffer_gl0_inv
	s_and_saveexec_b32 s0, vcc_lo
	s_cbranch_execz .LBB327_17
; %bb.16:
	ds_load_2addr_b32 v[3:4], v1 offset1:8
	s_waitcnt lgkmcnt(0)
	v_add_f32_e32 v3, v4, v3
	ds_store_b32 v1, v3
.LBB327_17:
	s_or_b32 exec_lo, exec_lo, s0
	s_delay_alu instid0(SALU_CYCLE_1)
	s_mov_b32 s0, exec_lo
	s_waitcnt lgkmcnt(0)
	s_barrier
	buffer_gl0_inv
	v_cmpx_gt_u16_e32 4, v9
	s_cbranch_execz .LBB327_19
; %bb.18:
	ds_load_2addr_b32 v[3:4], v1 offset1:4
	s_waitcnt lgkmcnt(0)
	v_add_f32_e32 v3, v4, v3
	ds_store_b32 v1, v3
.LBB327_19:
	s_or_b32 exec_lo, exec_lo, s0
	s_delay_alu instid0(SALU_CYCLE_1)
	s_mov_b32 s0, exec_lo
	s_waitcnt lgkmcnt(0)
	s_barrier
	buffer_gl0_inv
	v_cmpx_gt_u16_e32 2, v9
	s_cbranch_execz .LBB327_21
; %bb.20:
	ds_load_2addr_b32 v[3:4], v1 offset1:2
	s_waitcnt lgkmcnt(0)
	v_add_f32_e32 v3, v4, v3
	ds_store_b32 v1, v3
.LBB327_21:
	s_or_b32 exec_lo, exec_lo, s0
	s_mov_b32 s1, 0
	s_mov_b32 s0, 0
	s_mov_b32 s2, exec_lo
	s_waitcnt lgkmcnt(0)
	s_barrier
	buffer_gl0_inv
                                        ; implicit-def: $vgpr3
                                        ; implicit-def: $vgpr4
	v_cmpx_gt_u32_e32 24, v0
	s_xor_b32 s2, exec_lo, s2
; %bb.22:
	v_mul_u32_u24_e32 v3, 24, v0
	v_mad_u32_u24 v4, 0x5c, v0, v1
	s_mov_b32 s0, exec_lo
	s_delay_alu instid0(VALU_DEP_2)
	v_or_b32_e32 v3, 1, v3
; %bb.23:
	s_or_b32 exec_lo, exec_lo, s2
	s_delay_alu instid0(SALU_CYCLE_1)
	s_and_b32 vcc_lo, exec_lo, s1
	s_cbranch_vccnz .LBB327_25
	s_branch .LBB327_36
.LBB327_24:
	s_mov_b32 s0, 0
                                        ; implicit-def: $vgpr3
                                        ; implicit-def: $vgpr4
	s_cbranch_execz .LBB327_36
.LBB327_25:
	v_cmp_gt_u32_e32 vcc_lo, 0xc0, v0
	s_and_saveexec_b32 s1, vcc_lo
	s_cbranch_execz .LBB327_27
; %bb.26:
	ds_load_2addr_stride64_b32 v[3:4], v1 offset1:6
	s_waitcnt lgkmcnt(0)
	v_add_f32_e32 v3, v4, v3
	ds_store_b32 v1, v3
.LBB327_27:
	s_or_b32 exec_lo, exec_lo, s1
	s_waitcnt lgkmcnt(0)
	s_barrier
	buffer_gl0_inv
	s_and_saveexec_b32 s1, vcc_lo
	s_cbranch_execz .LBB327_29
; %bb.28:
	ds_load_2addr_stride64_b32 v[3:4], v1 offset1:3
	s_waitcnt lgkmcnt(0)
	v_add_f32_e32 v3, v4, v3
	ds_store_b32 v1, v3
.LBB327_29:
	s_or_b32 exec_lo, exec_lo, s1
	s_delay_alu instid0(SALU_CYCLE_1)
	s_mov_b32 s1, exec_lo
	s_waitcnt lgkmcnt(0)
	s_barrier
	buffer_gl0_inv
	v_cmpx_gt_u32_e32 0x60, v0
	s_cbranch_execz .LBB327_31
; %bb.30:
	ds_load_2addr_b32 v[3:4], v1 offset1:96
	s_waitcnt lgkmcnt(0)
	v_add_f32_e32 v3, v4, v3
	ds_store_b32 v1, v3
.LBB327_31:
	s_or_b32 exec_lo, exec_lo, s1
	s_delay_alu instid0(SALU_CYCLE_1)
	s_mov_b32 s1, exec_lo
	s_waitcnt lgkmcnt(0)
	s_barrier
	buffer_gl0_inv
	v_cmpx_gt_u32_e32 48, v0
	s_cbranch_execz .LBB327_33
; %bb.32:
	ds_load_2addr_b32 v[3:4], v1 offset1:48
	s_waitcnt lgkmcnt(0)
	v_add_f32_e32 v3, v4, v3
	ds_store_b32 v1, v3
.LBB327_33:
	s_or_b32 exec_lo, exec_lo, s1
	s_delay_alu instid0(SALU_CYCLE_1)
	s_mov_b32 s1, exec_lo
	s_waitcnt lgkmcnt(0)
	buffer_gl0_inv
                                        ; implicit-def: $vgpr3
	v_cmpx_gt_u32_e32 24, v0
; %bb.34:
	v_add_nc_u32_e32 v3, 24, v0
	s_or_b32 s0, s0, exec_lo
                                        ; implicit-def: $vgpr2
; %bb.35:
	s_or_b32 exec_lo, exec_lo, s1
	v_mov_b32_e32 v4, v1
.LBB327_36:
	s_and_saveexec_b32 s1, s0
	s_cbranch_execz .LBB327_38
; %bb.37:
	v_lshlrev_b32_e32 v1, 2, v3
	ds_load_b32 v2, v4
	ds_load_b32 v1, v1
	s_waitcnt lgkmcnt(0)
	v_add_f32_e32 v2, v2, v1
.LBB327_38:
	s_or_b32 exec_lo, exec_lo, s1
	s_delay_alu instid0(SALU_CYCLE_1)
	s_mov_b32 s0, exec_lo
	v_cmpx_gt_u32_e32 24, v0
	s_cbranch_execz .LBB327_42
; %bb.39:
	v_cmp_eq_f32_e64 s1, s8, 0
	v_mul_f32_e32 v1, s12, v2
	s_mov_b32 s3, 0
	s_mul_i32 s0, s11, 0x60
	s_mul_i32 s2, s10, 0x60
	s_and_b32 vcc_lo, exec_lo, s1
	s_mul_hi_u32 s1, s10, 0x60
	s_cbranch_vccz .LBB327_43
; %bb.40:
	v_lshlrev_b32_e32 v2, 2, v0
	s_add_i32 s5, s1, s0
	s_add_u32 s4, s14, s2
	s_addc_u32 s5, s15, s5
	global_store_b32 v2, v1, s[4:5]
	s_and_not1_b32 vcc_lo, exec_lo, s3
	s_cbranch_vccnz .LBB327_42
.LBB327_41:
	v_lshlrev_b32_e32 v0, 2, v0
	s_add_i32 s1, s1, s0
	s_add_u32 s0, s14, s2
	s_addc_u32 s1, s15, s1
	global_load_b32 v2, v0, s[0:1]
	s_waitcnt vmcnt(0)
	v_fmac_f32_e32 v1, s8, v2
	global_store_b32 v0, v1, s[0:1]
.LBB327_42:
	s_nop 0
	s_sendmsg sendmsg(MSG_DEALLOC_VGPRS)
	s_endpgm
.LBB327_43:
	s_branch .LBB327_41
	.section	.rodata,"a",@progbits
	.p2align	6, 0x0
	.amdhsa_kernel _ZN9rocsparseL20bsrxmvn_17_32_kernelILj24EfllDF16_DF16_fEEvT2_20rocsparse_direction_NS_24const_host_device_scalarIT0_EES1_PKS1_PKT1_SA_S7_PKT3_PKT4_S5_PT5_21rocsparse_index_base_b
		.amdhsa_group_segment_fixed_size 2304
		.amdhsa_private_segment_fixed_size 0
		.amdhsa_kernarg_size 104
		.amdhsa_user_sgpr_count 15
		.amdhsa_user_sgpr_dispatch_ptr 0
		.amdhsa_user_sgpr_queue_ptr 0
		.amdhsa_user_sgpr_kernarg_segment_ptr 1
		.amdhsa_user_sgpr_dispatch_id 0
		.amdhsa_user_sgpr_private_segment_size 0
		.amdhsa_wavefront_size32 1
		.amdhsa_uses_dynamic_stack 0
		.amdhsa_enable_private_segment 0
		.amdhsa_system_sgpr_workgroup_id_x 1
		.amdhsa_system_sgpr_workgroup_id_y 0
		.amdhsa_system_sgpr_workgroup_id_z 0
		.amdhsa_system_sgpr_workgroup_info 0
		.amdhsa_system_vgpr_workitem_id 0
		.amdhsa_next_free_vgpr 15
		.amdhsa_next_free_sgpr 24
		.amdhsa_reserve_vcc 1
		.amdhsa_float_round_mode_32 0
		.amdhsa_float_round_mode_16_64 0
		.amdhsa_float_denorm_mode_32 3
		.amdhsa_float_denorm_mode_16_64 3
		.amdhsa_dx10_clamp 1
		.amdhsa_ieee_mode 1
		.amdhsa_fp16_overflow 0
		.amdhsa_workgroup_processor_mode 1
		.amdhsa_memory_ordered 1
		.amdhsa_forward_progress 0
		.amdhsa_shared_vgpr_count 0
		.amdhsa_exception_fp_ieee_invalid_op 0
		.amdhsa_exception_fp_denorm_src 0
		.amdhsa_exception_fp_ieee_div_zero 0
		.amdhsa_exception_fp_ieee_overflow 0
		.amdhsa_exception_fp_ieee_underflow 0
		.amdhsa_exception_fp_ieee_inexact 0
		.amdhsa_exception_int_div_zero 0
	.end_amdhsa_kernel
	.section	.text._ZN9rocsparseL20bsrxmvn_17_32_kernelILj24EfllDF16_DF16_fEEvT2_20rocsparse_direction_NS_24const_host_device_scalarIT0_EES1_PKS1_PKT1_SA_S7_PKT3_PKT4_S5_PT5_21rocsparse_index_base_b,"axG",@progbits,_ZN9rocsparseL20bsrxmvn_17_32_kernelILj24EfllDF16_DF16_fEEvT2_20rocsparse_direction_NS_24const_host_device_scalarIT0_EES1_PKS1_PKT1_SA_S7_PKT3_PKT4_S5_PT5_21rocsparse_index_base_b,comdat
.Lfunc_end327:
	.size	_ZN9rocsparseL20bsrxmvn_17_32_kernelILj24EfllDF16_DF16_fEEvT2_20rocsparse_direction_NS_24const_host_device_scalarIT0_EES1_PKS1_PKT1_SA_S7_PKT3_PKT4_S5_PT5_21rocsparse_index_base_b, .Lfunc_end327-_ZN9rocsparseL20bsrxmvn_17_32_kernelILj24EfllDF16_DF16_fEEvT2_20rocsparse_direction_NS_24const_host_device_scalarIT0_EES1_PKS1_PKT1_SA_S7_PKT3_PKT4_S5_PT5_21rocsparse_index_base_b
                                        ; -- End function
	.section	.AMDGPU.csdata,"",@progbits
; Kernel info:
; codeLenInByte = 1576
; NumSgprs: 26
; NumVgprs: 15
; ScratchSize: 0
; MemoryBound: 0
; FloatMode: 240
; IeeeMode: 1
; LDSByteSize: 2304 bytes/workgroup (compile time only)
; SGPRBlocks: 3
; VGPRBlocks: 1
; NumSGPRsForWavesPerEU: 26
; NumVGPRsForWavesPerEU: 15
; Occupancy: 14
; WaveLimiterHint : 1
; COMPUTE_PGM_RSRC2:SCRATCH_EN: 0
; COMPUTE_PGM_RSRC2:USER_SGPR: 15
; COMPUTE_PGM_RSRC2:TRAP_HANDLER: 0
; COMPUTE_PGM_RSRC2:TGID_X_EN: 1
; COMPUTE_PGM_RSRC2:TGID_Y_EN: 0
; COMPUTE_PGM_RSRC2:TGID_Z_EN: 0
; COMPUTE_PGM_RSRC2:TIDIG_COMP_CNT: 0
	.section	.text._ZN9rocsparseL20bsrxmvn_17_32_kernelILj25EfllDF16_DF16_fEEvT2_20rocsparse_direction_NS_24const_host_device_scalarIT0_EES1_PKS1_PKT1_SA_S7_PKT3_PKT4_S5_PT5_21rocsparse_index_base_b,"axG",@progbits,_ZN9rocsparseL20bsrxmvn_17_32_kernelILj25EfllDF16_DF16_fEEvT2_20rocsparse_direction_NS_24const_host_device_scalarIT0_EES1_PKS1_PKT1_SA_S7_PKT3_PKT4_S5_PT5_21rocsparse_index_base_b,comdat
	.globl	_ZN9rocsparseL20bsrxmvn_17_32_kernelILj25EfllDF16_DF16_fEEvT2_20rocsparse_direction_NS_24const_host_device_scalarIT0_EES1_PKS1_PKT1_SA_S7_PKT3_PKT4_S5_PT5_21rocsparse_index_base_b ; -- Begin function _ZN9rocsparseL20bsrxmvn_17_32_kernelILj25EfllDF16_DF16_fEEvT2_20rocsparse_direction_NS_24const_host_device_scalarIT0_EES1_PKS1_PKT1_SA_S7_PKT3_PKT4_S5_PT5_21rocsparse_index_base_b
	.p2align	8
	.type	_ZN9rocsparseL20bsrxmvn_17_32_kernelILj25EfllDF16_DF16_fEEvT2_20rocsparse_direction_NS_24const_host_device_scalarIT0_EES1_PKS1_PKT1_SA_S7_PKT3_PKT4_S5_PT5_21rocsparse_index_base_b,@function
_ZN9rocsparseL20bsrxmvn_17_32_kernelILj25EfllDF16_DF16_fEEvT2_20rocsparse_direction_NS_24const_host_device_scalarIT0_EES1_PKS1_PKT1_SA_S7_PKT3_PKT4_S5_PT5_21rocsparse_index_base_b: ; @_ZN9rocsparseL20bsrxmvn_17_32_kernelILj25EfllDF16_DF16_fEEvT2_20rocsparse_direction_NS_24const_host_device_scalarIT0_EES1_PKS1_PKT1_SA_S7_PKT3_PKT4_S5_PT5_21rocsparse_index_base_b
; %bb.0:
	s_clause 0x2
	s_load_b64 s[16:17], s[0:1], 0x60
	s_load_b64 s[12:13], s[0:1], 0x10
	;; [unrolled: 1-line block ×3, first 2 shown]
	s_mov_b32 s10, s15
	s_waitcnt lgkmcnt(0)
	s_bitcmp1_b32 s17, 0
	s_cselect_b32 s2, -1, 0
	s_delay_alu instid0(SALU_CYCLE_1)
	s_and_b32 vcc_lo, exec_lo, s2
	s_xor_b32 s2, s2, -1
	s_cbranch_vccnz .LBB328_2
; %bb.1:
	s_load_b32 s12, s[12:13], 0x0
.LBB328_2:
	s_and_not1_b32 vcc_lo, exec_lo, s2
	s_cbranch_vccnz .LBB328_4
; %bb.3:
	s_load_b32 s8, s[8:9], 0x0
.LBB328_4:
	s_waitcnt lgkmcnt(0)
	v_cmp_neq_f32_e64 s2, s12, 0
	v_cmp_neq_f32_e64 s3, s8, 1.0
	s_mov_b32 s11, 0
	s_delay_alu instid0(VALU_DEP_1) | instskip(NEXT) | instid1(SALU_CYCLE_1)
	s_or_b32 s2, s2, s3
	s_and_not1_b32 vcc_lo, exec_lo, s2
	s_cbranch_vccnz .LBB328_42
; %bb.5:
	s_clause 0x1
	s_load_b128 s[4:7], s[0:1], 0x20
	s_load_b64 s[14:15], s[0:1], 0x30
	s_waitcnt lgkmcnt(0)
	s_cmp_eq_u64 s[4:5], 0
	s_cbranch_scc1 .LBB328_7
; %bb.6:
	s_lshl_b64 s[2:3], s[10:11], 3
	s_delay_alu instid0(SALU_CYCLE_1)
	s_add_u32 s2, s4, s2
	s_addc_u32 s3, s5, s3
	s_load_b64 s[2:3], s[2:3], 0x0
	s_waitcnt lgkmcnt(0)
	s_sub_u32 s10, s2, s16
	s_subb_u32 s11, s3, 0
.LBB328_7:
	s_load_b32 s3, s[0:1], 0x8
	v_mul_u32_u24_e32 v1, 0xa3e, v0
	s_delay_alu instid0(VALU_DEP_1) | instskip(NEXT) | instid1(VALU_DEP_1)
	v_lshrrev_b32_e32 v1, 16, v1
	v_mul_lo_u16 v2, v1, 25
	s_delay_alu instid0(VALU_DEP_1)
	v_sub_nc_u16 v9, v0, v2
	v_mov_b32_e32 v2, 0
	s_waitcnt lgkmcnt(0)
	s_cmp_eq_u32 s3, 1
	s_cselect_b32 s2, -1, 0
	s_cmp_lg_u32 s3, 1
	s_cselect_b32 s9, -1, 0
	s_lshl_b64 s[4:5], s[10:11], 3
	s_delay_alu instid0(SALU_CYCLE_1)
	s_add_u32 s6, s6, s4
	s_addc_u32 s7, s7, s5
	s_add_u32 s3, s6, 8
	s_addc_u32 s13, s7, 0
	;; [unrolled: 2-line block ×3, first 2 shown]
	s_cmp_eq_u64 s[14:15], 0
	s_load_b64 s[14:15], s[0:1], 0x58
	s_cselect_b32 s5, s13, s5
	s_cselect_b32 s4, s3, s4
	s_load_b64 s[18:19], s[6:7], 0x0
	s_load_b64 s[20:21], s[4:5], 0x0
	s_waitcnt lgkmcnt(0)
	v_cmp_ge_i64_e64 s3, s[18:19], s[20:21]
	s_delay_alu instid0(VALU_DEP_1)
	s_and_b32 vcc_lo, exec_lo, s3
	s_cbranch_vccnz .LBB328_12
; %bb.8:
	v_dual_mov_b32 v2, 0 :: v_dual_and_b32 v1, 0xffff, v1
	v_cmp_gt_u32_e32 vcc_lo, 0x271, v0
	s_clause 0x1
	s_load_b128 s[4:7], s[0:1], 0x38
	s_load_b64 s[22:23], s[0:1], 0x48
	v_and_b32_e32 v4, 0xffff, v9
	v_subrev_nc_u32_e32 v3, 25, v1
	s_sub_u32 s0, s20, s16
	s_subb_u32 s1, s21, 0
	s_delay_alu instid0(VALU_DEP_1) | instskip(SKIP_1) | instid1(VALU_DEP_2)
	v_cndmask_b32_e32 v1, v3, v1, vcc_lo
	v_cmp_lt_u32_e32 vcc_lo, 0x270, v0
	v_cndmask_b32_e64 v1, v4, v1, s2
	v_cndmask_b32_e64 v10, 0, 1, vcc_lo
	s_sub_u32 s2, s18, s16
	s_subb_u32 s3, s19, 0
	s_mul_hi_u32 s13, s2, 0x4e2
	v_lshlrev_b64 v[3:4], 1, v[1:2]
	v_add_co_u32 v1, s18, s18, v10
	s_delay_alu instid0(VALU_DEP_1) | instskip(SKIP_2) | instid1(VALU_DEP_3)
	v_add_co_ci_u32_e64 v6, null, s19, 0, s18
	s_mul_i32 s17, s3, 0x4e2
	s_waitcnt lgkmcnt(0)
	v_add_co_u32 v3, vcc_lo, s22, v3
	v_add_co_ci_u32_e32 v4, vcc_lo, s23, v4, vcc_lo
	v_sub_co_u32 v5, vcc_lo, v1, s16
	v_subrev_co_ci_u32_e32 v6, vcc_lo, 0, v6, vcc_lo
	v_lshlrev_b32_e32 v1, 1, v0
	s_add_i32 s13, s13, s17
	s_mul_i32 s17, s2, 0x4e2
	s_delay_alu instid0(VALU_DEP_2) | instskip(SKIP_3) | instid1(VALU_DEP_1)
	v_lshlrev_b64 v[7:8], 3, v[5:6]
	s_add_u32 s6, s6, s17
	s_addc_u32 s7, s7, s13
	v_add_co_u32 v5, s6, s6, v1
	v_add_co_ci_u32_e64 v6, null, s7, 0, s6
	s_delay_alu instid0(VALU_DEP_3)
	v_add_co_u32 v7, vcc_lo, s4, v7
	v_add_co_ci_u32_e32 v8, vcc_lo, s5, v8, vcc_lo
	s_set_inst_prefetch_distance 0x1
	s_branch .LBB328_10
	.p2align	6
.LBB328_9:                              ;   in Loop: Header=BB328_10 Depth=1
	s_or_b32 exec_lo, exec_lo, s4
	s_add_u32 s2, s2, 1
	s_addc_u32 s3, s3, 0
	v_add_co_u32 v7, vcc_lo, v7, 8
	v_cmp_lt_i64_e64 s4, s[2:3], s[0:1]
	v_add_co_ci_u32_e32 v8, vcc_lo, 0, v8, vcc_lo
	s_delay_alu instid0(VALU_DEP_2)
	s_and_b32 vcc_lo, exec_lo, s4
	s_cbranch_vccz .LBB328_12
.LBB328_10:                             ; =>This Inner Loop Header: Depth=1
	v_add_co_u32 v11, s4, v10, s2
	s_delay_alu instid0(VALU_DEP_1) | instskip(SKIP_1) | instid1(VALU_DEP_1)
	v_add_co_ci_u32_e64 v12, null, 0, s3, s4
	s_mov_b32 s4, exec_lo
	v_cmpx_gt_i64_e64 s[0:1], v[11:12]
	s_cbranch_execz .LBB328_9
; %bb.11:                               ;   in Loop: Header=BB328_10 Depth=1
	global_load_b64 v[11:12], v[7:8], off
	s_waitcnt vmcnt(0)
	v_sub_co_u32 v1, vcc_lo, v11, s16
	v_subrev_co_ci_u32_e32 v14, vcc_lo, 0, v12, vcc_lo
	s_delay_alu instid0(VALU_DEP_2) | instskip(NEXT) | instid1(VALU_DEP_1)
	v_mad_u64_u32 v[11:12], null, v1, 50, v[3:4]
	v_mov_b32_e32 v1, v12
	s_delay_alu instid0(VALU_DEP_1)
	v_mad_u64_u32 v[12:13], null, v14, 50, v[1:2]
	global_load_u16 v1, v[5:6], off
	global_load_u16 v11, v[11:12], off
	v_add_co_u32 v5, vcc_lo, 0x4e2, v5
	v_add_co_ci_u32_e32 v6, vcc_lo, 0, v6, vcc_lo
	s_waitcnt vmcnt(0)
	v_fma_mix_f32 v2, v1, v11, v2 op_sel_hi:[1,1,0]
	s_branch .LBB328_9
.LBB328_12:
	s_set_inst_prefetch_distance 0x2
	v_lshlrev_b32_e32 v1, 2, v0
	s_and_b32 vcc_lo, exec_lo, s9
	ds_store_b32 v1, v2
	s_waitcnt lgkmcnt(0)
	s_barrier
	buffer_gl0_inv
	s_cbranch_vccz .LBB328_24
; %bb.13:
	s_mov_b32 s0, exec_lo
	v_cmpx_gt_u16_e32 9, v9
	s_cbranch_execz .LBB328_15
; %bb.14:
	ds_load_2addr_b32 v[3:4], v1 offset1:16
	s_waitcnt lgkmcnt(0)
	v_add_f32_e32 v3, v4, v3
	ds_store_b32 v1, v3
.LBB328_15:
	s_or_b32 exec_lo, exec_lo, s0
	s_delay_alu instid0(SALU_CYCLE_1)
	s_mov_b32 s0, exec_lo
	s_waitcnt lgkmcnt(0)
	s_barrier
	buffer_gl0_inv
	v_cmpx_gt_u16_e32 8, v9
	s_cbranch_execz .LBB328_17
; %bb.16:
	ds_load_2addr_b32 v[3:4], v1 offset1:8
	s_waitcnt lgkmcnt(0)
	v_add_f32_e32 v3, v4, v3
	ds_store_b32 v1, v3
.LBB328_17:
	s_or_b32 exec_lo, exec_lo, s0
	s_delay_alu instid0(SALU_CYCLE_1)
	s_mov_b32 s0, exec_lo
	s_waitcnt lgkmcnt(0)
	s_barrier
	buffer_gl0_inv
	;; [unrolled: 14-line block ×3, first 2 shown]
	v_cmpx_gt_u16_e32 2, v9
	s_cbranch_execz .LBB328_21
; %bb.20:
	ds_load_2addr_b32 v[3:4], v1 offset1:2
	s_waitcnt lgkmcnt(0)
	v_add_f32_e32 v3, v4, v3
	ds_store_b32 v1, v3
.LBB328_21:
	s_or_b32 exec_lo, exec_lo, s0
	s_mov_b32 s1, 0
	s_mov_b32 s0, 0
	s_mov_b32 s2, exec_lo
	s_waitcnt lgkmcnt(0)
	s_barrier
	buffer_gl0_inv
                                        ; implicit-def: $vgpr3
                                        ; implicit-def: $vgpr4
	v_cmpx_gt_u32_e32 25, v0
	s_xor_b32 s2, exec_lo, s2
; %bb.22:
	v_mad_u32_u24 v3, v0, 25, 1
	v_mad_u32_u24 v4, 0x60, v0, v1
	s_mov_b32 s0, exec_lo
; %bb.23:
	s_or_b32 exec_lo, exec_lo, s2
	s_delay_alu instid0(SALU_CYCLE_1)
	s_and_b32 vcc_lo, exec_lo, s1
	s_cbranch_vccnz .LBB328_25
	s_branch .LBB328_36
.LBB328_24:
	s_mov_b32 s0, 0
                                        ; implicit-def: $vgpr3
                                        ; implicit-def: $vgpr4
	s_cbranch_execz .LBB328_36
.LBB328_25:
	s_mov_b32 s1, exec_lo
	v_cmpx_gt_u32_e32 0xe1, v0
	s_cbranch_execz .LBB328_27
; %bb.26:
	ds_load_b32 v3, v1 offset:1600
	ds_load_b32 v4, v1
	s_waitcnt lgkmcnt(0)
	v_add_f32_e32 v3, v3, v4
	ds_store_b32 v1, v3
.LBB328_27:
	s_or_b32 exec_lo, exec_lo, s1
	s_delay_alu instid0(SALU_CYCLE_1)
	s_mov_b32 s1, exec_lo
	s_waitcnt lgkmcnt(0)
	s_barrier
	buffer_gl0_inv
	v_cmpx_gt_u32_e32 0xc8, v0
	s_cbranch_execz .LBB328_29
; %bb.28:
	ds_load_2addr_b32 v[3:4], v1 offset1:200
	s_waitcnt lgkmcnt(0)
	v_add_f32_e32 v3, v4, v3
	ds_store_b32 v1, v3
.LBB328_29:
	s_or_b32 exec_lo, exec_lo, s1
	s_delay_alu instid0(SALU_CYCLE_1)
	s_mov_b32 s1, exec_lo
	s_waitcnt lgkmcnt(0)
	s_barrier
	buffer_gl0_inv
	v_cmpx_gt_u32_e32 0x64, v0
	s_cbranch_execz .LBB328_31
; %bb.30:
	ds_load_2addr_b32 v[3:4], v1 offset1:100
	s_waitcnt lgkmcnt(0)
	v_add_f32_e32 v3, v4, v3
	ds_store_b32 v1, v3
.LBB328_31:
	;; [unrolled: 14-line block ×3, first 2 shown]
	s_or_b32 exec_lo, exec_lo, s1
	s_delay_alu instid0(SALU_CYCLE_1)
	s_mov_b32 s1, exec_lo
	s_waitcnt lgkmcnt(0)
	buffer_gl0_inv
                                        ; implicit-def: $vgpr3
	v_cmpx_gt_u32_e32 25, v0
; %bb.34:
	v_add_nc_u32_e32 v3, 25, v0
	s_or_b32 s0, s0, exec_lo
                                        ; implicit-def: $vgpr2
; %bb.35:
	s_or_b32 exec_lo, exec_lo, s1
	v_mov_b32_e32 v4, v1
.LBB328_36:
	s_and_saveexec_b32 s1, s0
	s_cbranch_execz .LBB328_38
; %bb.37:
	v_lshlrev_b32_e32 v1, 2, v3
	ds_load_b32 v2, v4
	ds_load_b32 v1, v1
	s_waitcnt lgkmcnt(0)
	v_add_f32_e32 v2, v2, v1
.LBB328_38:
	s_or_b32 exec_lo, exec_lo, s1
	s_delay_alu instid0(SALU_CYCLE_1)
	s_mov_b32 s0, exec_lo
	v_cmpx_gt_u32_e32 25, v0
	s_cbranch_execz .LBB328_42
; %bb.39:
	v_cmp_eq_f32_e64 s1, s8, 0
	v_mul_f32_e32 v1, s12, v2
	s_mov_b32 s3, 0
	s_mul_i32 s0, s11, 0x64
	s_mul_i32 s2, s10, 0x64
	s_and_b32 vcc_lo, exec_lo, s1
	s_mul_hi_u32 s1, s10, 0x64
	s_cbranch_vccz .LBB328_43
; %bb.40:
	v_lshlrev_b32_e32 v2, 2, v0
	s_add_i32 s5, s1, s0
	s_add_u32 s4, s14, s2
	s_addc_u32 s5, s15, s5
	global_store_b32 v2, v1, s[4:5]
	s_and_not1_b32 vcc_lo, exec_lo, s3
	s_cbranch_vccnz .LBB328_42
.LBB328_41:
	v_lshlrev_b32_e32 v0, 2, v0
	s_add_i32 s1, s1, s0
	s_add_u32 s0, s14, s2
	s_addc_u32 s1, s15, s1
	global_load_b32 v2, v0, s[0:1]
	s_waitcnt vmcnt(0)
	v_fmac_f32_e32 v1, s8, v2
	global_store_b32 v0, v1, s[0:1]
.LBB328_42:
	s_nop 0
	s_sendmsg sendmsg(MSG_DEALLOC_VGPRS)
	s_endpgm
.LBB328_43:
	s_branch .LBB328_41
	.section	.rodata,"a",@progbits
	.p2align	6, 0x0
	.amdhsa_kernel _ZN9rocsparseL20bsrxmvn_17_32_kernelILj25EfllDF16_DF16_fEEvT2_20rocsparse_direction_NS_24const_host_device_scalarIT0_EES1_PKS1_PKT1_SA_S7_PKT3_PKT4_S5_PT5_21rocsparse_index_base_b
		.amdhsa_group_segment_fixed_size 2500
		.amdhsa_private_segment_fixed_size 0
		.amdhsa_kernarg_size 104
		.amdhsa_user_sgpr_count 15
		.amdhsa_user_sgpr_dispatch_ptr 0
		.amdhsa_user_sgpr_queue_ptr 0
		.amdhsa_user_sgpr_kernarg_segment_ptr 1
		.amdhsa_user_sgpr_dispatch_id 0
		.amdhsa_user_sgpr_private_segment_size 0
		.amdhsa_wavefront_size32 1
		.amdhsa_uses_dynamic_stack 0
		.amdhsa_enable_private_segment 0
		.amdhsa_system_sgpr_workgroup_id_x 1
		.amdhsa_system_sgpr_workgroup_id_y 0
		.amdhsa_system_sgpr_workgroup_id_z 0
		.amdhsa_system_sgpr_workgroup_info 0
		.amdhsa_system_vgpr_workitem_id 0
		.amdhsa_next_free_vgpr 15
		.amdhsa_next_free_sgpr 24
		.amdhsa_reserve_vcc 1
		.amdhsa_float_round_mode_32 0
		.amdhsa_float_round_mode_16_64 0
		.amdhsa_float_denorm_mode_32 3
		.amdhsa_float_denorm_mode_16_64 3
		.amdhsa_dx10_clamp 1
		.amdhsa_ieee_mode 1
		.amdhsa_fp16_overflow 0
		.amdhsa_workgroup_processor_mode 1
		.amdhsa_memory_ordered 1
		.amdhsa_forward_progress 0
		.amdhsa_shared_vgpr_count 0
		.amdhsa_exception_fp_ieee_invalid_op 0
		.amdhsa_exception_fp_denorm_src 0
		.amdhsa_exception_fp_ieee_div_zero 0
		.amdhsa_exception_fp_ieee_overflow 0
		.amdhsa_exception_fp_ieee_underflow 0
		.amdhsa_exception_fp_ieee_inexact 0
		.amdhsa_exception_int_div_zero 0
	.end_amdhsa_kernel
	.section	.text._ZN9rocsparseL20bsrxmvn_17_32_kernelILj25EfllDF16_DF16_fEEvT2_20rocsparse_direction_NS_24const_host_device_scalarIT0_EES1_PKS1_PKT1_SA_S7_PKT3_PKT4_S5_PT5_21rocsparse_index_base_b,"axG",@progbits,_ZN9rocsparseL20bsrxmvn_17_32_kernelILj25EfllDF16_DF16_fEEvT2_20rocsparse_direction_NS_24const_host_device_scalarIT0_EES1_PKS1_PKT1_SA_S7_PKT3_PKT4_S5_PT5_21rocsparse_index_base_b,comdat
.Lfunc_end328:
	.size	_ZN9rocsparseL20bsrxmvn_17_32_kernelILj25EfllDF16_DF16_fEEvT2_20rocsparse_direction_NS_24const_host_device_scalarIT0_EES1_PKS1_PKT1_SA_S7_PKT3_PKT4_S5_PT5_21rocsparse_index_base_b, .Lfunc_end328-_ZN9rocsparseL20bsrxmvn_17_32_kernelILj25EfllDF16_DF16_fEEvT2_20rocsparse_direction_NS_24const_host_device_scalarIT0_EES1_PKS1_PKT1_SA_S7_PKT3_PKT4_S5_PT5_21rocsparse_index_base_b
                                        ; -- End function
	.section	.AMDGPU.csdata,"",@progbits
; Kernel info:
; codeLenInByte = 1600
; NumSgprs: 26
; NumVgprs: 15
; ScratchSize: 0
; MemoryBound: 0
; FloatMode: 240
; IeeeMode: 1
; LDSByteSize: 2500 bytes/workgroup (compile time only)
; SGPRBlocks: 3
; VGPRBlocks: 1
; NumSGPRsForWavesPerEU: 26
; NumVGPRsForWavesPerEU: 15
; Occupancy: 15
; WaveLimiterHint : 1
; COMPUTE_PGM_RSRC2:SCRATCH_EN: 0
; COMPUTE_PGM_RSRC2:USER_SGPR: 15
; COMPUTE_PGM_RSRC2:TRAP_HANDLER: 0
; COMPUTE_PGM_RSRC2:TGID_X_EN: 1
; COMPUTE_PGM_RSRC2:TGID_Y_EN: 0
; COMPUTE_PGM_RSRC2:TGID_Z_EN: 0
; COMPUTE_PGM_RSRC2:TIDIG_COMP_CNT: 0
	.section	.text._ZN9rocsparseL20bsrxmvn_17_32_kernelILj26EfllDF16_DF16_fEEvT2_20rocsparse_direction_NS_24const_host_device_scalarIT0_EES1_PKS1_PKT1_SA_S7_PKT3_PKT4_S5_PT5_21rocsparse_index_base_b,"axG",@progbits,_ZN9rocsparseL20bsrxmvn_17_32_kernelILj26EfllDF16_DF16_fEEvT2_20rocsparse_direction_NS_24const_host_device_scalarIT0_EES1_PKS1_PKT1_SA_S7_PKT3_PKT4_S5_PT5_21rocsparse_index_base_b,comdat
	.globl	_ZN9rocsparseL20bsrxmvn_17_32_kernelILj26EfllDF16_DF16_fEEvT2_20rocsparse_direction_NS_24const_host_device_scalarIT0_EES1_PKS1_PKT1_SA_S7_PKT3_PKT4_S5_PT5_21rocsparse_index_base_b ; -- Begin function _ZN9rocsparseL20bsrxmvn_17_32_kernelILj26EfllDF16_DF16_fEEvT2_20rocsparse_direction_NS_24const_host_device_scalarIT0_EES1_PKS1_PKT1_SA_S7_PKT3_PKT4_S5_PT5_21rocsparse_index_base_b
	.p2align	8
	.type	_ZN9rocsparseL20bsrxmvn_17_32_kernelILj26EfllDF16_DF16_fEEvT2_20rocsparse_direction_NS_24const_host_device_scalarIT0_EES1_PKS1_PKT1_SA_S7_PKT3_PKT4_S5_PT5_21rocsparse_index_base_b,@function
_ZN9rocsparseL20bsrxmvn_17_32_kernelILj26EfllDF16_DF16_fEEvT2_20rocsparse_direction_NS_24const_host_device_scalarIT0_EES1_PKS1_PKT1_SA_S7_PKT3_PKT4_S5_PT5_21rocsparse_index_base_b: ; @_ZN9rocsparseL20bsrxmvn_17_32_kernelILj26EfllDF16_DF16_fEEvT2_20rocsparse_direction_NS_24const_host_device_scalarIT0_EES1_PKS1_PKT1_SA_S7_PKT3_PKT4_S5_PT5_21rocsparse_index_base_b
; %bb.0:
	s_clause 0x2
	s_load_b64 s[16:17], s[0:1], 0x60
	s_load_b64 s[12:13], s[0:1], 0x10
	;; [unrolled: 1-line block ×3, first 2 shown]
	s_mov_b32 s10, s15
	s_waitcnt lgkmcnt(0)
	s_bitcmp1_b32 s17, 0
	s_cselect_b32 s2, -1, 0
	s_delay_alu instid0(SALU_CYCLE_1)
	s_and_b32 vcc_lo, exec_lo, s2
	s_xor_b32 s2, s2, -1
	s_cbranch_vccnz .LBB329_2
; %bb.1:
	s_load_b32 s12, s[12:13], 0x0
.LBB329_2:
	s_and_not1_b32 vcc_lo, exec_lo, s2
	s_cbranch_vccnz .LBB329_4
; %bb.3:
	s_load_b32 s8, s[8:9], 0x0
.LBB329_4:
	s_waitcnt lgkmcnt(0)
	v_cmp_neq_f32_e64 s2, s12, 0
	v_cmp_neq_f32_e64 s3, s8, 1.0
	s_mov_b32 s11, 0
	s_delay_alu instid0(VALU_DEP_1) | instskip(NEXT) | instid1(SALU_CYCLE_1)
	s_or_b32 s2, s2, s3
	s_and_not1_b32 vcc_lo, exec_lo, s2
	s_cbranch_vccnz .LBB329_42
; %bb.5:
	s_clause 0x1
	s_load_b128 s[4:7], s[0:1], 0x20
	s_load_b64 s[14:15], s[0:1], 0x30
	s_waitcnt lgkmcnt(0)
	s_cmp_eq_u64 s[4:5], 0
	s_cbranch_scc1 .LBB329_7
; %bb.6:
	s_lshl_b64 s[2:3], s[10:11], 3
	s_delay_alu instid0(SALU_CYCLE_1)
	s_add_u32 s2, s4, s2
	s_addc_u32 s3, s5, s3
	s_load_b64 s[2:3], s[2:3], 0x0
	s_waitcnt lgkmcnt(0)
	s_sub_u32 s10, s2, s16
	s_subb_u32 s11, s3, 0
.LBB329_7:
	s_load_b32 s3, s[0:1], 0x8
	v_mul_u32_u24_e32 v1, 0x9d9, v0
	s_delay_alu instid0(VALU_DEP_1) | instskip(NEXT) | instid1(VALU_DEP_1)
	v_lshrrev_b32_e32 v1, 16, v1
	v_mul_lo_u16 v2, v1, 26
	s_delay_alu instid0(VALU_DEP_1)
	v_sub_nc_u16 v9, v0, v2
	v_mov_b32_e32 v2, 0
	s_waitcnt lgkmcnt(0)
	s_cmp_eq_u32 s3, 1
	s_cselect_b32 s2, -1, 0
	s_cmp_lg_u32 s3, 1
	s_cselect_b32 s9, -1, 0
	s_lshl_b64 s[4:5], s[10:11], 3
	s_delay_alu instid0(SALU_CYCLE_1)
	s_add_u32 s6, s6, s4
	s_addc_u32 s7, s7, s5
	s_add_u32 s3, s6, 8
	s_addc_u32 s13, s7, 0
	;; [unrolled: 2-line block ×3, first 2 shown]
	s_cmp_eq_u64 s[14:15], 0
	s_load_b64 s[14:15], s[0:1], 0x58
	s_cselect_b32 s5, s13, s5
	s_cselect_b32 s4, s3, s4
	s_load_b64 s[18:19], s[6:7], 0x0
	s_load_b64 s[20:21], s[4:5], 0x0
	s_waitcnt lgkmcnt(0)
	v_cmp_ge_i64_e64 s3, s[18:19], s[20:21]
	s_delay_alu instid0(VALU_DEP_1)
	s_and_b32 vcc_lo, exec_lo, s3
	s_cbranch_vccnz .LBB329_12
; %bb.8:
	v_dual_mov_b32 v2, 0 :: v_dual_and_b32 v1, 0xffff, v1
	v_cmp_gt_u32_e32 vcc_lo, 0x2a4, v0
	s_clause 0x1
	s_load_b128 s[4:7], s[0:1], 0x38
	s_load_b64 s[22:23], s[0:1], 0x48
	v_and_b32_e32 v4, 0xffff, v9
	v_subrev_nc_u32_e32 v3, 26, v1
	s_sub_u32 s0, s20, s16
	s_subb_u32 s1, s21, 0
	s_delay_alu instid0(VALU_DEP_1) | instskip(SKIP_1) | instid1(VALU_DEP_2)
	v_cndmask_b32_e32 v1, v3, v1, vcc_lo
	v_cmp_lt_u32_e32 vcc_lo, 0x2a3, v0
	v_cndmask_b32_e64 v1, v4, v1, s2
	v_cndmask_b32_e64 v10, 0, 1, vcc_lo
	s_sub_u32 s2, s18, s16
	s_subb_u32 s3, s19, 0
	s_mul_hi_u32 s13, s2, 0x548
	v_lshlrev_b64 v[3:4], 1, v[1:2]
	v_add_co_u32 v1, s18, s18, v10
	s_delay_alu instid0(VALU_DEP_1) | instskip(SKIP_2) | instid1(VALU_DEP_3)
	v_add_co_ci_u32_e64 v6, null, s19, 0, s18
	s_mul_i32 s17, s3, 0x548
	s_waitcnt lgkmcnt(0)
	v_add_co_u32 v3, vcc_lo, s22, v3
	v_add_co_ci_u32_e32 v4, vcc_lo, s23, v4, vcc_lo
	v_sub_co_u32 v5, vcc_lo, v1, s16
	v_subrev_co_ci_u32_e32 v6, vcc_lo, 0, v6, vcc_lo
	v_lshlrev_b32_e32 v1, 1, v0
	s_add_i32 s13, s13, s17
	s_mul_i32 s17, s2, 0x548
	s_delay_alu instid0(VALU_DEP_2) | instskip(SKIP_3) | instid1(VALU_DEP_1)
	v_lshlrev_b64 v[7:8], 3, v[5:6]
	s_add_u32 s6, s6, s17
	s_addc_u32 s7, s7, s13
	v_add_co_u32 v5, s6, s6, v1
	v_add_co_ci_u32_e64 v6, null, s7, 0, s6
	s_delay_alu instid0(VALU_DEP_3)
	v_add_co_u32 v7, vcc_lo, s4, v7
	v_add_co_ci_u32_e32 v8, vcc_lo, s5, v8, vcc_lo
	s_set_inst_prefetch_distance 0x1
	s_branch .LBB329_10
	.p2align	6
.LBB329_9:                              ;   in Loop: Header=BB329_10 Depth=1
	s_or_b32 exec_lo, exec_lo, s4
	s_add_u32 s2, s2, 1
	s_addc_u32 s3, s3, 0
	v_add_co_u32 v7, vcc_lo, v7, 8
	v_cmp_lt_i64_e64 s4, s[2:3], s[0:1]
	v_add_co_ci_u32_e32 v8, vcc_lo, 0, v8, vcc_lo
	s_delay_alu instid0(VALU_DEP_2)
	s_and_b32 vcc_lo, exec_lo, s4
	s_cbranch_vccz .LBB329_12
.LBB329_10:                             ; =>This Inner Loop Header: Depth=1
	v_add_co_u32 v11, s4, v10, s2
	s_delay_alu instid0(VALU_DEP_1) | instskip(SKIP_1) | instid1(VALU_DEP_1)
	v_add_co_ci_u32_e64 v12, null, 0, s3, s4
	s_mov_b32 s4, exec_lo
	v_cmpx_gt_i64_e64 s[0:1], v[11:12]
	s_cbranch_execz .LBB329_9
; %bb.11:                               ;   in Loop: Header=BB329_10 Depth=1
	global_load_b64 v[11:12], v[7:8], off
	s_waitcnt vmcnt(0)
	v_sub_co_u32 v1, vcc_lo, v11, s16
	v_subrev_co_ci_u32_e32 v14, vcc_lo, 0, v12, vcc_lo
	s_delay_alu instid0(VALU_DEP_2) | instskip(NEXT) | instid1(VALU_DEP_1)
	v_mad_u64_u32 v[11:12], null, v1, 52, v[3:4]
	v_mov_b32_e32 v1, v12
	s_delay_alu instid0(VALU_DEP_1)
	v_mad_u64_u32 v[12:13], null, v14, 52, v[1:2]
	global_load_u16 v1, v[5:6], off
	global_load_u16 v11, v[11:12], off
	v_add_co_u32 v5, vcc_lo, 0x548, v5
	v_add_co_ci_u32_e32 v6, vcc_lo, 0, v6, vcc_lo
	s_waitcnt vmcnt(0)
	v_fma_mix_f32 v2, v1, v11, v2 op_sel_hi:[1,1,0]
	s_branch .LBB329_9
.LBB329_12:
	s_set_inst_prefetch_distance 0x2
	v_lshlrev_b32_e32 v1, 2, v0
	s_and_b32 vcc_lo, exec_lo, s9
	ds_store_b32 v1, v2
	s_waitcnt lgkmcnt(0)
	s_barrier
	buffer_gl0_inv
	s_cbranch_vccz .LBB329_24
; %bb.13:
	s_mov_b32 s0, exec_lo
	v_cmpx_gt_u16_e32 10, v9
	s_cbranch_execz .LBB329_15
; %bb.14:
	ds_load_2addr_b32 v[3:4], v1 offset1:16
	s_waitcnt lgkmcnt(0)
	v_add_f32_e32 v3, v4, v3
	ds_store_b32 v1, v3
.LBB329_15:
	s_or_b32 exec_lo, exec_lo, s0
	s_delay_alu instid0(SALU_CYCLE_1)
	s_mov_b32 s0, exec_lo
	s_waitcnt lgkmcnt(0)
	s_barrier
	buffer_gl0_inv
	v_cmpx_gt_u16_e32 8, v9
	s_cbranch_execz .LBB329_17
; %bb.16:
	ds_load_2addr_b32 v[3:4], v1 offset1:8
	s_waitcnt lgkmcnt(0)
	v_add_f32_e32 v3, v4, v3
	ds_store_b32 v1, v3
.LBB329_17:
	s_or_b32 exec_lo, exec_lo, s0
	s_delay_alu instid0(SALU_CYCLE_1)
	s_mov_b32 s0, exec_lo
	s_waitcnt lgkmcnt(0)
	s_barrier
	buffer_gl0_inv
	v_cmpx_gt_u16_e32 4, v9
	s_cbranch_execz .LBB329_19
; %bb.18:
	ds_load_2addr_b32 v[3:4], v1 offset1:4
	s_waitcnt lgkmcnt(0)
	v_add_f32_e32 v3, v4, v3
	ds_store_b32 v1, v3
.LBB329_19:
	s_or_b32 exec_lo, exec_lo, s0
	s_delay_alu instid0(SALU_CYCLE_1)
	s_mov_b32 s0, exec_lo
	s_waitcnt lgkmcnt(0)
	s_barrier
	buffer_gl0_inv
	v_cmpx_gt_u16_e32 2, v9
	s_cbranch_execz .LBB329_21
; %bb.20:
	ds_load_2addr_b32 v[3:4], v1 offset1:2
	s_waitcnt lgkmcnt(0)
	v_add_f32_e32 v3, v4, v3
	ds_store_b32 v1, v3
.LBB329_21:
	s_or_b32 exec_lo, exec_lo, s0
	s_mov_b32 s1, 0
	s_mov_b32 s0, 0
	s_mov_b32 s2, exec_lo
	s_waitcnt lgkmcnt(0)
	s_barrier
	buffer_gl0_inv
                                        ; implicit-def: $vgpr3
                                        ; implicit-def: $vgpr4
	v_cmpx_gt_u32_e32 26, v0
	s_xor_b32 s2, exec_lo, s2
; %bb.22:
	v_mul_u32_u24_e32 v3, 26, v0
	v_mad_u32_u24 v4, 0x64, v0, v1
	s_mov_b32 s0, exec_lo
	s_delay_alu instid0(VALU_DEP_2)
	v_or_b32_e32 v3, 1, v3
; %bb.23:
	s_or_b32 exec_lo, exec_lo, s2
	s_delay_alu instid0(SALU_CYCLE_1)
	s_and_b32 vcc_lo, exec_lo, s1
	s_cbranch_vccnz .LBB329_25
	s_branch .LBB329_36
.LBB329_24:
	s_mov_b32 s0, 0
                                        ; implicit-def: $vgpr3
                                        ; implicit-def: $vgpr4
	s_cbranch_execz .LBB329_36
.LBB329_25:
	s_mov_b32 s1, exec_lo
	v_cmpx_gt_u32_e32 0x104, v0
	s_cbranch_execz .LBB329_27
; %bb.26:
	ds_load_b32 v3, v1 offset:1664
	ds_load_b32 v4, v1
	s_waitcnt lgkmcnt(0)
	v_add_f32_e32 v3, v3, v4
	ds_store_b32 v1, v3
.LBB329_27:
	s_or_b32 exec_lo, exec_lo, s1
	s_delay_alu instid0(SALU_CYCLE_1)
	s_mov_b32 s1, exec_lo
	s_waitcnt lgkmcnt(0)
	s_barrier
	buffer_gl0_inv
	v_cmpx_gt_u32_e32 0xd0, v0
	s_cbranch_execz .LBB329_29
; %bb.28:
	ds_load_2addr_b32 v[3:4], v1 offset1:208
	s_waitcnt lgkmcnt(0)
	v_add_f32_e32 v3, v4, v3
	ds_store_b32 v1, v3
.LBB329_29:
	s_or_b32 exec_lo, exec_lo, s1
	s_delay_alu instid0(SALU_CYCLE_1)
	s_mov_b32 s1, exec_lo
	s_waitcnt lgkmcnt(0)
	s_barrier
	buffer_gl0_inv
	v_cmpx_gt_u32_e32 0x68, v0
	s_cbranch_execz .LBB329_31
; %bb.30:
	ds_load_2addr_b32 v[3:4], v1 offset1:104
	s_waitcnt lgkmcnt(0)
	v_add_f32_e32 v3, v4, v3
	ds_store_b32 v1, v3
.LBB329_31:
	;; [unrolled: 14-line block ×3, first 2 shown]
	s_or_b32 exec_lo, exec_lo, s1
	s_delay_alu instid0(SALU_CYCLE_1)
	s_mov_b32 s1, exec_lo
	s_waitcnt lgkmcnt(0)
	buffer_gl0_inv
                                        ; implicit-def: $vgpr3
	v_cmpx_gt_u32_e32 26, v0
; %bb.34:
	v_add_nc_u32_e32 v3, 26, v0
	s_or_b32 s0, s0, exec_lo
                                        ; implicit-def: $vgpr2
; %bb.35:
	s_or_b32 exec_lo, exec_lo, s1
	v_mov_b32_e32 v4, v1
.LBB329_36:
	s_and_saveexec_b32 s1, s0
	s_cbranch_execz .LBB329_38
; %bb.37:
	v_lshlrev_b32_e32 v1, 2, v3
	ds_load_b32 v2, v4
	ds_load_b32 v1, v1
	s_waitcnt lgkmcnt(0)
	v_add_f32_e32 v2, v2, v1
.LBB329_38:
	s_or_b32 exec_lo, exec_lo, s1
	s_delay_alu instid0(SALU_CYCLE_1)
	s_mov_b32 s0, exec_lo
	v_cmpx_gt_u32_e32 26, v0
	s_cbranch_execz .LBB329_42
; %bb.39:
	v_cmp_eq_f32_e64 s1, s8, 0
	v_mul_f32_e32 v1, s12, v2
	s_mov_b32 s3, 0
	s_mul_i32 s0, s11, 0x68
	s_mul_i32 s2, s10, 0x68
	s_and_b32 vcc_lo, exec_lo, s1
	s_mul_hi_u32 s1, s10, 0x68
	s_cbranch_vccz .LBB329_43
; %bb.40:
	v_lshlrev_b32_e32 v2, 2, v0
	s_add_i32 s5, s1, s0
	s_add_u32 s4, s14, s2
	s_addc_u32 s5, s15, s5
	global_store_b32 v2, v1, s[4:5]
	s_and_not1_b32 vcc_lo, exec_lo, s3
	s_cbranch_vccnz .LBB329_42
.LBB329_41:
	v_lshlrev_b32_e32 v0, 2, v0
	s_add_i32 s1, s1, s0
	s_add_u32 s0, s14, s2
	s_addc_u32 s1, s15, s1
	global_load_b32 v2, v0, s[0:1]
	s_waitcnt vmcnt(0)
	v_fmac_f32_e32 v1, s8, v2
	global_store_b32 v0, v1, s[0:1]
.LBB329_42:
	s_nop 0
	s_sendmsg sendmsg(MSG_DEALLOC_VGPRS)
	s_endpgm
.LBB329_43:
	s_branch .LBB329_41
	.section	.rodata,"a",@progbits
	.p2align	6, 0x0
	.amdhsa_kernel _ZN9rocsparseL20bsrxmvn_17_32_kernelILj26EfllDF16_DF16_fEEvT2_20rocsparse_direction_NS_24const_host_device_scalarIT0_EES1_PKS1_PKT1_SA_S7_PKT3_PKT4_S5_PT5_21rocsparse_index_base_b
		.amdhsa_group_segment_fixed_size 2704
		.amdhsa_private_segment_fixed_size 0
		.amdhsa_kernarg_size 104
		.amdhsa_user_sgpr_count 15
		.amdhsa_user_sgpr_dispatch_ptr 0
		.amdhsa_user_sgpr_queue_ptr 0
		.amdhsa_user_sgpr_kernarg_segment_ptr 1
		.amdhsa_user_sgpr_dispatch_id 0
		.amdhsa_user_sgpr_private_segment_size 0
		.amdhsa_wavefront_size32 1
		.amdhsa_uses_dynamic_stack 0
		.amdhsa_enable_private_segment 0
		.amdhsa_system_sgpr_workgroup_id_x 1
		.amdhsa_system_sgpr_workgroup_id_y 0
		.amdhsa_system_sgpr_workgroup_id_z 0
		.amdhsa_system_sgpr_workgroup_info 0
		.amdhsa_system_vgpr_workitem_id 0
		.amdhsa_next_free_vgpr 15
		.amdhsa_next_free_sgpr 24
		.amdhsa_reserve_vcc 1
		.amdhsa_float_round_mode_32 0
		.amdhsa_float_round_mode_16_64 0
		.amdhsa_float_denorm_mode_32 3
		.amdhsa_float_denorm_mode_16_64 3
		.amdhsa_dx10_clamp 1
		.amdhsa_ieee_mode 1
		.amdhsa_fp16_overflow 0
		.amdhsa_workgroup_processor_mode 1
		.amdhsa_memory_ordered 1
		.amdhsa_forward_progress 0
		.amdhsa_shared_vgpr_count 0
		.amdhsa_exception_fp_ieee_invalid_op 0
		.amdhsa_exception_fp_denorm_src 0
		.amdhsa_exception_fp_ieee_div_zero 0
		.amdhsa_exception_fp_ieee_overflow 0
		.amdhsa_exception_fp_ieee_underflow 0
		.amdhsa_exception_fp_ieee_inexact 0
		.amdhsa_exception_int_div_zero 0
	.end_amdhsa_kernel
	.section	.text._ZN9rocsparseL20bsrxmvn_17_32_kernelILj26EfllDF16_DF16_fEEvT2_20rocsparse_direction_NS_24const_host_device_scalarIT0_EES1_PKS1_PKT1_SA_S7_PKT3_PKT4_S5_PT5_21rocsparse_index_base_b,"axG",@progbits,_ZN9rocsparseL20bsrxmvn_17_32_kernelILj26EfllDF16_DF16_fEEvT2_20rocsparse_direction_NS_24const_host_device_scalarIT0_EES1_PKS1_PKT1_SA_S7_PKT3_PKT4_S5_PT5_21rocsparse_index_base_b,comdat
.Lfunc_end329:
	.size	_ZN9rocsparseL20bsrxmvn_17_32_kernelILj26EfllDF16_DF16_fEEvT2_20rocsparse_direction_NS_24const_host_device_scalarIT0_EES1_PKS1_PKT1_SA_S7_PKT3_PKT4_S5_PT5_21rocsparse_index_base_b, .Lfunc_end329-_ZN9rocsparseL20bsrxmvn_17_32_kernelILj26EfllDF16_DF16_fEEvT2_20rocsparse_direction_NS_24const_host_device_scalarIT0_EES1_PKS1_PKT1_SA_S7_PKT3_PKT4_S5_PT5_21rocsparse_index_base_b
                                        ; -- End function
	.section	.AMDGPU.csdata,"",@progbits
; Kernel info:
; codeLenInByte = 1604
; NumSgprs: 26
; NumVgprs: 15
; ScratchSize: 0
; MemoryBound: 0
; FloatMode: 240
; IeeeMode: 1
; LDSByteSize: 2704 bytes/workgroup (compile time only)
; SGPRBlocks: 3
; VGPRBlocks: 1
; NumSGPRsForWavesPerEU: 26
; NumVGPRsForWavesPerEU: 15
; Occupancy: 11
; WaveLimiterHint : 1
; COMPUTE_PGM_RSRC2:SCRATCH_EN: 0
; COMPUTE_PGM_RSRC2:USER_SGPR: 15
; COMPUTE_PGM_RSRC2:TRAP_HANDLER: 0
; COMPUTE_PGM_RSRC2:TGID_X_EN: 1
; COMPUTE_PGM_RSRC2:TGID_Y_EN: 0
; COMPUTE_PGM_RSRC2:TGID_Z_EN: 0
; COMPUTE_PGM_RSRC2:TIDIG_COMP_CNT: 0
	.section	.text._ZN9rocsparseL20bsrxmvn_17_32_kernelILj27EfllDF16_DF16_fEEvT2_20rocsparse_direction_NS_24const_host_device_scalarIT0_EES1_PKS1_PKT1_SA_S7_PKT3_PKT4_S5_PT5_21rocsparse_index_base_b,"axG",@progbits,_ZN9rocsparseL20bsrxmvn_17_32_kernelILj27EfllDF16_DF16_fEEvT2_20rocsparse_direction_NS_24const_host_device_scalarIT0_EES1_PKS1_PKT1_SA_S7_PKT3_PKT4_S5_PT5_21rocsparse_index_base_b,comdat
	.globl	_ZN9rocsparseL20bsrxmvn_17_32_kernelILj27EfllDF16_DF16_fEEvT2_20rocsparse_direction_NS_24const_host_device_scalarIT0_EES1_PKS1_PKT1_SA_S7_PKT3_PKT4_S5_PT5_21rocsparse_index_base_b ; -- Begin function _ZN9rocsparseL20bsrxmvn_17_32_kernelILj27EfllDF16_DF16_fEEvT2_20rocsparse_direction_NS_24const_host_device_scalarIT0_EES1_PKS1_PKT1_SA_S7_PKT3_PKT4_S5_PT5_21rocsparse_index_base_b
	.p2align	8
	.type	_ZN9rocsparseL20bsrxmvn_17_32_kernelILj27EfllDF16_DF16_fEEvT2_20rocsparse_direction_NS_24const_host_device_scalarIT0_EES1_PKS1_PKT1_SA_S7_PKT3_PKT4_S5_PT5_21rocsparse_index_base_b,@function
_ZN9rocsparseL20bsrxmvn_17_32_kernelILj27EfllDF16_DF16_fEEvT2_20rocsparse_direction_NS_24const_host_device_scalarIT0_EES1_PKS1_PKT1_SA_S7_PKT3_PKT4_S5_PT5_21rocsparse_index_base_b: ; @_ZN9rocsparseL20bsrxmvn_17_32_kernelILj27EfllDF16_DF16_fEEvT2_20rocsparse_direction_NS_24const_host_device_scalarIT0_EES1_PKS1_PKT1_SA_S7_PKT3_PKT4_S5_PT5_21rocsparse_index_base_b
; %bb.0:
	s_clause 0x2
	s_load_b64 s[16:17], s[0:1], 0x60
	s_load_b64 s[12:13], s[0:1], 0x10
	;; [unrolled: 1-line block ×3, first 2 shown]
	s_mov_b32 s10, s15
	s_waitcnt lgkmcnt(0)
	s_bitcmp1_b32 s17, 0
	s_cselect_b32 s2, -1, 0
	s_delay_alu instid0(SALU_CYCLE_1)
	s_and_b32 vcc_lo, exec_lo, s2
	s_xor_b32 s2, s2, -1
	s_cbranch_vccnz .LBB330_2
; %bb.1:
	s_load_b32 s12, s[12:13], 0x0
.LBB330_2:
	s_and_not1_b32 vcc_lo, exec_lo, s2
	s_cbranch_vccnz .LBB330_4
; %bb.3:
	s_load_b32 s8, s[8:9], 0x0
.LBB330_4:
	s_waitcnt lgkmcnt(0)
	v_cmp_neq_f32_e64 s2, s12, 0
	v_cmp_neq_f32_e64 s3, s8, 1.0
	s_mov_b32 s11, 0
	s_delay_alu instid0(VALU_DEP_1) | instskip(NEXT) | instid1(SALU_CYCLE_1)
	s_or_b32 s2, s2, s3
	s_and_not1_b32 vcc_lo, exec_lo, s2
	s_cbranch_vccnz .LBB330_42
; %bb.5:
	s_clause 0x1
	s_load_b128 s[4:7], s[0:1], 0x20
	s_load_b64 s[14:15], s[0:1], 0x30
	s_waitcnt lgkmcnt(0)
	s_cmp_eq_u64 s[4:5], 0
	s_cbranch_scc1 .LBB330_7
; %bb.6:
	s_lshl_b64 s[2:3], s[10:11], 3
	s_delay_alu instid0(SALU_CYCLE_1)
	s_add_u32 s2, s4, s2
	s_addc_u32 s3, s5, s3
	s_load_b64 s[2:3], s[2:3], 0x0
	s_waitcnt lgkmcnt(0)
	s_sub_u32 s10, s2, s16
	s_subb_u32 s11, s3, 0
.LBB330_7:
	s_load_b32 s3, s[0:1], 0x8
	v_mul_u32_u24_e32 v1, 0x97c, v0
	s_delay_alu instid0(VALU_DEP_1) | instskip(NEXT) | instid1(VALU_DEP_1)
	v_lshrrev_b32_e32 v1, 16, v1
	v_mul_lo_u16 v2, v1, 27
	s_delay_alu instid0(VALU_DEP_1)
	v_sub_nc_u16 v9, v0, v2
	v_mov_b32_e32 v2, 0
	s_waitcnt lgkmcnt(0)
	s_cmp_eq_u32 s3, 1
	s_cselect_b32 s2, -1, 0
	s_cmp_lg_u32 s3, 1
	s_cselect_b32 s9, -1, 0
	s_lshl_b64 s[4:5], s[10:11], 3
	s_delay_alu instid0(SALU_CYCLE_1)
	s_add_u32 s6, s6, s4
	s_addc_u32 s7, s7, s5
	s_add_u32 s3, s6, 8
	s_addc_u32 s13, s7, 0
	;; [unrolled: 2-line block ×3, first 2 shown]
	s_cmp_eq_u64 s[14:15], 0
	s_load_b64 s[14:15], s[0:1], 0x58
	s_cselect_b32 s5, s13, s5
	s_cselect_b32 s4, s3, s4
	s_load_b64 s[18:19], s[6:7], 0x0
	s_load_b64 s[20:21], s[4:5], 0x0
	s_waitcnt lgkmcnt(0)
	v_cmp_ge_i64_e64 s3, s[18:19], s[20:21]
	s_delay_alu instid0(VALU_DEP_1)
	s_and_b32 vcc_lo, exec_lo, s3
	s_cbranch_vccnz .LBB330_12
; %bb.8:
	v_dual_mov_b32 v2, 0 :: v_dual_and_b32 v1, 0xffff, v1
	v_cmp_gt_u32_e32 vcc_lo, 0x2d9, v0
	s_clause 0x1
	s_load_b128 s[4:7], s[0:1], 0x38
	s_load_b64 s[22:23], s[0:1], 0x48
	v_and_b32_e32 v4, 0xffff, v9
	v_subrev_nc_u32_e32 v3, 27, v1
	s_sub_u32 s0, s20, s16
	s_subb_u32 s1, s21, 0
	s_delay_alu instid0(VALU_DEP_1) | instskip(SKIP_1) | instid1(VALU_DEP_2)
	v_cndmask_b32_e32 v1, v3, v1, vcc_lo
	v_cmp_lt_u32_e32 vcc_lo, 0x2d8, v0
	v_cndmask_b32_e64 v1, v4, v1, s2
	v_cndmask_b32_e64 v10, 0, 1, vcc_lo
	s_sub_u32 s2, s18, s16
	s_subb_u32 s3, s19, 0
	s_mul_hi_u32 s13, s2, 0x5b2
	v_lshlrev_b64 v[3:4], 1, v[1:2]
	v_add_co_u32 v1, s18, s18, v10
	s_delay_alu instid0(VALU_DEP_1) | instskip(SKIP_2) | instid1(VALU_DEP_3)
	v_add_co_ci_u32_e64 v6, null, s19, 0, s18
	s_mul_i32 s17, s3, 0x5b2
	s_waitcnt lgkmcnt(0)
	v_add_co_u32 v3, vcc_lo, s22, v3
	v_add_co_ci_u32_e32 v4, vcc_lo, s23, v4, vcc_lo
	v_sub_co_u32 v5, vcc_lo, v1, s16
	v_subrev_co_ci_u32_e32 v6, vcc_lo, 0, v6, vcc_lo
	v_lshlrev_b32_e32 v1, 1, v0
	s_add_i32 s13, s13, s17
	s_mul_i32 s17, s2, 0x5b2
	s_delay_alu instid0(VALU_DEP_2) | instskip(SKIP_3) | instid1(VALU_DEP_1)
	v_lshlrev_b64 v[7:8], 3, v[5:6]
	s_add_u32 s6, s6, s17
	s_addc_u32 s7, s7, s13
	v_add_co_u32 v5, s6, s6, v1
	v_add_co_ci_u32_e64 v6, null, s7, 0, s6
	s_delay_alu instid0(VALU_DEP_3)
	v_add_co_u32 v7, vcc_lo, s4, v7
	v_add_co_ci_u32_e32 v8, vcc_lo, s5, v8, vcc_lo
	s_set_inst_prefetch_distance 0x1
	s_branch .LBB330_10
	.p2align	6
.LBB330_9:                              ;   in Loop: Header=BB330_10 Depth=1
	s_or_b32 exec_lo, exec_lo, s4
	s_add_u32 s2, s2, 1
	s_addc_u32 s3, s3, 0
	v_add_co_u32 v7, vcc_lo, v7, 8
	v_cmp_lt_i64_e64 s4, s[2:3], s[0:1]
	v_add_co_ci_u32_e32 v8, vcc_lo, 0, v8, vcc_lo
	s_delay_alu instid0(VALU_DEP_2)
	s_and_b32 vcc_lo, exec_lo, s4
	s_cbranch_vccz .LBB330_12
.LBB330_10:                             ; =>This Inner Loop Header: Depth=1
	v_add_co_u32 v11, s4, v10, s2
	s_delay_alu instid0(VALU_DEP_1) | instskip(SKIP_1) | instid1(VALU_DEP_1)
	v_add_co_ci_u32_e64 v12, null, 0, s3, s4
	s_mov_b32 s4, exec_lo
	v_cmpx_gt_i64_e64 s[0:1], v[11:12]
	s_cbranch_execz .LBB330_9
; %bb.11:                               ;   in Loop: Header=BB330_10 Depth=1
	global_load_b64 v[11:12], v[7:8], off
	s_waitcnt vmcnt(0)
	v_sub_co_u32 v1, vcc_lo, v11, s16
	v_subrev_co_ci_u32_e32 v14, vcc_lo, 0, v12, vcc_lo
	s_delay_alu instid0(VALU_DEP_2) | instskip(NEXT) | instid1(VALU_DEP_1)
	v_mad_u64_u32 v[11:12], null, v1, 54, v[3:4]
	v_mov_b32_e32 v1, v12
	s_delay_alu instid0(VALU_DEP_1)
	v_mad_u64_u32 v[12:13], null, v14, 54, v[1:2]
	global_load_u16 v1, v[5:6], off
	global_load_u16 v11, v[11:12], off
	v_add_co_u32 v5, vcc_lo, 0x5b2, v5
	v_add_co_ci_u32_e32 v6, vcc_lo, 0, v6, vcc_lo
	s_waitcnt vmcnt(0)
	v_fma_mix_f32 v2, v1, v11, v2 op_sel_hi:[1,1,0]
	s_branch .LBB330_9
.LBB330_12:
	s_set_inst_prefetch_distance 0x2
	v_lshlrev_b32_e32 v1, 2, v0
	s_and_b32 vcc_lo, exec_lo, s9
	ds_store_b32 v1, v2
	s_waitcnt lgkmcnt(0)
	s_barrier
	buffer_gl0_inv
	s_cbranch_vccz .LBB330_24
; %bb.13:
	s_mov_b32 s0, exec_lo
	v_cmpx_gt_u16_e32 11, v9
	s_cbranch_execz .LBB330_15
; %bb.14:
	ds_load_2addr_b32 v[3:4], v1 offset1:16
	s_waitcnt lgkmcnt(0)
	v_add_f32_e32 v3, v4, v3
	ds_store_b32 v1, v3
.LBB330_15:
	s_or_b32 exec_lo, exec_lo, s0
	s_delay_alu instid0(SALU_CYCLE_1)
	s_mov_b32 s0, exec_lo
	s_waitcnt lgkmcnt(0)
	s_barrier
	buffer_gl0_inv
	v_cmpx_gt_u16_e32 8, v9
	s_cbranch_execz .LBB330_17
; %bb.16:
	ds_load_2addr_b32 v[3:4], v1 offset1:8
	s_waitcnt lgkmcnt(0)
	v_add_f32_e32 v3, v4, v3
	ds_store_b32 v1, v3
.LBB330_17:
	s_or_b32 exec_lo, exec_lo, s0
	s_delay_alu instid0(SALU_CYCLE_1)
	s_mov_b32 s0, exec_lo
	s_waitcnt lgkmcnt(0)
	s_barrier
	buffer_gl0_inv
	;; [unrolled: 14-line block ×3, first 2 shown]
	v_cmpx_gt_u16_e32 2, v9
	s_cbranch_execz .LBB330_21
; %bb.20:
	ds_load_2addr_b32 v[3:4], v1 offset1:2
	s_waitcnt lgkmcnt(0)
	v_add_f32_e32 v3, v4, v3
	ds_store_b32 v1, v3
.LBB330_21:
	s_or_b32 exec_lo, exec_lo, s0
	s_mov_b32 s1, 0
	s_mov_b32 s0, 0
	s_mov_b32 s2, exec_lo
	s_waitcnt lgkmcnt(0)
	s_barrier
	buffer_gl0_inv
                                        ; implicit-def: $vgpr3
                                        ; implicit-def: $vgpr4
	v_cmpx_gt_u32_e32 27, v0
	s_xor_b32 s2, exec_lo, s2
; %bb.22:
	v_mad_u32_u24 v3, v0, 27, 1
	v_mad_u32_u24 v4, 0x68, v0, v1
	s_mov_b32 s0, exec_lo
; %bb.23:
	s_or_b32 exec_lo, exec_lo, s2
	s_delay_alu instid0(SALU_CYCLE_1)
	s_and_b32 vcc_lo, exec_lo, s1
	s_cbranch_vccnz .LBB330_25
	s_branch .LBB330_36
.LBB330_24:
	s_mov_b32 s0, 0
                                        ; implicit-def: $vgpr3
                                        ; implicit-def: $vgpr4
	s_cbranch_execz .LBB330_36
.LBB330_25:
	s_mov_b32 s1, exec_lo
	v_cmpx_gt_u32_e32 0x129, v0
	s_cbranch_execz .LBB330_27
; %bb.26:
	ds_load_b32 v3, v1 offset:1728
	ds_load_b32 v4, v1
	s_waitcnt lgkmcnt(0)
	v_add_f32_e32 v3, v3, v4
	ds_store_b32 v1, v3
.LBB330_27:
	s_or_b32 exec_lo, exec_lo, s1
	s_delay_alu instid0(SALU_CYCLE_1)
	s_mov_b32 s1, exec_lo
	s_waitcnt lgkmcnt(0)
	s_barrier
	buffer_gl0_inv
	v_cmpx_gt_u32_e32 0xd8, v0
	s_cbranch_execz .LBB330_29
; %bb.28:
	ds_load_2addr_b32 v[3:4], v1 offset1:216
	s_waitcnt lgkmcnt(0)
	v_add_f32_e32 v3, v4, v3
	ds_store_b32 v1, v3
.LBB330_29:
	s_or_b32 exec_lo, exec_lo, s1
	s_delay_alu instid0(SALU_CYCLE_1)
	s_mov_b32 s1, exec_lo
	s_waitcnt lgkmcnt(0)
	s_barrier
	buffer_gl0_inv
	v_cmpx_gt_u32_e32 0x6c, v0
	s_cbranch_execz .LBB330_31
; %bb.30:
	ds_load_2addr_b32 v[3:4], v1 offset1:108
	s_waitcnt lgkmcnt(0)
	v_add_f32_e32 v3, v4, v3
	ds_store_b32 v1, v3
.LBB330_31:
	;; [unrolled: 14-line block ×3, first 2 shown]
	s_or_b32 exec_lo, exec_lo, s1
	s_delay_alu instid0(SALU_CYCLE_1)
	s_mov_b32 s1, exec_lo
	s_waitcnt lgkmcnt(0)
	buffer_gl0_inv
                                        ; implicit-def: $vgpr3
	v_cmpx_gt_u32_e32 27, v0
; %bb.34:
	v_add_nc_u32_e32 v3, 27, v0
	s_or_b32 s0, s0, exec_lo
                                        ; implicit-def: $vgpr2
; %bb.35:
	s_or_b32 exec_lo, exec_lo, s1
	v_mov_b32_e32 v4, v1
.LBB330_36:
	s_and_saveexec_b32 s1, s0
	s_cbranch_execz .LBB330_38
; %bb.37:
	v_lshlrev_b32_e32 v1, 2, v3
	ds_load_b32 v2, v4
	ds_load_b32 v1, v1
	s_waitcnt lgkmcnt(0)
	v_add_f32_e32 v2, v2, v1
.LBB330_38:
	s_or_b32 exec_lo, exec_lo, s1
	s_delay_alu instid0(SALU_CYCLE_1)
	s_mov_b32 s0, exec_lo
	v_cmpx_gt_u32_e32 27, v0
	s_cbranch_execz .LBB330_42
; %bb.39:
	v_cmp_eq_f32_e64 s1, s8, 0
	v_mul_f32_e32 v1, s12, v2
	s_mov_b32 s3, 0
	s_mul_i32 s0, s11, 0x6c
	s_mul_i32 s2, s10, 0x6c
	s_and_b32 vcc_lo, exec_lo, s1
	s_mul_hi_u32 s1, s10, 0x6c
	s_cbranch_vccz .LBB330_43
; %bb.40:
	v_lshlrev_b32_e32 v2, 2, v0
	s_add_i32 s5, s1, s0
	s_add_u32 s4, s14, s2
	s_addc_u32 s5, s15, s5
	global_store_b32 v2, v1, s[4:5]
	s_and_not1_b32 vcc_lo, exec_lo, s3
	s_cbranch_vccnz .LBB330_42
.LBB330_41:
	v_lshlrev_b32_e32 v0, 2, v0
	s_add_i32 s1, s1, s0
	s_add_u32 s0, s14, s2
	s_addc_u32 s1, s15, s1
	global_load_b32 v2, v0, s[0:1]
	s_waitcnt vmcnt(0)
	v_fmac_f32_e32 v1, s8, v2
	global_store_b32 v0, v1, s[0:1]
.LBB330_42:
	s_nop 0
	s_sendmsg sendmsg(MSG_DEALLOC_VGPRS)
	s_endpgm
.LBB330_43:
	s_branch .LBB330_41
	.section	.rodata,"a",@progbits
	.p2align	6, 0x0
	.amdhsa_kernel _ZN9rocsparseL20bsrxmvn_17_32_kernelILj27EfllDF16_DF16_fEEvT2_20rocsparse_direction_NS_24const_host_device_scalarIT0_EES1_PKS1_PKT1_SA_S7_PKT3_PKT4_S5_PT5_21rocsparse_index_base_b
		.amdhsa_group_segment_fixed_size 2916
		.amdhsa_private_segment_fixed_size 0
		.amdhsa_kernarg_size 104
		.amdhsa_user_sgpr_count 15
		.amdhsa_user_sgpr_dispatch_ptr 0
		.amdhsa_user_sgpr_queue_ptr 0
		.amdhsa_user_sgpr_kernarg_segment_ptr 1
		.amdhsa_user_sgpr_dispatch_id 0
		.amdhsa_user_sgpr_private_segment_size 0
		.amdhsa_wavefront_size32 1
		.amdhsa_uses_dynamic_stack 0
		.amdhsa_enable_private_segment 0
		.amdhsa_system_sgpr_workgroup_id_x 1
		.amdhsa_system_sgpr_workgroup_id_y 0
		.amdhsa_system_sgpr_workgroup_id_z 0
		.amdhsa_system_sgpr_workgroup_info 0
		.amdhsa_system_vgpr_workitem_id 0
		.amdhsa_next_free_vgpr 15
		.amdhsa_next_free_sgpr 24
		.amdhsa_reserve_vcc 1
		.amdhsa_float_round_mode_32 0
		.amdhsa_float_round_mode_16_64 0
		.amdhsa_float_denorm_mode_32 3
		.amdhsa_float_denorm_mode_16_64 3
		.amdhsa_dx10_clamp 1
		.amdhsa_ieee_mode 1
		.amdhsa_fp16_overflow 0
		.amdhsa_workgroup_processor_mode 1
		.amdhsa_memory_ordered 1
		.amdhsa_forward_progress 0
		.amdhsa_shared_vgpr_count 0
		.amdhsa_exception_fp_ieee_invalid_op 0
		.amdhsa_exception_fp_denorm_src 0
		.amdhsa_exception_fp_ieee_div_zero 0
		.amdhsa_exception_fp_ieee_overflow 0
		.amdhsa_exception_fp_ieee_underflow 0
		.amdhsa_exception_fp_ieee_inexact 0
		.amdhsa_exception_int_div_zero 0
	.end_amdhsa_kernel
	.section	.text._ZN9rocsparseL20bsrxmvn_17_32_kernelILj27EfllDF16_DF16_fEEvT2_20rocsparse_direction_NS_24const_host_device_scalarIT0_EES1_PKS1_PKT1_SA_S7_PKT3_PKT4_S5_PT5_21rocsparse_index_base_b,"axG",@progbits,_ZN9rocsparseL20bsrxmvn_17_32_kernelILj27EfllDF16_DF16_fEEvT2_20rocsparse_direction_NS_24const_host_device_scalarIT0_EES1_PKS1_PKT1_SA_S7_PKT3_PKT4_S5_PT5_21rocsparse_index_base_b,comdat
.Lfunc_end330:
	.size	_ZN9rocsparseL20bsrxmvn_17_32_kernelILj27EfllDF16_DF16_fEEvT2_20rocsparse_direction_NS_24const_host_device_scalarIT0_EES1_PKS1_PKT1_SA_S7_PKT3_PKT4_S5_PT5_21rocsparse_index_base_b, .Lfunc_end330-_ZN9rocsparseL20bsrxmvn_17_32_kernelILj27EfllDF16_DF16_fEEvT2_20rocsparse_direction_NS_24const_host_device_scalarIT0_EES1_PKS1_PKT1_SA_S7_PKT3_PKT4_S5_PT5_21rocsparse_index_base_b
                                        ; -- End function
	.section	.AMDGPU.csdata,"",@progbits
; Kernel info:
; codeLenInByte = 1600
; NumSgprs: 26
; NumVgprs: 15
; ScratchSize: 0
; MemoryBound: 0
; FloatMode: 240
; IeeeMode: 1
; LDSByteSize: 2916 bytes/workgroup (compile time only)
; SGPRBlocks: 3
; VGPRBlocks: 1
; NumSGPRsForWavesPerEU: 26
; NumVGPRsForWavesPerEU: 15
; Occupancy: 12
; WaveLimiterHint : 1
; COMPUTE_PGM_RSRC2:SCRATCH_EN: 0
; COMPUTE_PGM_RSRC2:USER_SGPR: 15
; COMPUTE_PGM_RSRC2:TRAP_HANDLER: 0
; COMPUTE_PGM_RSRC2:TGID_X_EN: 1
; COMPUTE_PGM_RSRC2:TGID_Y_EN: 0
; COMPUTE_PGM_RSRC2:TGID_Z_EN: 0
; COMPUTE_PGM_RSRC2:TIDIG_COMP_CNT: 0
	.section	.text._ZN9rocsparseL20bsrxmvn_17_32_kernelILj28EfllDF16_DF16_fEEvT2_20rocsparse_direction_NS_24const_host_device_scalarIT0_EES1_PKS1_PKT1_SA_S7_PKT3_PKT4_S5_PT5_21rocsparse_index_base_b,"axG",@progbits,_ZN9rocsparseL20bsrxmvn_17_32_kernelILj28EfllDF16_DF16_fEEvT2_20rocsparse_direction_NS_24const_host_device_scalarIT0_EES1_PKS1_PKT1_SA_S7_PKT3_PKT4_S5_PT5_21rocsparse_index_base_b,comdat
	.globl	_ZN9rocsparseL20bsrxmvn_17_32_kernelILj28EfllDF16_DF16_fEEvT2_20rocsparse_direction_NS_24const_host_device_scalarIT0_EES1_PKS1_PKT1_SA_S7_PKT3_PKT4_S5_PT5_21rocsparse_index_base_b ; -- Begin function _ZN9rocsparseL20bsrxmvn_17_32_kernelILj28EfllDF16_DF16_fEEvT2_20rocsparse_direction_NS_24const_host_device_scalarIT0_EES1_PKS1_PKT1_SA_S7_PKT3_PKT4_S5_PT5_21rocsparse_index_base_b
	.p2align	8
	.type	_ZN9rocsparseL20bsrxmvn_17_32_kernelILj28EfllDF16_DF16_fEEvT2_20rocsparse_direction_NS_24const_host_device_scalarIT0_EES1_PKS1_PKT1_SA_S7_PKT3_PKT4_S5_PT5_21rocsparse_index_base_b,@function
_ZN9rocsparseL20bsrxmvn_17_32_kernelILj28EfllDF16_DF16_fEEvT2_20rocsparse_direction_NS_24const_host_device_scalarIT0_EES1_PKS1_PKT1_SA_S7_PKT3_PKT4_S5_PT5_21rocsparse_index_base_b: ; @_ZN9rocsparseL20bsrxmvn_17_32_kernelILj28EfllDF16_DF16_fEEvT2_20rocsparse_direction_NS_24const_host_device_scalarIT0_EES1_PKS1_PKT1_SA_S7_PKT3_PKT4_S5_PT5_21rocsparse_index_base_b
; %bb.0:
	s_clause 0x2
	s_load_b64 s[16:17], s[0:1], 0x60
	s_load_b64 s[12:13], s[0:1], 0x10
	;; [unrolled: 1-line block ×3, first 2 shown]
	s_mov_b32 s10, s15
	s_waitcnt lgkmcnt(0)
	s_bitcmp1_b32 s17, 0
	s_cselect_b32 s2, -1, 0
	s_delay_alu instid0(SALU_CYCLE_1)
	s_and_b32 vcc_lo, exec_lo, s2
	s_xor_b32 s2, s2, -1
	s_cbranch_vccnz .LBB331_2
; %bb.1:
	s_load_b32 s12, s[12:13], 0x0
.LBB331_2:
	s_and_not1_b32 vcc_lo, exec_lo, s2
	s_cbranch_vccnz .LBB331_4
; %bb.3:
	s_load_b32 s8, s[8:9], 0x0
.LBB331_4:
	s_waitcnt lgkmcnt(0)
	v_cmp_neq_f32_e64 s2, s12, 0
	v_cmp_neq_f32_e64 s3, s8, 1.0
	s_mov_b32 s11, 0
	s_delay_alu instid0(VALU_DEP_1) | instskip(NEXT) | instid1(SALU_CYCLE_1)
	s_or_b32 s2, s2, s3
	s_and_not1_b32 vcc_lo, exec_lo, s2
	s_cbranch_vccnz .LBB331_42
; %bb.5:
	s_clause 0x1
	s_load_b128 s[4:7], s[0:1], 0x20
	s_load_b64 s[14:15], s[0:1], 0x30
	s_waitcnt lgkmcnt(0)
	s_cmp_eq_u64 s[4:5], 0
	s_cbranch_scc1 .LBB331_7
; %bb.6:
	s_lshl_b64 s[2:3], s[10:11], 3
	s_delay_alu instid0(SALU_CYCLE_1)
	s_add_u32 s2, s4, s2
	s_addc_u32 s3, s5, s3
	s_load_b64 s[2:3], s[2:3], 0x0
	s_waitcnt lgkmcnt(0)
	s_sub_u32 s10, s2, s16
	s_subb_u32 s11, s3, 0
.LBB331_7:
	s_load_b32 s3, s[0:1], 0x8
	v_mul_u32_u24_e32 v1, 0x925, v0
	s_delay_alu instid0(VALU_DEP_1) | instskip(NEXT) | instid1(VALU_DEP_1)
	v_lshrrev_b32_e32 v1, 16, v1
	v_mul_lo_u16 v2, v1, 28
	s_delay_alu instid0(VALU_DEP_1)
	v_sub_nc_u16 v9, v0, v2
	v_mov_b32_e32 v2, 0
	s_waitcnt lgkmcnt(0)
	s_cmp_eq_u32 s3, 1
	s_cselect_b32 s2, -1, 0
	s_cmp_lg_u32 s3, 1
	s_cselect_b32 s9, -1, 0
	s_lshl_b64 s[4:5], s[10:11], 3
	s_delay_alu instid0(SALU_CYCLE_1)
	s_add_u32 s6, s6, s4
	s_addc_u32 s7, s7, s5
	s_add_u32 s3, s6, 8
	s_addc_u32 s13, s7, 0
	;; [unrolled: 2-line block ×3, first 2 shown]
	s_cmp_eq_u64 s[14:15], 0
	s_load_b64 s[14:15], s[0:1], 0x58
	s_cselect_b32 s5, s13, s5
	s_cselect_b32 s4, s3, s4
	s_load_b64 s[18:19], s[6:7], 0x0
	s_load_b64 s[20:21], s[4:5], 0x0
	s_waitcnt lgkmcnt(0)
	v_cmp_ge_i64_e64 s3, s[18:19], s[20:21]
	s_delay_alu instid0(VALU_DEP_1)
	s_and_b32 vcc_lo, exec_lo, s3
	s_cbranch_vccnz .LBB331_12
; %bb.8:
	v_dual_mov_b32 v2, 0 :: v_dual_and_b32 v1, 0xffff, v1
	v_cmp_gt_u32_e32 vcc_lo, 0x310, v0
	s_clause 0x1
	s_load_b128 s[4:7], s[0:1], 0x38
	s_load_b64 s[22:23], s[0:1], 0x48
	v_and_b32_e32 v4, 0xffff, v9
	v_subrev_nc_u32_e32 v3, 28, v1
	s_sub_u32 s0, s20, s16
	s_subb_u32 s1, s21, 0
	s_delay_alu instid0(VALU_DEP_1) | instskip(SKIP_1) | instid1(VALU_DEP_2)
	v_cndmask_b32_e32 v1, v3, v1, vcc_lo
	v_cmp_lt_u32_e32 vcc_lo, 0x30f, v0
	v_cndmask_b32_e64 v1, v4, v1, s2
	v_cndmask_b32_e64 v10, 0, 1, vcc_lo
	s_sub_u32 s2, s18, s16
	s_subb_u32 s3, s19, 0
	s_mul_hi_u32 s13, s2, 0x620
	v_lshlrev_b64 v[3:4], 1, v[1:2]
	v_add_co_u32 v1, s18, s18, v10
	s_delay_alu instid0(VALU_DEP_1) | instskip(SKIP_2) | instid1(VALU_DEP_3)
	v_add_co_ci_u32_e64 v6, null, s19, 0, s18
	s_mul_i32 s17, s3, 0x620
	s_waitcnt lgkmcnt(0)
	v_add_co_u32 v3, vcc_lo, s22, v3
	v_add_co_ci_u32_e32 v4, vcc_lo, s23, v4, vcc_lo
	v_sub_co_u32 v5, vcc_lo, v1, s16
	v_subrev_co_ci_u32_e32 v6, vcc_lo, 0, v6, vcc_lo
	v_lshlrev_b32_e32 v1, 1, v0
	s_add_i32 s13, s13, s17
	s_mul_i32 s17, s2, 0x620
	s_delay_alu instid0(VALU_DEP_2) | instskip(SKIP_3) | instid1(VALU_DEP_1)
	v_lshlrev_b64 v[7:8], 3, v[5:6]
	s_add_u32 s6, s6, s17
	s_addc_u32 s7, s7, s13
	v_add_co_u32 v5, s6, s6, v1
	v_add_co_ci_u32_e64 v6, null, s7, 0, s6
	s_delay_alu instid0(VALU_DEP_3)
	v_add_co_u32 v7, vcc_lo, s4, v7
	v_add_co_ci_u32_e32 v8, vcc_lo, s5, v8, vcc_lo
	s_set_inst_prefetch_distance 0x1
	s_branch .LBB331_10
	.p2align	6
.LBB331_9:                              ;   in Loop: Header=BB331_10 Depth=1
	s_or_b32 exec_lo, exec_lo, s4
	s_add_u32 s2, s2, 1
	s_addc_u32 s3, s3, 0
	v_add_co_u32 v7, vcc_lo, v7, 8
	v_cmp_lt_i64_e64 s4, s[2:3], s[0:1]
	v_add_co_ci_u32_e32 v8, vcc_lo, 0, v8, vcc_lo
	s_delay_alu instid0(VALU_DEP_2)
	s_and_b32 vcc_lo, exec_lo, s4
	s_cbranch_vccz .LBB331_12
.LBB331_10:                             ; =>This Inner Loop Header: Depth=1
	v_add_co_u32 v11, s4, v10, s2
	s_delay_alu instid0(VALU_DEP_1) | instskip(SKIP_1) | instid1(VALU_DEP_1)
	v_add_co_ci_u32_e64 v12, null, 0, s3, s4
	s_mov_b32 s4, exec_lo
	v_cmpx_gt_i64_e64 s[0:1], v[11:12]
	s_cbranch_execz .LBB331_9
; %bb.11:                               ;   in Loop: Header=BB331_10 Depth=1
	global_load_b64 v[11:12], v[7:8], off
	s_waitcnt vmcnt(0)
	v_sub_co_u32 v1, vcc_lo, v11, s16
	v_subrev_co_ci_u32_e32 v14, vcc_lo, 0, v12, vcc_lo
	s_delay_alu instid0(VALU_DEP_2) | instskip(NEXT) | instid1(VALU_DEP_1)
	v_mad_u64_u32 v[11:12], null, v1, 56, v[3:4]
	v_mov_b32_e32 v1, v12
	s_delay_alu instid0(VALU_DEP_1)
	v_mad_u64_u32 v[12:13], null, v14, 56, v[1:2]
	global_load_u16 v1, v[5:6], off
	global_load_u16 v11, v[11:12], off
	v_add_co_u32 v5, vcc_lo, 0x620, v5
	v_add_co_ci_u32_e32 v6, vcc_lo, 0, v6, vcc_lo
	s_waitcnt vmcnt(0)
	v_fma_mix_f32 v2, v1, v11, v2 op_sel_hi:[1,1,0]
	s_branch .LBB331_9
.LBB331_12:
	s_set_inst_prefetch_distance 0x2
	v_lshlrev_b32_e32 v1, 2, v0
	s_and_b32 vcc_lo, exec_lo, s9
	ds_store_b32 v1, v2
	s_waitcnt lgkmcnt(0)
	s_barrier
	buffer_gl0_inv
	s_cbranch_vccz .LBB331_24
; %bb.13:
	s_mov_b32 s0, exec_lo
	v_cmpx_gt_u16_e32 12, v9
	s_cbranch_execz .LBB331_15
; %bb.14:
	ds_load_2addr_b32 v[3:4], v1 offset1:16
	s_waitcnt lgkmcnt(0)
	v_add_f32_e32 v3, v4, v3
	ds_store_b32 v1, v3
.LBB331_15:
	s_or_b32 exec_lo, exec_lo, s0
	s_delay_alu instid0(SALU_CYCLE_1)
	s_mov_b32 s0, exec_lo
	s_waitcnt lgkmcnt(0)
	s_barrier
	buffer_gl0_inv
	v_cmpx_gt_u16_e32 8, v9
	s_cbranch_execz .LBB331_17
; %bb.16:
	ds_load_2addr_b32 v[3:4], v1 offset1:8
	s_waitcnt lgkmcnt(0)
	v_add_f32_e32 v3, v4, v3
	ds_store_b32 v1, v3
.LBB331_17:
	s_or_b32 exec_lo, exec_lo, s0
	s_delay_alu instid0(SALU_CYCLE_1)
	s_mov_b32 s0, exec_lo
	s_waitcnt lgkmcnt(0)
	s_barrier
	buffer_gl0_inv
	;; [unrolled: 14-line block ×3, first 2 shown]
	v_cmpx_gt_u16_e32 2, v9
	s_cbranch_execz .LBB331_21
; %bb.20:
	ds_load_2addr_b32 v[3:4], v1 offset1:2
	s_waitcnt lgkmcnt(0)
	v_add_f32_e32 v3, v4, v3
	ds_store_b32 v1, v3
.LBB331_21:
	s_or_b32 exec_lo, exec_lo, s0
	s_mov_b32 s1, 0
	s_mov_b32 s0, 0
	s_mov_b32 s2, exec_lo
	s_waitcnt lgkmcnt(0)
	s_barrier
	buffer_gl0_inv
                                        ; implicit-def: $vgpr3
                                        ; implicit-def: $vgpr4
	v_cmpx_gt_u32_e32 28, v0
	s_xor_b32 s2, exec_lo, s2
; %bb.22:
	v_mul_u32_u24_e32 v3, 28, v0
	v_mad_u32_u24 v4, 0x6c, v0, v1
	s_mov_b32 s0, exec_lo
	s_delay_alu instid0(VALU_DEP_2)
	v_or_b32_e32 v3, 1, v3
; %bb.23:
	s_or_b32 exec_lo, exec_lo, s2
	s_delay_alu instid0(SALU_CYCLE_1)
	s_and_b32 vcc_lo, exec_lo, s1
	s_cbranch_vccnz .LBB331_25
	s_branch .LBB331_36
.LBB331_24:
	s_mov_b32 s0, 0
                                        ; implicit-def: $vgpr3
                                        ; implicit-def: $vgpr4
	s_cbranch_execz .LBB331_36
.LBB331_25:
	s_mov_b32 s1, exec_lo
	v_cmpx_gt_u32_e32 0x150, v0
	s_cbranch_execz .LBB331_27
; %bb.26:
	ds_load_2addr_stride64_b32 v[3:4], v1 offset1:7
	s_waitcnt lgkmcnt(0)
	v_add_f32_e32 v3, v4, v3
	ds_store_b32 v1, v3
.LBB331_27:
	s_or_b32 exec_lo, exec_lo, s1
	s_delay_alu instid0(SALU_CYCLE_1)
	s_mov_b32 s1, exec_lo
	s_waitcnt lgkmcnt(0)
	s_barrier
	buffer_gl0_inv
	v_cmpx_gt_u32_e32 0xe0, v0
	s_cbranch_execz .LBB331_29
; %bb.28:
	ds_load_2addr_b32 v[3:4], v1 offset1:224
	s_waitcnt lgkmcnt(0)
	v_add_f32_e32 v3, v4, v3
	ds_store_b32 v1, v3
.LBB331_29:
	s_or_b32 exec_lo, exec_lo, s1
	s_delay_alu instid0(SALU_CYCLE_1)
	s_mov_b32 s1, exec_lo
	s_waitcnt lgkmcnt(0)
	s_barrier
	buffer_gl0_inv
	v_cmpx_gt_u32_e32 0x70, v0
	s_cbranch_execz .LBB331_31
; %bb.30:
	ds_load_2addr_b32 v[3:4], v1 offset1:112
	s_waitcnt lgkmcnt(0)
	v_add_f32_e32 v3, v4, v3
	ds_store_b32 v1, v3
.LBB331_31:
	;; [unrolled: 14-line block ×3, first 2 shown]
	s_or_b32 exec_lo, exec_lo, s1
	s_delay_alu instid0(SALU_CYCLE_1)
	s_mov_b32 s1, exec_lo
	s_waitcnt lgkmcnt(0)
	buffer_gl0_inv
                                        ; implicit-def: $vgpr3
	v_cmpx_gt_u32_e32 28, v0
; %bb.34:
	v_add_nc_u32_e32 v3, 28, v0
	s_or_b32 s0, s0, exec_lo
                                        ; implicit-def: $vgpr2
; %bb.35:
	s_or_b32 exec_lo, exec_lo, s1
	v_mov_b32_e32 v4, v1
.LBB331_36:
	s_and_saveexec_b32 s1, s0
	s_cbranch_execz .LBB331_38
; %bb.37:
	v_lshlrev_b32_e32 v1, 2, v3
	ds_load_b32 v2, v4
	ds_load_b32 v1, v1
	s_waitcnt lgkmcnt(0)
	v_add_f32_e32 v2, v2, v1
.LBB331_38:
	s_or_b32 exec_lo, exec_lo, s1
	s_delay_alu instid0(SALU_CYCLE_1)
	s_mov_b32 s0, exec_lo
	v_cmpx_gt_u32_e32 28, v0
	s_cbranch_execz .LBB331_42
; %bb.39:
	v_cmp_eq_f32_e64 s1, s8, 0
	v_mul_f32_e32 v1, s12, v2
	s_mov_b32 s3, 0
	s_mul_i32 s0, s11, 0x70
	s_mul_i32 s2, s10, 0x70
	s_and_b32 vcc_lo, exec_lo, s1
	s_mul_hi_u32 s1, s10, 0x70
	s_cbranch_vccz .LBB331_43
; %bb.40:
	v_lshlrev_b32_e32 v2, 2, v0
	s_add_i32 s5, s1, s0
	s_add_u32 s4, s14, s2
	s_addc_u32 s5, s15, s5
	global_store_b32 v2, v1, s[4:5]
	s_and_not1_b32 vcc_lo, exec_lo, s3
	s_cbranch_vccnz .LBB331_42
.LBB331_41:
	v_lshlrev_b32_e32 v0, 2, v0
	s_add_i32 s1, s1, s0
	s_add_u32 s0, s14, s2
	s_addc_u32 s1, s15, s1
	global_load_b32 v2, v0, s[0:1]
	s_waitcnt vmcnt(0)
	v_fmac_f32_e32 v1, s8, v2
	global_store_b32 v0, v1, s[0:1]
.LBB331_42:
	s_nop 0
	s_sendmsg sendmsg(MSG_DEALLOC_VGPRS)
	s_endpgm
.LBB331_43:
	s_branch .LBB331_41
	.section	.rodata,"a",@progbits
	.p2align	6, 0x0
	.amdhsa_kernel _ZN9rocsparseL20bsrxmvn_17_32_kernelILj28EfllDF16_DF16_fEEvT2_20rocsparse_direction_NS_24const_host_device_scalarIT0_EES1_PKS1_PKT1_SA_S7_PKT3_PKT4_S5_PT5_21rocsparse_index_base_b
		.amdhsa_group_segment_fixed_size 3136
		.amdhsa_private_segment_fixed_size 0
		.amdhsa_kernarg_size 104
		.amdhsa_user_sgpr_count 15
		.amdhsa_user_sgpr_dispatch_ptr 0
		.amdhsa_user_sgpr_queue_ptr 0
		.amdhsa_user_sgpr_kernarg_segment_ptr 1
		.amdhsa_user_sgpr_dispatch_id 0
		.amdhsa_user_sgpr_private_segment_size 0
		.amdhsa_wavefront_size32 1
		.amdhsa_uses_dynamic_stack 0
		.amdhsa_enable_private_segment 0
		.amdhsa_system_sgpr_workgroup_id_x 1
		.amdhsa_system_sgpr_workgroup_id_y 0
		.amdhsa_system_sgpr_workgroup_id_z 0
		.amdhsa_system_sgpr_workgroup_info 0
		.amdhsa_system_vgpr_workitem_id 0
		.amdhsa_next_free_vgpr 15
		.amdhsa_next_free_sgpr 24
		.amdhsa_reserve_vcc 1
		.amdhsa_float_round_mode_32 0
		.amdhsa_float_round_mode_16_64 0
		.amdhsa_float_denorm_mode_32 3
		.amdhsa_float_denorm_mode_16_64 3
		.amdhsa_dx10_clamp 1
		.amdhsa_ieee_mode 1
		.amdhsa_fp16_overflow 0
		.amdhsa_workgroup_processor_mode 1
		.amdhsa_memory_ordered 1
		.amdhsa_forward_progress 0
		.amdhsa_shared_vgpr_count 0
		.amdhsa_exception_fp_ieee_invalid_op 0
		.amdhsa_exception_fp_denorm_src 0
		.amdhsa_exception_fp_ieee_div_zero 0
		.amdhsa_exception_fp_ieee_overflow 0
		.amdhsa_exception_fp_ieee_underflow 0
		.amdhsa_exception_fp_ieee_inexact 0
		.amdhsa_exception_int_div_zero 0
	.end_amdhsa_kernel
	.section	.text._ZN9rocsparseL20bsrxmvn_17_32_kernelILj28EfllDF16_DF16_fEEvT2_20rocsparse_direction_NS_24const_host_device_scalarIT0_EES1_PKS1_PKT1_SA_S7_PKT3_PKT4_S5_PT5_21rocsparse_index_base_b,"axG",@progbits,_ZN9rocsparseL20bsrxmvn_17_32_kernelILj28EfllDF16_DF16_fEEvT2_20rocsparse_direction_NS_24const_host_device_scalarIT0_EES1_PKS1_PKT1_SA_S7_PKT3_PKT4_S5_PT5_21rocsparse_index_base_b,comdat
.Lfunc_end331:
	.size	_ZN9rocsparseL20bsrxmvn_17_32_kernelILj28EfllDF16_DF16_fEEvT2_20rocsparse_direction_NS_24const_host_device_scalarIT0_EES1_PKS1_PKT1_SA_S7_PKT3_PKT4_S5_PT5_21rocsparse_index_base_b, .Lfunc_end331-_ZN9rocsparseL20bsrxmvn_17_32_kernelILj28EfllDF16_DF16_fEEvT2_20rocsparse_direction_NS_24const_host_device_scalarIT0_EES1_PKS1_PKT1_SA_S7_PKT3_PKT4_S5_PT5_21rocsparse_index_base_b
                                        ; -- End function
	.section	.AMDGPU.csdata,"",@progbits
; Kernel info:
; codeLenInByte = 1596
; NumSgprs: 26
; NumVgprs: 15
; ScratchSize: 0
; MemoryBound: 0
; FloatMode: 240
; IeeeMode: 1
; LDSByteSize: 3136 bytes/workgroup (compile time only)
; SGPRBlocks: 3
; VGPRBlocks: 1
; NumSGPRsForWavesPerEU: 26
; NumVGPRsForWavesPerEU: 15
; Occupancy: 13
; WaveLimiterHint : 1
; COMPUTE_PGM_RSRC2:SCRATCH_EN: 0
; COMPUTE_PGM_RSRC2:USER_SGPR: 15
; COMPUTE_PGM_RSRC2:TRAP_HANDLER: 0
; COMPUTE_PGM_RSRC2:TGID_X_EN: 1
; COMPUTE_PGM_RSRC2:TGID_Y_EN: 0
; COMPUTE_PGM_RSRC2:TGID_Z_EN: 0
; COMPUTE_PGM_RSRC2:TIDIG_COMP_CNT: 0
	.section	.text._ZN9rocsparseL20bsrxmvn_17_32_kernelILj29EfllDF16_DF16_fEEvT2_20rocsparse_direction_NS_24const_host_device_scalarIT0_EES1_PKS1_PKT1_SA_S7_PKT3_PKT4_S5_PT5_21rocsparse_index_base_b,"axG",@progbits,_ZN9rocsparseL20bsrxmvn_17_32_kernelILj29EfllDF16_DF16_fEEvT2_20rocsparse_direction_NS_24const_host_device_scalarIT0_EES1_PKS1_PKT1_SA_S7_PKT3_PKT4_S5_PT5_21rocsparse_index_base_b,comdat
	.globl	_ZN9rocsparseL20bsrxmvn_17_32_kernelILj29EfllDF16_DF16_fEEvT2_20rocsparse_direction_NS_24const_host_device_scalarIT0_EES1_PKS1_PKT1_SA_S7_PKT3_PKT4_S5_PT5_21rocsparse_index_base_b ; -- Begin function _ZN9rocsparseL20bsrxmvn_17_32_kernelILj29EfllDF16_DF16_fEEvT2_20rocsparse_direction_NS_24const_host_device_scalarIT0_EES1_PKS1_PKT1_SA_S7_PKT3_PKT4_S5_PT5_21rocsparse_index_base_b
	.p2align	8
	.type	_ZN9rocsparseL20bsrxmvn_17_32_kernelILj29EfllDF16_DF16_fEEvT2_20rocsparse_direction_NS_24const_host_device_scalarIT0_EES1_PKS1_PKT1_SA_S7_PKT3_PKT4_S5_PT5_21rocsparse_index_base_b,@function
_ZN9rocsparseL20bsrxmvn_17_32_kernelILj29EfllDF16_DF16_fEEvT2_20rocsparse_direction_NS_24const_host_device_scalarIT0_EES1_PKS1_PKT1_SA_S7_PKT3_PKT4_S5_PT5_21rocsparse_index_base_b: ; @_ZN9rocsparseL20bsrxmvn_17_32_kernelILj29EfllDF16_DF16_fEEvT2_20rocsparse_direction_NS_24const_host_device_scalarIT0_EES1_PKS1_PKT1_SA_S7_PKT3_PKT4_S5_PT5_21rocsparse_index_base_b
; %bb.0:
	s_clause 0x2
	s_load_b64 s[16:17], s[0:1], 0x60
	s_load_b64 s[12:13], s[0:1], 0x10
	;; [unrolled: 1-line block ×3, first 2 shown]
	s_mov_b32 s10, s15
	s_waitcnt lgkmcnt(0)
	s_bitcmp1_b32 s17, 0
	s_cselect_b32 s2, -1, 0
	s_delay_alu instid0(SALU_CYCLE_1)
	s_and_b32 vcc_lo, exec_lo, s2
	s_xor_b32 s2, s2, -1
	s_cbranch_vccnz .LBB332_2
; %bb.1:
	s_load_b32 s12, s[12:13], 0x0
.LBB332_2:
	s_and_not1_b32 vcc_lo, exec_lo, s2
	s_cbranch_vccnz .LBB332_4
; %bb.3:
	s_load_b32 s8, s[8:9], 0x0
.LBB332_4:
	s_waitcnt lgkmcnt(0)
	v_cmp_neq_f32_e64 s2, s12, 0
	v_cmp_neq_f32_e64 s3, s8, 1.0
	s_mov_b32 s11, 0
	s_delay_alu instid0(VALU_DEP_1) | instskip(NEXT) | instid1(SALU_CYCLE_1)
	s_or_b32 s2, s2, s3
	s_and_not1_b32 vcc_lo, exec_lo, s2
	s_cbranch_vccnz .LBB332_42
; %bb.5:
	s_clause 0x1
	s_load_b128 s[4:7], s[0:1], 0x20
	s_load_b64 s[14:15], s[0:1], 0x30
	s_waitcnt lgkmcnt(0)
	s_cmp_eq_u64 s[4:5], 0
	s_cbranch_scc1 .LBB332_7
; %bb.6:
	s_lshl_b64 s[2:3], s[10:11], 3
	s_delay_alu instid0(SALU_CYCLE_1)
	s_add_u32 s2, s4, s2
	s_addc_u32 s3, s5, s3
	s_load_b64 s[2:3], s[2:3], 0x0
	s_waitcnt lgkmcnt(0)
	s_sub_u32 s10, s2, s16
	s_subb_u32 s11, s3, 0
.LBB332_7:
	s_load_b32 s3, s[0:1], 0x8
	v_mul_u32_u24_e32 v1, 0x8d4, v0
	s_delay_alu instid0(VALU_DEP_1) | instskip(NEXT) | instid1(VALU_DEP_1)
	v_lshrrev_b32_e32 v1, 16, v1
	v_mul_lo_u16 v2, v1, 29
	s_delay_alu instid0(VALU_DEP_1)
	v_sub_nc_u16 v9, v0, v2
	v_mov_b32_e32 v2, 0
	s_waitcnt lgkmcnt(0)
	s_cmp_eq_u32 s3, 1
	s_cselect_b32 s2, -1, 0
	s_cmp_lg_u32 s3, 1
	s_cselect_b32 s9, -1, 0
	s_lshl_b64 s[4:5], s[10:11], 3
	s_delay_alu instid0(SALU_CYCLE_1)
	s_add_u32 s6, s6, s4
	s_addc_u32 s7, s7, s5
	s_add_u32 s3, s6, 8
	s_addc_u32 s13, s7, 0
	;; [unrolled: 2-line block ×3, first 2 shown]
	s_cmp_eq_u64 s[14:15], 0
	s_load_b64 s[14:15], s[0:1], 0x58
	s_cselect_b32 s5, s13, s5
	s_cselect_b32 s4, s3, s4
	s_load_b64 s[18:19], s[6:7], 0x0
	s_load_b64 s[20:21], s[4:5], 0x0
	s_waitcnt lgkmcnt(0)
	v_cmp_ge_i64_e64 s3, s[18:19], s[20:21]
	s_delay_alu instid0(VALU_DEP_1)
	s_and_b32 vcc_lo, exec_lo, s3
	s_cbranch_vccnz .LBB332_12
; %bb.8:
	v_dual_mov_b32 v2, 0 :: v_dual_and_b32 v1, 0xffff, v1
	v_cmp_gt_u32_e32 vcc_lo, 0x349, v0
	s_clause 0x1
	s_load_b128 s[4:7], s[0:1], 0x38
	s_load_b64 s[22:23], s[0:1], 0x48
	v_and_b32_e32 v4, 0xffff, v9
	v_subrev_nc_u32_e32 v3, 29, v1
	s_sub_u32 s0, s20, s16
	s_subb_u32 s1, s21, 0
	s_delay_alu instid0(VALU_DEP_1) | instskip(SKIP_1) | instid1(VALU_DEP_2)
	v_cndmask_b32_e32 v1, v3, v1, vcc_lo
	v_cmp_lt_u32_e32 vcc_lo, 0x348, v0
	v_cndmask_b32_e64 v1, v4, v1, s2
	v_cndmask_b32_e64 v10, 0, 1, vcc_lo
	s_sub_u32 s2, s18, s16
	s_subb_u32 s3, s19, 0
	s_mul_hi_u32 s13, s2, 0x692
	v_lshlrev_b64 v[3:4], 1, v[1:2]
	v_add_co_u32 v1, s18, s18, v10
	s_delay_alu instid0(VALU_DEP_1) | instskip(SKIP_2) | instid1(VALU_DEP_3)
	v_add_co_ci_u32_e64 v6, null, s19, 0, s18
	s_mul_i32 s17, s3, 0x692
	s_waitcnt lgkmcnt(0)
	v_add_co_u32 v3, vcc_lo, s22, v3
	v_add_co_ci_u32_e32 v4, vcc_lo, s23, v4, vcc_lo
	v_sub_co_u32 v5, vcc_lo, v1, s16
	v_subrev_co_ci_u32_e32 v6, vcc_lo, 0, v6, vcc_lo
	v_lshlrev_b32_e32 v1, 1, v0
	s_add_i32 s13, s13, s17
	s_mul_i32 s17, s2, 0x692
	s_delay_alu instid0(VALU_DEP_2) | instskip(SKIP_3) | instid1(VALU_DEP_1)
	v_lshlrev_b64 v[7:8], 3, v[5:6]
	s_add_u32 s6, s6, s17
	s_addc_u32 s7, s7, s13
	v_add_co_u32 v5, s6, s6, v1
	v_add_co_ci_u32_e64 v6, null, s7, 0, s6
	s_delay_alu instid0(VALU_DEP_3)
	v_add_co_u32 v7, vcc_lo, s4, v7
	v_add_co_ci_u32_e32 v8, vcc_lo, s5, v8, vcc_lo
	s_set_inst_prefetch_distance 0x1
	s_branch .LBB332_10
	.p2align	6
.LBB332_9:                              ;   in Loop: Header=BB332_10 Depth=1
	s_or_b32 exec_lo, exec_lo, s4
	s_add_u32 s2, s2, 1
	s_addc_u32 s3, s3, 0
	v_add_co_u32 v7, vcc_lo, v7, 8
	v_cmp_lt_i64_e64 s4, s[2:3], s[0:1]
	v_add_co_ci_u32_e32 v8, vcc_lo, 0, v8, vcc_lo
	s_delay_alu instid0(VALU_DEP_2)
	s_and_b32 vcc_lo, exec_lo, s4
	s_cbranch_vccz .LBB332_12
.LBB332_10:                             ; =>This Inner Loop Header: Depth=1
	v_add_co_u32 v11, s4, v10, s2
	s_delay_alu instid0(VALU_DEP_1) | instskip(SKIP_1) | instid1(VALU_DEP_1)
	v_add_co_ci_u32_e64 v12, null, 0, s3, s4
	s_mov_b32 s4, exec_lo
	v_cmpx_gt_i64_e64 s[0:1], v[11:12]
	s_cbranch_execz .LBB332_9
; %bb.11:                               ;   in Loop: Header=BB332_10 Depth=1
	global_load_b64 v[11:12], v[7:8], off
	s_waitcnt vmcnt(0)
	v_sub_co_u32 v1, vcc_lo, v11, s16
	v_subrev_co_ci_u32_e32 v14, vcc_lo, 0, v12, vcc_lo
	s_delay_alu instid0(VALU_DEP_2) | instskip(NEXT) | instid1(VALU_DEP_1)
	v_mad_u64_u32 v[11:12], null, v1, 58, v[3:4]
	v_mov_b32_e32 v1, v12
	s_delay_alu instid0(VALU_DEP_1)
	v_mad_u64_u32 v[12:13], null, v14, 58, v[1:2]
	global_load_u16 v1, v[5:6], off
	global_load_u16 v11, v[11:12], off
	v_add_co_u32 v5, vcc_lo, 0x692, v5
	v_add_co_ci_u32_e32 v6, vcc_lo, 0, v6, vcc_lo
	s_waitcnt vmcnt(0)
	v_fma_mix_f32 v2, v1, v11, v2 op_sel_hi:[1,1,0]
	s_branch .LBB332_9
.LBB332_12:
	s_set_inst_prefetch_distance 0x2
	v_lshlrev_b32_e32 v1, 2, v0
	s_and_b32 vcc_lo, exec_lo, s9
	ds_store_b32 v1, v2
	s_waitcnt lgkmcnt(0)
	s_barrier
	buffer_gl0_inv
	s_cbranch_vccz .LBB332_24
; %bb.13:
	s_mov_b32 s0, exec_lo
	v_cmpx_gt_u16_e32 13, v9
	s_cbranch_execz .LBB332_15
; %bb.14:
	ds_load_2addr_b32 v[3:4], v1 offset1:16
	s_waitcnt lgkmcnt(0)
	v_add_f32_e32 v3, v4, v3
	ds_store_b32 v1, v3
.LBB332_15:
	s_or_b32 exec_lo, exec_lo, s0
	s_delay_alu instid0(SALU_CYCLE_1)
	s_mov_b32 s0, exec_lo
	s_waitcnt lgkmcnt(0)
	s_barrier
	buffer_gl0_inv
	v_cmpx_gt_u16_e32 8, v9
	s_cbranch_execz .LBB332_17
; %bb.16:
	ds_load_2addr_b32 v[3:4], v1 offset1:8
	s_waitcnt lgkmcnt(0)
	v_add_f32_e32 v3, v4, v3
	ds_store_b32 v1, v3
.LBB332_17:
	s_or_b32 exec_lo, exec_lo, s0
	s_delay_alu instid0(SALU_CYCLE_1)
	s_mov_b32 s0, exec_lo
	s_waitcnt lgkmcnt(0)
	s_barrier
	buffer_gl0_inv
	v_cmpx_gt_u16_e32 4, v9
	s_cbranch_execz .LBB332_19
; %bb.18:
	ds_load_2addr_b32 v[3:4], v1 offset1:4
	s_waitcnt lgkmcnt(0)
	v_add_f32_e32 v3, v4, v3
	ds_store_b32 v1, v3
.LBB332_19:
	s_or_b32 exec_lo, exec_lo, s0
	s_delay_alu instid0(SALU_CYCLE_1)
	s_mov_b32 s0, exec_lo
	s_waitcnt lgkmcnt(0)
	s_barrier
	buffer_gl0_inv
	v_cmpx_gt_u16_e32 2, v9
	s_cbranch_execz .LBB332_21
; %bb.20:
	ds_load_2addr_b32 v[3:4], v1 offset1:2
	s_waitcnt lgkmcnt(0)
	v_add_f32_e32 v3, v4, v3
	ds_store_b32 v1, v3
.LBB332_21:
	s_or_b32 exec_lo, exec_lo, s0
	s_mov_b32 s1, 0
	s_mov_b32 s0, 0
	s_mov_b32 s2, exec_lo
	s_waitcnt lgkmcnt(0)
	s_barrier
	buffer_gl0_inv
                                        ; implicit-def: $vgpr3
                                        ; implicit-def: $vgpr4
	v_cmpx_gt_u32_e32 29, v0
	s_xor_b32 s2, exec_lo, s2
; %bb.22:
	v_mad_u32_u24 v3, v0, 29, 1
	v_mad_u32_u24 v4, 0x70, v0, v1
	s_mov_b32 s0, exec_lo
; %bb.23:
	s_or_b32 exec_lo, exec_lo, s2
	s_delay_alu instid0(SALU_CYCLE_1)
	s_and_b32 vcc_lo, exec_lo, s1
	s_cbranch_vccnz .LBB332_25
	s_branch .LBB332_36
.LBB332_24:
	s_mov_b32 s0, 0
                                        ; implicit-def: $vgpr3
                                        ; implicit-def: $vgpr4
	s_cbranch_execz .LBB332_36
.LBB332_25:
	s_mov_b32 s1, exec_lo
	v_cmpx_gt_u32_e32 0x179, v0
	s_cbranch_execz .LBB332_27
; %bb.26:
	ds_load_b32 v3, v1 offset:1856
	ds_load_b32 v4, v1
	s_waitcnt lgkmcnt(0)
	v_add_f32_e32 v3, v3, v4
	ds_store_b32 v1, v3
.LBB332_27:
	s_or_b32 exec_lo, exec_lo, s1
	s_delay_alu instid0(SALU_CYCLE_1)
	s_mov_b32 s1, exec_lo
	s_waitcnt lgkmcnt(0)
	s_barrier
	buffer_gl0_inv
	v_cmpx_gt_u32_e32 0xe8, v0
	s_cbranch_execz .LBB332_29
; %bb.28:
	ds_load_2addr_b32 v[3:4], v1 offset1:232
	s_waitcnt lgkmcnt(0)
	v_add_f32_e32 v3, v4, v3
	ds_store_b32 v1, v3
.LBB332_29:
	s_or_b32 exec_lo, exec_lo, s1
	s_delay_alu instid0(SALU_CYCLE_1)
	s_mov_b32 s1, exec_lo
	s_waitcnt lgkmcnt(0)
	s_barrier
	buffer_gl0_inv
	v_cmpx_gt_u32_e32 0x74, v0
	s_cbranch_execz .LBB332_31
; %bb.30:
	ds_load_2addr_b32 v[3:4], v1 offset1:116
	s_waitcnt lgkmcnt(0)
	v_add_f32_e32 v3, v4, v3
	ds_store_b32 v1, v3
.LBB332_31:
	;; [unrolled: 14-line block ×3, first 2 shown]
	s_or_b32 exec_lo, exec_lo, s1
	s_delay_alu instid0(SALU_CYCLE_1)
	s_mov_b32 s1, exec_lo
	s_waitcnt lgkmcnt(0)
	buffer_gl0_inv
                                        ; implicit-def: $vgpr3
	v_cmpx_gt_u32_e32 29, v0
; %bb.34:
	v_add_nc_u32_e32 v3, 29, v0
	s_or_b32 s0, s0, exec_lo
                                        ; implicit-def: $vgpr2
; %bb.35:
	s_or_b32 exec_lo, exec_lo, s1
	v_mov_b32_e32 v4, v1
.LBB332_36:
	s_and_saveexec_b32 s1, s0
	s_cbranch_execz .LBB332_38
; %bb.37:
	v_lshlrev_b32_e32 v1, 2, v3
	ds_load_b32 v2, v4
	ds_load_b32 v1, v1
	s_waitcnt lgkmcnt(0)
	v_add_f32_e32 v2, v2, v1
.LBB332_38:
	s_or_b32 exec_lo, exec_lo, s1
	s_delay_alu instid0(SALU_CYCLE_1)
	s_mov_b32 s0, exec_lo
	v_cmpx_gt_u32_e32 29, v0
	s_cbranch_execz .LBB332_42
; %bb.39:
	v_cmp_eq_f32_e64 s1, s8, 0
	v_mul_f32_e32 v1, s12, v2
	s_mov_b32 s3, 0
	s_mul_i32 s0, s11, 0x74
	s_mul_i32 s2, s10, 0x74
	s_and_b32 vcc_lo, exec_lo, s1
	s_mul_hi_u32 s1, s10, 0x74
	s_cbranch_vccz .LBB332_43
; %bb.40:
	v_lshlrev_b32_e32 v2, 2, v0
	s_add_i32 s5, s1, s0
	s_add_u32 s4, s14, s2
	s_addc_u32 s5, s15, s5
	global_store_b32 v2, v1, s[4:5]
	s_and_not1_b32 vcc_lo, exec_lo, s3
	s_cbranch_vccnz .LBB332_42
.LBB332_41:
	v_lshlrev_b32_e32 v0, 2, v0
	s_add_i32 s1, s1, s0
	s_add_u32 s0, s14, s2
	s_addc_u32 s1, s15, s1
	global_load_b32 v2, v0, s[0:1]
	s_waitcnt vmcnt(0)
	v_fmac_f32_e32 v1, s8, v2
	global_store_b32 v0, v1, s[0:1]
.LBB332_42:
	s_nop 0
	s_sendmsg sendmsg(MSG_DEALLOC_VGPRS)
	s_endpgm
.LBB332_43:
	s_branch .LBB332_41
	.section	.rodata,"a",@progbits
	.p2align	6, 0x0
	.amdhsa_kernel _ZN9rocsparseL20bsrxmvn_17_32_kernelILj29EfllDF16_DF16_fEEvT2_20rocsparse_direction_NS_24const_host_device_scalarIT0_EES1_PKS1_PKT1_SA_S7_PKT3_PKT4_S5_PT5_21rocsparse_index_base_b
		.amdhsa_group_segment_fixed_size 3364
		.amdhsa_private_segment_fixed_size 0
		.amdhsa_kernarg_size 104
		.amdhsa_user_sgpr_count 15
		.amdhsa_user_sgpr_dispatch_ptr 0
		.amdhsa_user_sgpr_queue_ptr 0
		.amdhsa_user_sgpr_kernarg_segment_ptr 1
		.amdhsa_user_sgpr_dispatch_id 0
		.amdhsa_user_sgpr_private_segment_size 0
		.amdhsa_wavefront_size32 1
		.amdhsa_uses_dynamic_stack 0
		.amdhsa_enable_private_segment 0
		.amdhsa_system_sgpr_workgroup_id_x 1
		.amdhsa_system_sgpr_workgroup_id_y 0
		.amdhsa_system_sgpr_workgroup_id_z 0
		.amdhsa_system_sgpr_workgroup_info 0
		.amdhsa_system_vgpr_workitem_id 0
		.amdhsa_next_free_vgpr 15
		.amdhsa_next_free_sgpr 24
		.amdhsa_reserve_vcc 1
		.amdhsa_float_round_mode_32 0
		.amdhsa_float_round_mode_16_64 0
		.amdhsa_float_denorm_mode_32 3
		.amdhsa_float_denorm_mode_16_64 3
		.amdhsa_dx10_clamp 1
		.amdhsa_ieee_mode 1
		.amdhsa_fp16_overflow 0
		.amdhsa_workgroup_processor_mode 1
		.amdhsa_memory_ordered 1
		.amdhsa_forward_progress 0
		.amdhsa_shared_vgpr_count 0
		.amdhsa_exception_fp_ieee_invalid_op 0
		.amdhsa_exception_fp_denorm_src 0
		.amdhsa_exception_fp_ieee_div_zero 0
		.amdhsa_exception_fp_ieee_overflow 0
		.amdhsa_exception_fp_ieee_underflow 0
		.amdhsa_exception_fp_ieee_inexact 0
		.amdhsa_exception_int_div_zero 0
	.end_amdhsa_kernel
	.section	.text._ZN9rocsparseL20bsrxmvn_17_32_kernelILj29EfllDF16_DF16_fEEvT2_20rocsparse_direction_NS_24const_host_device_scalarIT0_EES1_PKS1_PKT1_SA_S7_PKT3_PKT4_S5_PT5_21rocsparse_index_base_b,"axG",@progbits,_ZN9rocsparseL20bsrxmvn_17_32_kernelILj29EfllDF16_DF16_fEEvT2_20rocsparse_direction_NS_24const_host_device_scalarIT0_EES1_PKS1_PKT1_SA_S7_PKT3_PKT4_S5_PT5_21rocsparse_index_base_b,comdat
.Lfunc_end332:
	.size	_ZN9rocsparseL20bsrxmvn_17_32_kernelILj29EfllDF16_DF16_fEEvT2_20rocsparse_direction_NS_24const_host_device_scalarIT0_EES1_PKS1_PKT1_SA_S7_PKT3_PKT4_S5_PT5_21rocsparse_index_base_b, .Lfunc_end332-_ZN9rocsparseL20bsrxmvn_17_32_kernelILj29EfllDF16_DF16_fEEvT2_20rocsparse_direction_NS_24const_host_device_scalarIT0_EES1_PKS1_PKT1_SA_S7_PKT3_PKT4_S5_PT5_21rocsparse_index_base_b
                                        ; -- End function
	.section	.AMDGPU.csdata,"",@progbits
; Kernel info:
; codeLenInByte = 1600
; NumSgprs: 26
; NumVgprs: 15
; ScratchSize: 0
; MemoryBound: 0
; FloatMode: 240
; IeeeMode: 1
; LDSByteSize: 3364 bytes/workgroup (compile time only)
; SGPRBlocks: 3
; VGPRBlocks: 1
; NumSGPRsForWavesPerEU: 26
; NumVGPRsForWavesPerEU: 15
; Occupancy: 14
; WaveLimiterHint : 1
; COMPUTE_PGM_RSRC2:SCRATCH_EN: 0
; COMPUTE_PGM_RSRC2:USER_SGPR: 15
; COMPUTE_PGM_RSRC2:TRAP_HANDLER: 0
; COMPUTE_PGM_RSRC2:TGID_X_EN: 1
; COMPUTE_PGM_RSRC2:TGID_Y_EN: 0
; COMPUTE_PGM_RSRC2:TGID_Z_EN: 0
; COMPUTE_PGM_RSRC2:TIDIG_COMP_CNT: 0
	.section	.text._ZN9rocsparseL20bsrxmvn_17_32_kernelILj30EfllDF16_DF16_fEEvT2_20rocsparse_direction_NS_24const_host_device_scalarIT0_EES1_PKS1_PKT1_SA_S7_PKT3_PKT4_S5_PT5_21rocsparse_index_base_b,"axG",@progbits,_ZN9rocsparseL20bsrxmvn_17_32_kernelILj30EfllDF16_DF16_fEEvT2_20rocsparse_direction_NS_24const_host_device_scalarIT0_EES1_PKS1_PKT1_SA_S7_PKT3_PKT4_S5_PT5_21rocsparse_index_base_b,comdat
	.globl	_ZN9rocsparseL20bsrxmvn_17_32_kernelILj30EfllDF16_DF16_fEEvT2_20rocsparse_direction_NS_24const_host_device_scalarIT0_EES1_PKS1_PKT1_SA_S7_PKT3_PKT4_S5_PT5_21rocsparse_index_base_b ; -- Begin function _ZN9rocsparseL20bsrxmvn_17_32_kernelILj30EfllDF16_DF16_fEEvT2_20rocsparse_direction_NS_24const_host_device_scalarIT0_EES1_PKS1_PKT1_SA_S7_PKT3_PKT4_S5_PT5_21rocsparse_index_base_b
	.p2align	8
	.type	_ZN9rocsparseL20bsrxmvn_17_32_kernelILj30EfllDF16_DF16_fEEvT2_20rocsparse_direction_NS_24const_host_device_scalarIT0_EES1_PKS1_PKT1_SA_S7_PKT3_PKT4_S5_PT5_21rocsparse_index_base_b,@function
_ZN9rocsparseL20bsrxmvn_17_32_kernelILj30EfllDF16_DF16_fEEvT2_20rocsparse_direction_NS_24const_host_device_scalarIT0_EES1_PKS1_PKT1_SA_S7_PKT3_PKT4_S5_PT5_21rocsparse_index_base_b: ; @_ZN9rocsparseL20bsrxmvn_17_32_kernelILj30EfllDF16_DF16_fEEvT2_20rocsparse_direction_NS_24const_host_device_scalarIT0_EES1_PKS1_PKT1_SA_S7_PKT3_PKT4_S5_PT5_21rocsparse_index_base_b
; %bb.0:
	s_clause 0x2
	s_load_b64 s[16:17], s[0:1], 0x60
	s_load_b64 s[12:13], s[0:1], 0x10
	;; [unrolled: 1-line block ×3, first 2 shown]
	s_mov_b32 s10, s15
	s_waitcnt lgkmcnt(0)
	s_bitcmp1_b32 s17, 0
	s_cselect_b32 s2, -1, 0
	s_delay_alu instid0(SALU_CYCLE_1)
	s_and_b32 vcc_lo, exec_lo, s2
	s_xor_b32 s2, s2, -1
	s_cbranch_vccnz .LBB333_2
; %bb.1:
	s_load_b32 s12, s[12:13], 0x0
.LBB333_2:
	s_and_not1_b32 vcc_lo, exec_lo, s2
	s_cbranch_vccnz .LBB333_4
; %bb.3:
	s_load_b32 s8, s[8:9], 0x0
.LBB333_4:
	s_waitcnt lgkmcnt(0)
	v_cmp_neq_f32_e64 s2, s12, 0
	v_cmp_neq_f32_e64 s3, s8, 1.0
	s_mov_b32 s11, 0
	s_delay_alu instid0(VALU_DEP_1) | instskip(NEXT) | instid1(SALU_CYCLE_1)
	s_or_b32 s2, s2, s3
	s_and_not1_b32 vcc_lo, exec_lo, s2
	s_cbranch_vccnz .LBB333_42
; %bb.5:
	s_clause 0x1
	s_load_b128 s[4:7], s[0:1], 0x20
	s_load_b64 s[14:15], s[0:1], 0x30
	s_waitcnt lgkmcnt(0)
	s_cmp_eq_u64 s[4:5], 0
	s_cbranch_scc1 .LBB333_7
; %bb.6:
	s_lshl_b64 s[2:3], s[10:11], 3
	s_delay_alu instid0(SALU_CYCLE_1)
	s_add_u32 s2, s4, s2
	s_addc_u32 s3, s5, s3
	s_load_b64 s[2:3], s[2:3], 0x0
	s_waitcnt lgkmcnt(0)
	s_sub_u32 s10, s2, s16
	s_subb_u32 s11, s3, 0
.LBB333_7:
	s_load_b32 s3, s[0:1], 0x8
	v_mul_u32_u24_e32 v1, 0x889, v0
	s_delay_alu instid0(VALU_DEP_1) | instskip(NEXT) | instid1(VALU_DEP_1)
	v_lshrrev_b32_e32 v1, 16, v1
	v_mul_lo_u16 v2, v1, 30
	s_delay_alu instid0(VALU_DEP_1)
	v_sub_nc_u16 v9, v0, v2
	v_mov_b32_e32 v2, 0
	s_waitcnt lgkmcnt(0)
	s_cmp_eq_u32 s3, 1
	s_cselect_b32 s2, -1, 0
	s_cmp_lg_u32 s3, 1
	s_cselect_b32 s9, -1, 0
	s_lshl_b64 s[4:5], s[10:11], 3
	s_delay_alu instid0(SALU_CYCLE_1)
	s_add_u32 s6, s6, s4
	s_addc_u32 s7, s7, s5
	s_add_u32 s3, s6, 8
	s_addc_u32 s13, s7, 0
	;; [unrolled: 2-line block ×3, first 2 shown]
	s_cmp_eq_u64 s[14:15], 0
	s_load_b64 s[14:15], s[0:1], 0x58
	s_cselect_b32 s5, s13, s5
	s_cselect_b32 s4, s3, s4
	s_load_b64 s[18:19], s[6:7], 0x0
	s_load_b64 s[20:21], s[4:5], 0x0
	s_waitcnt lgkmcnt(0)
	v_cmp_ge_i64_e64 s3, s[18:19], s[20:21]
	s_delay_alu instid0(VALU_DEP_1)
	s_and_b32 vcc_lo, exec_lo, s3
	s_cbranch_vccnz .LBB333_12
; %bb.8:
	v_dual_mov_b32 v2, 0 :: v_dual_and_b32 v1, 0xffff, v1
	v_cmp_gt_u32_e32 vcc_lo, 0x384, v0
	s_clause 0x1
	s_load_b128 s[4:7], s[0:1], 0x38
	s_load_b64 s[22:23], s[0:1], 0x48
	v_and_b32_e32 v4, 0xffff, v9
	v_subrev_nc_u32_e32 v3, 30, v1
	s_sub_u32 s0, s20, s16
	s_subb_u32 s1, s21, 0
	s_delay_alu instid0(VALU_DEP_1) | instskip(SKIP_1) | instid1(VALU_DEP_2)
	v_cndmask_b32_e32 v1, v3, v1, vcc_lo
	v_cmp_lt_u32_e32 vcc_lo, 0x383, v0
	v_cndmask_b32_e64 v1, v4, v1, s2
	v_cndmask_b32_e64 v10, 0, 1, vcc_lo
	s_sub_u32 s2, s18, s16
	s_subb_u32 s3, s19, 0
	s_mul_hi_u32 s13, s2, 0x708
	v_lshlrev_b64 v[3:4], 1, v[1:2]
	v_add_co_u32 v1, s18, s18, v10
	s_delay_alu instid0(VALU_DEP_1) | instskip(SKIP_2) | instid1(VALU_DEP_3)
	v_add_co_ci_u32_e64 v6, null, s19, 0, s18
	s_mul_i32 s17, s3, 0x708
	s_waitcnt lgkmcnt(0)
	v_add_co_u32 v3, vcc_lo, s22, v3
	v_add_co_ci_u32_e32 v4, vcc_lo, s23, v4, vcc_lo
	v_sub_co_u32 v5, vcc_lo, v1, s16
	v_subrev_co_ci_u32_e32 v6, vcc_lo, 0, v6, vcc_lo
	v_lshlrev_b32_e32 v1, 1, v0
	s_add_i32 s13, s13, s17
	s_mul_i32 s17, s2, 0x708
	s_delay_alu instid0(VALU_DEP_2) | instskip(SKIP_3) | instid1(VALU_DEP_1)
	v_lshlrev_b64 v[7:8], 3, v[5:6]
	s_add_u32 s6, s6, s17
	s_addc_u32 s7, s7, s13
	v_add_co_u32 v5, s6, s6, v1
	v_add_co_ci_u32_e64 v6, null, s7, 0, s6
	s_delay_alu instid0(VALU_DEP_3)
	v_add_co_u32 v7, vcc_lo, s4, v7
	v_add_co_ci_u32_e32 v8, vcc_lo, s5, v8, vcc_lo
	s_set_inst_prefetch_distance 0x1
	s_branch .LBB333_10
	.p2align	6
.LBB333_9:                              ;   in Loop: Header=BB333_10 Depth=1
	s_or_b32 exec_lo, exec_lo, s4
	s_add_u32 s2, s2, 1
	s_addc_u32 s3, s3, 0
	v_add_co_u32 v7, vcc_lo, v7, 8
	v_cmp_lt_i64_e64 s4, s[2:3], s[0:1]
	v_add_co_ci_u32_e32 v8, vcc_lo, 0, v8, vcc_lo
	s_delay_alu instid0(VALU_DEP_2)
	s_and_b32 vcc_lo, exec_lo, s4
	s_cbranch_vccz .LBB333_12
.LBB333_10:                             ; =>This Inner Loop Header: Depth=1
	v_add_co_u32 v11, s4, v10, s2
	s_delay_alu instid0(VALU_DEP_1) | instskip(SKIP_1) | instid1(VALU_DEP_1)
	v_add_co_ci_u32_e64 v12, null, 0, s3, s4
	s_mov_b32 s4, exec_lo
	v_cmpx_gt_i64_e64 s[0:1], v[11:12]
	s_cbranch_execz .LBB333_9
; %bb.11:                               ;   in Loop: Header=BB333_10 Depth=1
	global_load_b64 v[11:12], v[7:8], off
	s_waitcnt vmcnt(0)
	v_sub_co_u32 v1, vcc_lo, v11, s16
	v_subrev_co_ci_u32_e32 v14, vcc_lo, 0, v12, vcc_lo
	s_delay_alu instid0(VALU_DEP_2) | instskip(NEXT) | instid1(VALU_DEP_1)
	v_mad_u64_u32 v[11:12], null, v1, 60, v[3:4]
	v_mov_b32_e32 v1, v12
	s_delay_alu instid0(VALU_DEP_1)
	v_mad_u64_u32 v[12:13], null, v14, 60, v[1:2]
	global_load_u16 v1, v[5:6], off
	global_load_u16 v11, v[11:12], off
	v_add_co_u32 v5, vcc_lo, 0x708, v5
	v_add_co_ci_u32_e32 v6, vcc_lo, 0, v6, vcc_lo
	s_waitcnt vmcnt(0)
	v_fma_mix_f32 v2, v1, v11, v2 op_sel_hi:[1,1,0]
	s_branch .LBB333_9
.LBB333_12:
	s_set_inst_prefetch_distance 0x2
	v_lshlrev_b32_e32 v1, 2, v0
	s_and_b32 vcc_lo, exec_lo, s9
	ds_store_b32 v1, v2
	s_waitcnt lgkmcnt(0)
	s_barrier
	buffer_gl0_inv
	s_cbranch_vccz .LBB333_24
; %bb.13:
	s_mov_b32 s0, exec_lo
	v_cmpx_gt_u16_e32 14, v9
	s_cbranch_execz .LBB333_15
; %bb.14:
	ds_load_2addr_b32 v[3:4], v1 offset1:16
	s_waitcnt lgkmcnt(0)
	v_add_f32_e32 v3, v4, v3
	ds_store_b32 v1, v3
.LBB333_15:
	s_or_b32 exec_lo, exec_lo, s0
	s_delay_alu instid0(SALU_CYCLE_1)
	s_mov_b32 s0, exec_lo
	s_waitcnt lgkmcnt(0)
	s_barrier
	buffer_gl0_inv
	v_cmpx_gt_u16_e32 8, v9
	s_cbranch_execz .LBB333_17
; %bb.16:
	ds_load_2addr_b32 v[3:4], v1 offset1:8
	s_waitcnt lgkmcnt(0)
	v_add_f32_e32 v3, v4, v3
	ds_store_b32 v1, v3
.LBB333_17:
	s_or_b32 exec_lo, exec_lo, s0
	s_delay_alu instid0(SALU_CYCLE_1)
	s_mov_b32 s0, exec_lo
	s_waitcnt lgkmcnt(0)
	s_barrier
	buffer_gl0_inv
	;; [unrolled: 14-line block ×3, first 2 shown]
	v_cmpx_gt_u16_e32 2, v9
	s_cbranch_execz .LBB333_21
; %bb.20:
	ds_load_2addr_b32 v[3:4], v1 offset1:2
	s_waitcnt lgkmcnt(0)
	v_add_f32_e32 v3, v4, v3
	ds_store_b32 v1, v3
.LBB333_21:
	s_or_b32 exec_lo, exec_lo, s0
	s_mov_b32 s1, 0
	s_mov_b32 s0, 0
	s_mov_b32 s2, exec_lo
	s_waitcnt lgkmcnt(0)
	s_barrier
	buffer_gl0_inv
                                        ; implicit-def: $vgpr3
                                        ; implicit-def: $vgpr4
	v_cmpx_gt_u32_e32 30, v0
	s_xor_b32 s2, exec_lo, s2
; %bb.22:
	v_mul_u32_u24_e32 v3, 30, v0
	v_mad_u32_u24 v4, 0x74, v0, v1
	s_mov_b32 s0, exec_lo
	s_delay_alu instid0(VALU_DEP_2)
	v_or_b32_e32 v3, 1, v3
; %bb.23:
	s_or_b32 exec_lo, exec_lo, s2
	s_delay_alu instid0(SALU_CYCLE_1)
	s_and_b32 vcc_lo, exec_lo, s1
	s_cbranch_vccnz .LBB333_25
	s_branch .LBB333_36
.LBB333_24:
	s_mov_b32 s0, 0
                                        ; implicit-def: $vgpr3
                                        ; implicit-def: $vgpr4
	s_cbranch_execz .LBB333_36
.LBB333_25:
	s_mov_b32 s1, exec_lo
	v_cmpx_gt_u32_e32 0x1a4, v0
	s_cbranch_execz .LBB333_27
; %bb.26:
	ds_load_b32 v3, v1 offset:1920
	ds_load_b32 v4, v1
	s_waitcnt lgkmcnt(0)
	v_add_f32_e32 v3, v3, v4
	ds_store_b32 v1, v3
.LBB333_27:
	s_or_b32 exec_lo, exec_lo, s1
	s_delay_alu instid0(SALU_CYCLE_1)
	s_mov_b32 s1, exec_lo
	s_waitcnt lgkmcnt(0)
	s_barrier
	buffer_gl0_inv
	v_cmpx_gt_u32_e32 0xf0, v0
	s_cbranch_execz .LBB333_29
; %bb.28:
	ds_load_2addr_b32 v[3:4], v1 offset1:240
	s_waitcnt lgkmcnt(0)
	v_add_f32_e32 v3, v4, v3
	ds_store_b32 v1, v3
.LBB333_29:
	s_or_b32 exec_lo, exec_lo, s1
	s_delay_alu instid0(SALU_CYCLE_1)
	s_mov_b32 s1, exec_lo
	s_waitcnt lgkmcnt(0)
	s_barrier
	buffer_gl0_inv
	v_cmpx_gt_u32_e32 0x78, v0
	s_cbranch_execz .LBB333_31
; %bb.30:
	ds_load_2addr_b32 v[3:4], v1 offset1:120
	s_waitcnt lgkmcnt(0)
	v_add_f32_e32 v3, v4, v3
	ds_store_b32 v1, v3
.LBB333_31:
	;; [unrolled: 14-line block ×3, first 2 shown]
	s_or_b32 exec_lo, exec_lo, s1
	s_delay_alu instid0(SALU_CYCLE_1)
	s_mov_b32 s1, exec_lo
	s_waitcnt lgkmcnt(0)
	buffer_gl0_inv
                                        ; implicit-def: $vgpr3
	v_cmpx_gt_u32_e32 30, v0
; %bb.34:
	v_add_nc_u32_e32 v3, 30, v0
	s_or_b32 s0, s0, exec_lo
                                        ; implicit-def: $vgpr2
; %bb.35:
	s_or_b32 exec_lo, exec_lo, s1
	v_mov_b32_e32 v4, v1
.LBB333_36:
	s_and_saveexec_b32 s1, s0
	s_cbranch_execz .LBB333_38
; %bb.37:
	v_lshlrev_b32_e32 v1, 2, v3
	ds_load_b32 v2, v4
	ds_load_b32 v1, v1
	s_waitcnt lgkmcnt(0)
	v_add_f32_e32 v2, v2, v1
.LBB333_38:
	s_or_b32 exec_lo, exec_lo, s1
	s_delay_alu instid0(SALU_CYCLE_1)
	s_mov_b32 s0, exec_lo
	v_cmpx_gt_u32_e32 30, v0
	s_cbranch_execz .LBB333_42
; %bb.39:
	v_cmp_eq_f32_e64 s1, s8, 0
	v_mul_f32_e32 v1, s12, v2
	s_mov_b32 s3, 0
	s_mul_i32 s0, s11, 0x78
	s_mul_i32 s2, s10, 0x78
	s_and_b32 vcc_lo, exec_lo, s1
	s_mul_hi_u32 s1, s10, 0x78
	s_cbranch_vccz .LBB333_43
; %bb.40:
	v_lshlrev_b32_e32 v2, 2, v0
	s_add_i32 s5, s1, s0
	s_add_u32 s4, s14, s2
	s_addc_u32 s5, s15, s5
	global_store_b32 v2, v1, s[4:5]
	s_and_not1_b32 vcc_lo, exec_lo, s3
	s_cbranch_vccnz .LBB333_42
.LBB333_41:
	v_lshlrev_b32_e32 v0, 2, v0
	s_add_i32 s1, s1, s0
	s_add_u32 s0, s14, s2
	s_addc_u32 s1, s15, s1
	global_load_b32 v2, v0, s[0:1]
	s_waitcnt vmcnt(0)
	v_fmac_f32_e32 v1, s8, v2
	global_store_b32 v0, v1, s[0:1]
.LBB333_42:
	s_nop 0
	s_sendmsg sendmsg(MSG_DEALLOC_VGPRS)
	s_endpgm
.LBB333_43:
	s_branch .LBB333_41
	.section	.rodata,"a",@progbits
	.p2align	6, 0x0
	.amdhsa_kernel _ZN9rocsparseL20bsrxmvn_17_32_kernelILj30EfllDF16_DF16_fEEvT2_20rocsparse_direction_NS_24const_host_device_scalarIT0_EES1_PKS1_PKT1_SA_S7_PKT3_PKT4_S5_PT5_21rocsparse_index_base_b
		.amdhsa_group_segment_fixed_size 3600
		.amdhsa_private_segment_fixed_size 0
		.amdhsa_kernarg_size 104
		.amdhsa_user_sgpr_count 15
		.amdhsa_user_sgpr_dispatch_ptr 0
		.amdhsa_user_sgpr_queue_ptr 0
		.amdhsa_user_sgpr_kernarg_segment_ptr 1
		.amdhsa_user_sgpr_dispatch_id 0
		.amdhsa_user_sgpr_private_segment_size 0
		.amdhsa_wavefront_size32 1
		.amdhsa_uses_dynamic_stack 0
		.amdhsa_enable_private_segment 0
		.amdhsa_system_sgpr_workgroup_id_x 1
		.amdhsa_system_sgpr_workgroup_id_y 0
		.amdhsa_system_sgpr_workgroup_id_z 0
		.amdhsa_system_sgpr_workgroup_info 0
		.amdhsa_system_vgpr_workitem_id 0
		.amdhsa_next_free_vgpr 15
		.amdhsa_next_free_sgpr 24
		.amdhsa_reserve_vcc 1
		.amdhsa_float_round_mode_32 0
		.amdhsa_float_round_mode_16_64 0
		.amdhsa_float_denorm_mode_32 3
		.amdhsa_float_denorm_mode_16_64 3
		.amdhsa_dx10_clamp 1
		.amdhsa_ieee_mode 1
		.amdhsa_fp16_overflow 0
		.amdhsa_workgroup_processor_mode 1
		.amdhsa_memory_ordered 1
		.amdhsa_forward_progress 0
		.amdhsa_shared_vgpr_count 0
		.amdhsa_exception_fp_ieee_invalid_op 0
		.amdhsa_exception_fp_denorm_src 0
		.amdhsa_exception_fp_ieee_div_zero 0
		.amdhsa_exception_fp_ieee_overflow 0
		.amdhsa_exception_fp_ieee_underflow 0
		.amdhsa_exception_fp_ieee_inexact 0
		.amdhsa_exception_int_div_zero 0
	.end_amdhsa_kernel
	.section	.text._ZN9rocsparseL20bsrxmvn_17_32_kernelILj30EfllDF16_DF16_fEEvT2_20rocsparse_direction_NS_24const_host_device_scalarIT0_EES1_PKS1_PKT1_SA_S7_PKT3_PKT4_S5_PT5_21rocsparse_index_base_b,"axG",@progbits,_ZN9rocsparseL20bsrxmvn_17_32_kernelILj30EfllDF16_DF16_fEEvT2_20rocsparse_direction_NS_24const_host_device_scalarIT0_EES1_PKS1_PKT1_SA_S7_PKT3_PKT4_S5_PT5_21rocsparse_index_base_b,comdat
.Lfunc_end333:
	.size	_ZN9rocsparseL20bsrxmvn_17_32_kernelILj30EfllDF16_DF16_fEEvT2_20rocsparse_direction_NS_24const_host_device_scalarIT0_EES1_PKS1_PKT1_SA_S7_PKT3_PKT4_S5_PT5_21rocsparse_index_base_b, .Lfunc_end333-_ZN9rocsparseL20bsrxmvn_17_32_kernelILj30EfllDF16_DF16_fEEvT2_20rocsparse_direction_NS_24const_host_device_scalarIT0_EES1_PKS1_PKT1_SA_S7_PKT3_PKT4_S5_PT5_21rocsparse_index_base_b
                                        ; -- End function
	.section	.AMDGPU.csdata,"",@progbits
; Kernel info:
; codeLenInByte = 1604
; NumSgprs: 26
; NumVgprs: 15
; ScratchSize: 0
; MemoryBound: 0
; FloatMode: 240
; IeeeMode: 1
; LDSByteSize: 3600 bytes/workgroup (compile time only)
; SGPRBlocks: 3
; VGPRBlocks: 1
; NumSGPRsForWavesPerEU: 26
; NumVGPRsForWavesPerEU: 15
; Occupancy: 15
; WaveLimiterHint : 1
; COMPUTE_PGM_RSRC2:SCRATCH_EN: 0
; COMPUTE_PGM_RSRC2:USER_SGPR: 15
; COMPUTE_PGM_RSRC2:TRAP_HANDLER: 0
; COMPUTE_PGM_RSRC2:TGID_X_EN: 1
; COMPUTE_PGM_RSRC2:TGID_Y_EN: 0
; COMPUTE_PGM_RSRC2:TGID_Z_EN: 0
; COMPUTE_PGM_RSRC2:TIDIG_COMP_CNT: 0
	.section	.text._ZN9rocsparseL20bsrxmvn_17_32_kernelILj31EfllDF16_DF16_fEEvT2_20rocsparse_direction_NS_24const_host_device_scalarIT0_EES1_PKS1_PKT1_SA_S7_PKT3_PKT4_S5_PT5_21rocsparse_index_base_b,"axG",@progbits,_ZN9rocsparseL20bsrxmvn_17_32_kernelILj31EfllDF16_DF16_fEEvT2_20rocsparse_direction_NS_24const_host_device_scalarIT0_EES1_PKS1_PKT1_SA_S7_PKT3_PKT4_S5_PT5_21rocsparse_index_base_b,comdat
	.globl	_ZN9rocsparseL20bsrxmvn_17_32_kernelILj31EfllDF16_DF16_fEEvT2_20rocsparse_direction_NS_24const_host_device_scalarIT0_EES1_PKS1_PKT1_SA_S7_PKT3_PKT4_S5_PT5_21rocsparse_index_base_b ; -- Begin function _ZN9rocsparseL20bsrxmvn_17_32_kernelILj31EfllDF16_DF16_fEEvT2_20rocsparse_direction_NS_24const_host_device_scalarIT0_EES1_PKS1_PKT1_SA_S7_PKT3_PKT4_S5_PT5_21rocsparse_index_base_b
	.p2align	8
	.type	_ZN9rocsparseL20bsrxmvn_17_32_kernelILj31EfllDF16_DF16_fEEvT2_20rocsparse_direction_NS_24const_host_device_scalarIT0_EES1_PKS1_PKT1_SA_S7_PKT3_PKT4_S5_PT5_21rocsparse_index_base_b,@function
_ZN9rocsparseL20bsrxmvn_17_32_kernelILj31EfllDF16_DF16_fEEvT2_20rocsparse_direction_NS_24const_host_device_scalarIT0_EES1_PKS1_PKT1_SA_S7_PKT3_PKT4_S5_PT5_21rocsparse_index_base_b: ; @_ZN9rocsparseL20bsrxmvn_17_32_kernelILj31EfllDF16_DF16_fEEvT2_20rocsparse_direction_NS_24const_host_device_scalarIT0_EES1_PKS1_PKT1_SA_S7_PKT3_PKT4_S5_PT5_21rocsparse_index_base_b
; %bb.0:
	s_clause 0x2
	s_load_b64 s[16:17], s[0:1], 0x60
	s_load_b64 s[12:13], s[0:1], 0x10
	;; [unrolled: 1-line block ×3, first 2 shown]
	s_mov_b32 s10, s15
	s_waitcnt lgkmcnt(0)
	s_bitcmp1_b32 s17, 0
	s_cselect_b32 s2, -1, 0
	s_delay_alu instid0(SALU_CYCLE_1)
	s_and_b32 vcc_lo, exec_lo, s2
	s_xor_b32 s2, s2, -1
	s_cbranch_vccnz .LBB334_2
; %bb.1:
	s_load_b32 s12, s[12:13], 0x0
.LBB334_2:
	s_and_not1_b32 vcc_lo, exec_lo, s2
	s_cbranch_vccnz .LBB334_4
; %bb.3:
	s_load_b32 s8, s[8:9], 0x0
.LBB334_4:
	s_waitcnt lgkmcnt(0)
	v_cmp_neq_f32_e64 s2, s12, 0
	v_cmp_neq_f32_e64 s3, s8, 1.0
	s_mov_b32 s11, 0
	s_delay_alu instid0(VALU_DEP_1) | instskip(NEXT) | instid1(SALU_CYCLE_1)
	s_or_b32 s2, s2, s3
	s_and_not1_b32 vcc_lo, exec_lo, s2
	s_cbranch_vccnz .LBB334_42
; %bb.5:
	s_clause 0x1
	s_load_b128 s[4:7], s[0:1], 0x20
	s_load_b64 s[14:15], s[0:1], 0x30
	s_waitcnt lgkmcnt(0)
	s_cmp_eq_u64 s[4:5], 0
	s_cbranch_scc1 .LBB334_7
; %bb.6:
	s_lshl_b64 s[2:3], s[10:11], 3
	s_delay_alu instid0(SALU_CYCLE_1)
	s_add_u32 s2, s4, s2
	s_addc_u32 s3, s5, s3
	s_load_b64 s[2:3], s[2:3], 0x0
	s_waitcnt lgkmcnt(0)
	s_sub_u32 s10, s2, s16
	s_subb_u32 s11, s3, 0
.LBB334_7:
	s_load_b32 s3, s[0:1], 0x8
	v_mul_u32_u24_e32 v1, 0x843, v0
	s_delay_alu instid0(VALU_DEP_1) | instskip(NEXT) | instid1(VALU_DEP_1)
	v_lshrrev_b32_e32 v1, 16, v1
	v_mul_lo_u16 v2, v1, 31
	s_delay_alu instid0(VALU_DEP_1)
	v_sub_nc_u16 v9, v0, v2
	v_mov_b32_e32 v2, 0
	s_waitcnt lgkmcnt(0)
	s_cmp_eq_u32 s3, 1
	s_cselect_b32 s2, -1, 0
	s_cmp_lg_u32 s3, 1
	s_cselect_b32 s9, -1, 0
	s_lshl_b64 s[4:5], s[10:11], 3
	s_delay_alu instid0(SALU_CYCLE_1)
	s_add_u32 s6, s6, s4
	s_addc_u32 s7, s7, s5
	s_add_u32 s3, s6, 8
	s_addc_u32 s13, s7, 0
	;; [unrolled: 2-line block ×3, first 2 shown]
	s_cmp_eq_u64 s[14:15], 0
	s_load_b64 s[14:15], s[0:1], 0x58
	s_cselect_b32 s5, s13, s5
	s_cselect_b32 s4, s3, s4
	s_load_b64 s[18:19], s[6:7], 0x0
	s_load_b64 s[20:21], s[4:5], 0x0
	s_waitcnt lgkmcnt(0)
	v_cmp_ge_i64_e64 s3, s[18:19], s[20:21]
	s_delay_alu instid0(VALU_DEP_1)
	s_and_b32 vcc_lo, exec_lo, s3
	s_cbranch_vccnz .LBB334_12
; %bb.8:
	v_dual_mov_b32 v2, 0 :: v_dual_and_b32 v1, 0xffff, v1
	v_cmp_gt_u32_e32 vcc_lo, 0x3c1, v0
	s_clause 0x1
	s_load_b128 s[4:7], s[0:1], 0x38
	s_load_b64 s[22:23], s[0:1], 0x48
	v_and_b32_e32 v4, 0xffff, v9
	v_subrev_nc_u32_e32 v3, 31, v1
	s_sub_u32 s0, s20, s16
	s_subb_u32 s1, s21, 0
	s_delay_alu instid0(VALU_DEP_1) | instskip(SKIP_1) | instid1(VALU_DEP_2)
	v_cndmask_b32_e32 v1, v3, v1, vcc_lo
	v_cmp_lt_u32_e32 vcc_lo, 0x3c0, v0
	v_cndmask_b32_e64 v1, v4, v1, s2
	v_cndmask_b32_e64 v10, 0, 1, vcc_lo
	s_sub_u32 s2, s18, s16
	s_subb_u32 s3, s19, 0
	s_mul_hi_u32 s13, s2, 0x782
	v_lshlrev_b64 v[3:4], 1, v[1:2]
	v_add_co_u32 v1, s18, s18, v10
	s_delay_alu instid0(VALU_DEP_1) | instskip(SKIP_2) | instid1(VALU_DEP_3)
	v_add_co_ci_u32_e64 v6, null, s19, 0, s18
	s_mul_i32 s17, s3, 0x782
	s_waitcnt lgkmcnt(0)
	v_add_co_u32 v3, vcc_lo, s22, v3
	v_add_co_ci_u32_e32 v4, vcc_lo, s23, v4, vcc_lo
	v_sub_co_u32 v5, vcc_lo, v1, s16
	v_subrev_co_ci_u32_e32 v6, vcc_lo, 0, v6, vcc_lo
	v_lshlrev_b32_e32 v1, 1, v0
	s_add_i32 s13, s13, s17
	s_mul_i32 s17, s2, 0x782
	s_delay_alu instid0(VALU_DEP_2) | instskip(SKIP_3) | instid1(VALU_DEP_1)
	v_lshlrev_b64 v[7:8], 3, v[5:6]
	s_add_u32 s6, s6, s17
	s_addc_u32 s7, s7, s13
	v_add_co_u32 v5, s6, s6, v1
	v_add_co_ci_u32_e64 v6, null, s7, 0, s6
	s_delay_alu instid0(VALU_DEP_3)
	v_add_co_u32 v7, vcc_lo, s4, v7
	v_add_co_ci_u32_e32 v8, vcc_lo, s5, v8, vcc_lo
	s_set_inst_prefetch_distance 0x1
	s_branch .LBB334_10
	.p2align	6
.LBB334_9:                              ;   in Loop: Header=BB334_10 Depth=1
	s_or_b32 exec_lo, exec_lo, s4
	s_add_u32 s2, s2, 1
	s_addc_u32 s3, s3, 0
	v_add_co_u32 v7, vcc_lo, v7, 8
	v_cmp_lt_i64_e64 s4, s[2:3], s[0:1]
	v_add_co_ci_u32_e32 v8, vcc_lo, 0, v8, vcc_lo
	s_delay_alu instid0(VALU_DEP_2)
	s_and_b32 vcc_lo, exec_lo, s4
	s_cbranch_vccz .LBB334_12
.LBB334_10:                             ; =>This Inner Loop Header: Depth=1
	v_add_co_u32 v11, s4, v10, s2
	s_delay_alu instid0(VALU_DEP_1) | instskip(SKIP_1) | instid1(VALU_DEP_1)
	v_add_co_ci_u32_e64 v12, null, 0, s3, s4
	s_mov_b32 s4, exec_lo
	v_cmpx_gt_i64_e64 s[0:1], v[11:12]
	s_cbranch_execz .LBB334_9
; %bb.11:                               ;   in Loop: Header=BB334_10 Depth=1
	global_load_b64 v[11:12], v[7:8], off
	s_waitcnt vmcnt(0)
	v_sub_co_u32 v1, vcc_lo, v11, s16
	v_subrev_co_ci_u32_e32 v14, vcc_lo, 0, v12, vcc_lo
	s_delay_alu instid0(VALU_DEP_2) | instskip(NEXT) | instid1(VALU_DEP_1)
	v_mad_u64_u32 v[11:12], null, v1, 62, v[3:4]
	v_mov_b32_e32 v1, v12
	s_delay_alu instid0(VALU_DEP_1)
	v_mad_u64_u32 v[12:13], null, v14, 62, v[1:2]
	global_load_u16 v1, v[5:6], off
	global_load_u16 v11, v[11:12], off
	v_add_co_u32 v5, vcc_lo, 0x782, v5
	v_add_co_ci_u32_e32 v6, vcc_lo, 0, v6, vcc_lo
	s_waitcnt vmcnt(0)
	v_fma_mix_f32 v2, v1, v11, v2 op_sel_hi:[1,1,0]
	s_branch .LBB334_9
.LBB334_12:
	s_set_inst_prefetch_distance 0x2
	v_lshlrev_b32_e32 v1, 2, v0
	s_and_b32 vcc_lo, exec_lo, s9
	ds_store_b32 v1, v2
	s_waitcnt lgkmcnt(0)
	s_barrier
	buffer_gl0_inv
	s_cbranch_vccz .LBB334_24
; %bb.13:
	s_mov_b32 s0, exec_lo
	v_cmpx_gt_u16_e32 15, v9
	s_cbranch_execz .LBB334_15
; %bb.14:
	ds_load_2addr_b32 v[3:4], v1 offset1:16
	s_waitcnt lgkmcnt(0)
	v_add_f32_e32 v3, v4, v3
	ds_store_b32 v1, v3
.LBB334_15:
	s_or_b32 exec_lo, exec_lo, s0
	s_delay_alu instid0(SALU_CYCLE_1)
	s_mov_b32 s0, exec_lo
	s_waitcnt lgkmcnt(0)
	s_barrier
	buffer_gl0_inv
	v_cmpx_gt_u16_e32 8, v9
	s_cbranch_execz .LBB334_17
; %bb.16:
	ds_load_2addr_b32 v[3:4], v1 offset1:8
	s_waitcnt lgkmcnt(0)
	v_add_f32_e32 v3, v4, v3
	ds_store_b32 v1, v3
.LBB334_17:
	s_or_b32 exec_lo, exec_lo, s0
	s_delay_alu instid0(SALU_CYCLE_1)
	s_mov_b32 s0, exec_lo
	s_waitcnt lgkmcnt(0)
	s_barrier
	buffer_gl0_inv
	;; [unrolled: 14-line block ×3, first 2 shown]
	v_cmpx_gt_u16_e32 2, v9
	s_cbranch_execz .LBB334_21
; %bb.20:
	ds_load_2addr_b32 v[3:4], v1 offset1:2
	s_waitcnt lgkmcnt(0)
	v_add_f32_e32 v3, v4, v3
	ds_store_b32 v1, v3
.LBB334_21:
	s_or_b32 exec_lo, exec_lo, s0
	s_mov_b32 s1, 0
	s_mov_b32 s0, 0
	s_mov_b32 s2, exec_lo
	s_waitcnt lgkmcnt(0)
	s_barrier
	buffer_gl0_inv
                                        ; implicit-def: $vgpr3
                                        ; implicit-def: $vgpr4
	v_cmpx_gt_u32_e32 31, v0
	s_xor_b32 s2, exec_lo, s2
; %bb.22:
	v_mad_u32_u24 v3, v0, 31, 1
	v_mad_u32_u24 v4, 0x78, v0, v1
	s_mov_b32 s0, exec_lo
; %bb.23:
	s_or_b32 exec_lo, exec_lo, s2
	s_delay_alu instid0(SALU_CYCLE_1)
	s_and_b32 vcc_lo, exec_lo, s1
	s_cbranch_vccnz .LBB334_25
	s_branch .LBB334_36
.LBB334_24:
	s_mov_b32 s0, 0
                                        ; implicit-def: $vgpr3
                                        ; implicit-def: $vgpr4
	s_cbranch_execz .LBB334_36
.LBB334_25:
	s_mov_b32 s1, exec_lo
	v_cmpx_gt_u32_e32 0x1d1, v0
	s_cbranch_execz .LBB334_27
; %bb.26:
	ds_load_b32 v3, v1 offset:1984
	ds_load_b32 v4, v1
	s_waitcnt lgkmcnt(0)
	v_add_f32_e32 v3, v3, v4
	ds_store_b32 v1, v3
.LBB334_27:
	s_or_b32 exec_lo, exec_lo, s1
	s_delay_alu instid0(SALU_CYCLE_1)
	s_mov_b32 s1, exec_lo
	s_waitcnt lgkmcnt(0)
	s_barrier
	buffer_gl0_inv
	v_cmpx_gt_u32_e32 0xf8, v0
	s_cbranch_execz .LBB334_29
; %bb.28:
	ds_load_2addr_b32 v[3:4], v1 offset1:248
	s_waitcnt lgkmcnt(0)
	v_add_f32_e32 v3, v4, v3
	ds_store_b32 v1, v3
.LBB334_29:
	s_or_b32 exec_lo, exec_lo, s1
	s_delay_alu instid0(SALU_CYCLE_1)
	s_mov_b32 s1, exec_lo
	s_waitcnt lgkmcnt(0)
	s_barrier
	buffer_gl0_inv
	v_cmpx_gt_u32_e32 0x7c, v0
	s_cbranch_execz .LBB334_31
; %bb.30:
	ds_load_2addr_b32 v[3:4], v1 offset1:124
	s_waitcnt lgkmcnt(0)
	v_add_f32_e32 v3, v4, v3
	ds_store_b32 v1, v3
.LBB334_31:
	;; [unrolled: 14-line block ×3, first 2 shown]
	s_or_b32 exec_lo, exec_lo, s1
	s_delay_alu instid0(SALU_CYCLE_1)
	s_mov_b32 s1, exec_lo
	s_waitcnt lgkmcnt(0)
	buffer_gl0_inv
                                        ; implicit-def: $vgpr3
	v_cmpx_gt_u32_e32 31, v0
; %bb.34:
	v_add_nc_u32_e32 v3, 31, v0
	s_or_b32 s0, s0, exec_lo
                                        ; implicit-def: $vgpr2
; %bb.35:
	s_or_b32 exec_lo, exec_lo, s1
	v_mov_b32_e32 v4, v1
.LBB334_36:
	s_and_saveexec_b32 s1, s0
	s_cbranch_execz .LBB334_38
; %bb.37:
	v_lshlrev_b32_e32 v1, 2, v3
	ds_load_b32 v2, v4
	ds_load_b32 v1, v1
	s_waitcnt lgkmcnt(0)
	v_add_f32_e32 v2, v2, v1
.LBB334_38:
	s_or_b32 exec_lo, exec_lo, s1
	s_delay_alu instid0(SALU_CYCLE_1)
	s_mov_b32 s0, exec_lo
	v_cmpx_gt_u32_e32 31, v0
	s_cbranch_execz .LBB334_42
; %bb.39:
	v_cmp_eq_f32_e64 s1, s8, 0
	v_mul_f32_e32 v1, s12, v2
	s_mov_b32 s3, 0
	s_mul_i32 s0, s11, 0x7c
	s_mul_i32 s2, s10, 0x7c
	s_and_b32 vcc_lo, exec_lo, s1
	s_mul_hi_u32 s1, s10, 0x7c
	s_cbranch_vccz .LBB334_43
; %bb.40:
	v_lshlrev_b32_e32 v2, 2, v0
	s_add_i32 s5, s1, s0
	s_add_u32 s4, s14, s2
	s_addc_u32 s5, s15, s5
	global_store_b32 v2, v1, s[4:5]
	s_and_not1_b32 vcc_lo, exec_lo, s3
	s_cbranch_vccnz .LBB334_42
.LBB334_41:
	v_lshlrev_b32_e32 v0, 2, v0
	s_add_i32 s1, s1, s0
	s_add_u32 s0, s14, s2
	s_addc_u32 s1, s15, s1
	global_load_b32 v2, v0, s[0:1]
	s_waitcnt vmcnt(0)
	v_fmac_f32_e32 v1, s8, v2
	global_store_b32 v0, v1, s[0:1]
.LBB334_42:
	s_nop 0
	s_sendmsg sendmsg(MSG_DEALLOC_VGPRS)
	s_endpgm
.LBB334_43:
	s_branch .LBB334_41
	.section	.rodata,"a",@progbits
	.p2align	6, 0x0
	.amdhsa_kernel _ZN9rocsparseL20bsrxmvn_17_32_kernelILj31EfllDF16_DF16_fEEvT2_20rocsparse_direction_NS_24const_host_device_scalarIT0_EES1_PKS1_PKT1_SA_S7_PKT3_PKT4_S5_PT5_21rocsparse_index_base_b
		.amdhsa_group_segment_fixed_size 3844
		.amdhsa_private_segment_fixed_size 0
		.amdhsa_kernarg_size 104
		.amdhsa_user_sgpr_count 15
		.amdhsa_user_sgpr_dispatch_ptr 0
		.amdhsa_user_sgpr_queue_ptr 0
		.amdhsa_user_sgpr_kernarg_segment_ptr 1
		.amdhsa_user_sgpr_dispatch_id 0
		.amdhsa_user_sgpr_private_segment_size 0
		.amdhsa_wavefront_size32 1
		.amdhsa_uses_dynamic_stack 0
		.amdhsa_enable_private_segment 0
		.amdhsa_system_sgpr_workgroup_id_x 1
		.amdhsa_system_sgpr_workgroup_id_y 0
		.amdhsa_system_sgpr_workgroup_id_z 0
		.amdhsa_system_sgpr_workgroup_info 0
		.amdhsa_system_vgpr_workitem_id 0
		.amdhsa_next_free_vgpr 15
		.amdhsa_next_free_sgpr 24
		.amdhsa_reserve_vcc 1
		.amdhsa_float_round_mode_32 0
		.amdhsa_float_round_mode_16_64 0
		.amdhsa_float_denorm_mode_32 3
		.amdhsa_float_denorm_mode_16_64 3
		.amdhsa_dx10_clamp 1
		.amdhsa_ieee_mode 1
		.amdhsa_fp16_overflow 0
		.amdhsa_workgroup_processor_mode 1
		.amdhsa_memory_ordered 1
		.amdhsa_forward_progress 0
		.amdhsa_shared_vgpr_count 0
		.amdhsa_exception_fp_ieee_invalid_op 0
		.amdhsa_exception_fp_denorm_src 0
		.amdhsa_exception_fp_ieee_div_zero 0
		.amdhsa_exception_fp_ieee_overflow 0
		.amdhsa_exception_fp_ieee_underflow 0
		.amdhsa_exception_fp_ieee_inexact 0
		.amdhsa_exception_int_div_zero 0
	.end_amdhsa_kernel
	.section	.text._ZN9rocsparseL20bsrxmvn_17_32_kernelILj31EfllDF16_DF16_fEEvT2_20rocsparse_direction_NS_24const_host_device_scalarIT0_EES1_PKS1_PKT1_SA_S7_PKT3_PKT4_S5_PT5_21rocsparse_index_base_b,"axG",@progbits,_ZN9rocsparseL20bsrxmvn_17_32_kernelILj31EfllDF16_DF16_fEEvT2_20rocsparse_direction_NS_24const_host_device_scalarIT0_EES1_PKS1_PKT1_SA_S7_PKT3_PKT4_S5_PT5_21rocsparse_index_base_b,comdat
.Lfunc_end334:
	.size	_ZN9rocsparseL20bsrxmvn_17_32_kernelILj31EfllDF16_DF16_fEEvT2_20rocsparse_direction_NS_24const_host_device_scalarIT0_EES1_PKS1_PKT1_SA_S7_PKT3_PKT4_S5_PT5_21rocsparse_index_base_b, .Lfunc_end334-_ZN9rocsparseL20bsrxmvn_17_32_kernelILj31EfllDF16_DF16_fEEvT2_20rocsparse_direction_NS_24const_host_device_scalarIT0_EES1_PKS1_PKT1_SA_S7_PKT3_PKT4_S5_PT5_21rocsparse_index_base_b
                                        ; -- End function
	.section	.AMDGPU.csdata,"",@progbits
; Kernel info:
; codeLenInByte = 1600
; NumSgprs: 26
; NumVgprs: 15
; ScratchSize: 0
; MemoryBound: 0
; FloatMode: 240
; IeeeMode: 1
; LDSByteSize: 3844 bytes/workgroup (compile time only)
; SGPRBlocks: 3
; VGPRBlocks: 1
; NumSGPRsForWavesPerEU: 26
; NumVGPRsForWavesPerEU: 15
; Occupancy: 16
; WaveLimiterHint : 1
; COMPUTE_PGM_RSRC2:SCRATCH_EN: 0
; COMPUTE_PGM_RSRC2:USER_SGPR: 15
; COMPUTE_PGM_RSRC2:TRAP_HANDLER: 0
; COMPUTE_PGM_RSRC2:TGID_X_EN: 1
; COMPUTE_PGM_RSRC2:TGID_Y_EN: 0
; COMPUTE_PGM_RSRC2:TGID_Z_EN: 0
; COMPUTE_PGM_RSRC2:TIDIG_COMP_CNT: 0
	.section	.text._ZN9rocsparseL20bsrxmvn_17_32_kernelILj32EfllDF16_DF16_fEEvT2_20rocsparse_direction_NS_24const_host_device_scalarIT0_EES1_PKS1_PKT1_SA_S7_PKT3_PKT4_S5_PT5_21rocsparse_index_base_b,"axG",@progbits,_ZN9rocsparseL20bsrxmvn_17_32_kernelILj32EfllDF16_DF16_fEEvT2_20rocsparse_direction_NS_24const_host_device_scalarIT0_EES1_PKS1_PKT1_SA_S7_PKT3_PKT4_S5_PT5_21rocsparse_index_base_b,comdat
	.globl	_ZN9rocsparseL20bsrxmvn_17_32_kernelILj32EfllDF16_DF16_fEEvT2_20rocsparse_direction_NS_24const_host_device_scalarIT0_EES1_PKS1_PKT1_SA_S7_PKT3_PKT4_S5_PT5_21rocsparse_index_base_b ; -- Begin function _ZN9rocsparseL20bsrxmvn_17_32_kernelILj32EfllDF16_DF16_fEEvT2_20rocsparse_direction_NS_24const_host_device_scalarIT0_EES1_PKS1_PKT1_SA_S7_PKT3_PKT4_S5_PT5_21rocsparse_index_base_b
	.p2align	8
	.type	_ZN9rocsparseL20bsrxmvn_17_32_kernelILj32EfllDF16_DF16_fEEvT2_20rocsparse_direction_NS_24const_host_device_scalarIT0_EES1_PKS1_PKT1_SA_S7_PKT3_PKT4_S5_PT5_21rocsparse_index_base_b,@function
_ZN9rocsparseL20bsrxmvn_17_32_kernelILj32EfllDF16_DF16_fEEvT2_20rocsparse_direction_NS_24const_host_device_scalarIT0_EES1_PKS1_PKT1_SA_S7_PKT3_PKT4_S5_PT5_21rocsparse_index_base_b: ; @_ZN9rocsparseL20bsrxmvn_17_32_kernelILj32EfllDF16_DF16_fEEvT2_20rocsparse_direction_NS_24const_host_device_scalarIT0_EES1_PKS1_PKT1_SA_S7_PKT3_PKT4_S5_PT5_21rocsparse_index_base_b
; %bb.0:
	s_mov_b32 s10, s15
	s_clause 0x2
	s_load_b64 s[14:15], s[0:1], 0x60
	s_load_b64 s[12:13], s[0:1], 0x10
	;; [unrolled: 1-line block ×3, first 2 shown]
	s_waitcnt lgkmcnt(0)
	s_bitcmp1_b32 s15, 0
	s_cselect_b32 s2, -1, 0
	s_delay_alu instid0(SALU_CYCLE_1)
	s_and_b32 vcc_lo, exec_lo, s2
	s_xor_b32 s2, s2, -1
	s_cbranch_vccnz .LBB335_2
; %bb.1:
	s_load_b32 s12, s[12:13], 0x0
.LBB335_2:
	s_and_not1_b32 vcc_lo, exec_lo, s2
	s_cbranch_vccnz .LBB335_4
; %bb.3:
	s_load_b32 s8, s[8:9], 0x0
.LBB335_4:
	s_waitcnt lgkmcnt(0)
	v_cmp_neq_f32_e64 s2, s12, 0
	v_cmp_neq_f32_e64 s3, s8, 1.0
	s_mov_b32 s11, 0
	s_delay_alu instid0(VALU_DEP_1) | instskip(NEXT) | instid1(SALU_CYCLE_1)
	s_or_b32 s2, s2, s3
	s_and_not1_b32 vcc_lo, exec_lo, s2
	s_cbranch_vccnz .LBB335_40
; %bb.5:
	s_clause 0x1
	s_load_b128 s[4:7], s[0:1], 0x20
	s_load_b64 s[16:17], s[0:1], 0x30
	s_mov_b32 s15, s11
	s_waitcnt lgkmcnt(0)
	s_cmp_eq_u64 s[4:5], 0
	s_cbranch_scc1 .LBB335_7
; %bb.6:
	s_lshl_b64 s[2:3], s[10:11], 3
	s_delay_alu instid0(SALU_CYCLE_1)
	s_add_u32 s2, s4, s2
	s_addc_u32 s3, s5, s3
	s_load_b64 s[2:3], s[2:3], 0x0
	s_waitcnt lgkmcnt(0)
	s_sub_u32 s10, s2, s14
	s_subb_u32 s11, s3, 0
.LBB335_7:
	s_load_b32 s3, s[0:1], 0x8
	v_dual_mov_b32 v3, 0 :: v_dual_and_b32 v4, 31, v0
	s_waitcnt lgkmcnt(0)
	s_cmp_eq_u32 s3, 1
	s_cselect_b32 s2, -1, 0
	s_cmp_lg_u32 s3, 1
	s_cselect_b32 s9, -1, 0
	s_lshl_b64 s[4:5], s[10:11], 3
	s_delay_alu instid0(SALU_CYCLE_1)
	s_add_u32 s6, s6, s4
	s_addc_u32 s7, s7, s5
	s_add_u32 s3, s6, 8
	s_addc_u32 s13, s7, 0
	;; [unrolled: 2-line block ×3, first 2 shown]
	s_cmp_eq_u64 s[16:17], 0
	s_cselect_b32 s5, s13, s5
	s_cselect_b32 s4, s3, s4
	s_load_b64 s[6:7], s[6:7], 0x0
	s_load_b64 s[16:17], s[4:5], 0x0
	;; [unrolled: 1-line block ×3, first 2 shown]
	s_waitcnt lgkmcnt(0)
	v_cmp_ge_i64_e64 s3, s[6:7], s[16:17]
	s_delay_alu instid0(VALU_DEP_1)
	s_and_b32 vcc_lo, exec_lo, s3
	s_cbranch_vccnz .LBB335_10
; %bb.8:
	s_clause 0x1
	s_load_b64 s[18:19], s[0:1], 0x48
	s_load_b128 s[20:23], s[0:1], 0x38
	v_lshrrev_b32_e32 v1, 5, v0
	s_sub_u32 s0, s16, s14
	s_subb_u32 s1, s17, 0
	v_mov_b32_e32 v3, 0
	s_delay_alu instid0(VALU_DEP_2)
	v_cndmask_b32_e64 v1, v4, v1, s2
	s_sub_u32 s2, s6, s14
	s_subb_u32 s3, s7, 0
	s_lshl_b64 s[6:7], s[6:7], 3
	s_lshl_b64 s[16:17], s[2:3], 11
	v_lshlrev_b32_e32 v1, 1, v1
	v_lshl_or_b32 v2, v0, 1, s16
	v_mov_b32_e32 v7, s17
	s_lshl_b64 s[24:25], s[14:15], 3
	s_delay_alu instid0(SALU_CYCLE_1)
	s_sub_u32 s6, s6, s24
	s_subb_u32 s7, s7, s25
	s_waitcnt lgkmcnt(0)
	v_add_co_u32 v5, s13, s18, v1
	v_add_co_u32 v1, vcc_lo, s22, v2
	v_add_co_ci_u32_e64 v6, null, s19, 0, s13
	v_add_co_ci_u32_e32 v2, vcc_lo, s23, v7, vcc_lo
	s_add_u32 s6, s20, s6
	s_addc_u32 s7, s21, s7
	.p2align	6
.LBB335_9:                              ; =>This Inner Loop Header: Depth=1
	s_load_b64 s[16:17], s[6:7], 0x0
	s_waitcnt lgkmcnt(0)
	s_sub_u32 s16, s16, s14
	s_subb_u32 s17, s17, 0
	s_delay_alu instid0(SALU_CYCLE_1)
	s_lshl_b64 s[16:17], s[16:17], 6
	s_add_u32 s2, s2, 1
	v_add_co_u32 v7, vcc_lo, v5, s16
	v_add_co_ci_u32_e32 v8, vcc_lo, s17, v6, vcc_lo
	s_addc_u32 s3, s3, 0
	s_add_u32 s6, s6, 8
	global_load_u16 v9, v[1:2], off
	global_load_u16 v7, v[7:8], off
	v_cmp_lt_i64_e64 s13, s[2:3], s[0:1]
	v_add_co_u32 v1, vcc_lo, 0x800, v1
	v_add_co_ci_u32_e32 v2, vcc_lo, 0, v2, vcc_lo
	s_addc_u32 s7, s7, 0
	s_delay_alu instid0(VALU_DEP_3)
	s_and_b32 vcc_lo, exec_lo, s13
	s_waitcnt vmcnt(0)
	v_fma_mix_f32 v3, v9, v7, v3 op_sel_hi:[1,1,0]
	s_cbranch_vccnz .LBB335_9
.LBB335_10:
	v_lshlrev_b32_e32 v1, 2, v0
	s_and_b32 vcc_lo, exec_lo, s9
	ds_store_b32 v1, v3
	s_waitcnt lgkmcnt(0)
	s_barrier
	buffer_gl0_inv
	s_cbranch_vccz .LBB335_22
; %bb.11:
	s_mov_b32 s0, exec_lo
	v_cmpx_gt_u32_e32 16, v4
	s_cbranch_execz .LBB335_13
; %bb.12:
	ds_load_2addr_b32 v[5:6], v1 offset1:16
	s_waitcnt lgkmcnt(0)
	v_add_f32_e32 v2, v6, v5
	ds_store_b32 v1, v2
.LBB335_13:
	s_or_b32 exec_lo, exec_lo, s0
	s_delay_alu instid0(SALU_CYCLE_1)
	s_mov_b32 s0, exec_lo
	s_waitcnt lgkmcnt(0)
	s_barrier
	buffer_gl0_inv
	v_cmpx_gt_u32_e32 8, v4
	s_cbranch_execz .LBB335_15
; %bb.14:
	ds_load_2addr_b32 v[5:6], v1 offset1:8
	s_waitcnt lgkmcnt(0)
	v_add_f32_e32 v2, v6, v5
	ds_store_b32 v1, v2
.LBB335_15:
	s_or_b32 exec_lo, exec_lo, s0
	s_delay_alu instid0(SALU_CYCLE_1)
	s_mov_b32 s0, exec_lo
	s_waitcnt lgkmcnt(0)
	s_barrier
	buffer_gl0_inv
	;; [unrolled: 14-line block ×3, first 2 shown]
	v_cmpx_gt_u32_e32 2, v4
	s_cbranch_execz .LBB335_19
; %bb.18:
	ds_load_2addr_b32 v[4:5], v1 offset1:2
	s_waitcnt lgkmcnt(0)
	v_add_f32_e32 v2, v5, v4
	ds_store_b32 v1, v2
.LBB335_19:
	s_or_b32 exec_lo, exec_lo, s0
	s_mov_b32 s1, 0
	s_mov_b32 s0, 0
	s_mov_b32 s2, exec_lo
	s_waitcnt lgkmcnt(0)
	s_barrier
	buffer_gl0_inv
                                        ; implicit-def: $vgpr2
                                        ; implicit-def: $vgpr4
	v_cmpx_gt_u32_e32 32, v0
	s_xor_b32 s2, exec_lo, s2
; %bb.20:
	v_lshl_or_b32 v2, v0, 5, 1
	v_mad_u32_u24 v4, 0x7c, v0, v1
	s_mov_b32 s0, exec_lo
; %bb.21:
	s_or_b32 exec_lo, exec_lo, s2
	s_delay_alu instid0(SALU_CYCLE_1)
	s_and_b32 vcc_lo, exec_lo, s1
	s_cbranch_vccnz .LBB335_23
	s_branch .LBB335_34
.LBB335_22:
	s_mov_b32 s0, 0
                                        ; implicit-def: $vgpr2
                                        ; implicit-def: $vgpr4
	s_cbranch_execz .LBB335_34
.LBB335_23:
	s_mov_b32 s1, exec_lo
	v_cmpx_gt_u32_e32 0x200, v0
	s_cbranch_execz .LBB335_25
; %bb.24:
	ds_load_2addr_stride64_b32 v[4:5], v1 offset1:8
	s_waitcnt lgkmcnt(0)
	v_add_f32_e32 v2, v5, v4
	ds_store_b32 v1, v2
.LBB335_25:
	s_or_b32 exec_lo, exec_lo, s1
	s_delay_alu instid0(SALU_CYCLE_1)
	s_mov_b32 s1, exec_lo
	s_waitcnt lgkmcnt(0)
	s_barrier
	buffer_gl0_inv
	v_cmpx_gt_u32_e32 0x100, v0
	s_cbranch_execz .LBB335_27
; %bb.26:
	ds_load_2addr_stride64_b32 v[4:5], v1 offset1:4
	s_waitcnt lgkmcnt(0)
	v_add_f32_e32 v2, v5, v4
	ds_store_b32 v1, v2
.LBB335_27:
	s_or_b32 exec_lo, exec_lo, s1
	s_delay_alu instid0(SALU_CYCLE_1)
	s_mov_b32 s1, exec_lo
	s_waitcnt lgkmcnt(0)
	s_barrier
	buffer_gl0_inv
	v_cmpx_gt_u32_e32 0x80, v0
	s_cbranch_execz .LBB335_29
; %bb.28:
	ds_load_2addr_stride64_b32 v[4:5], v1 offset1:2
	s_waitcnt lgkmcnt(0)
	v_add_f32_e32 v2, v5, v4
	ds_store_b32 v1, v2
.LBB335_29:
	s_or_b32 exec_lo, exec_lo, s1
	s_delay_alu instid0(SALU_CYCLE_1)
	s_mov_b32 s1, exec_lo
	s_waitcnt lgkmcnt(0)
	s_barrier
	buffer_gl0_inv
	v_cmpx_gt_u32_e32 64, v0
	s_cbranch_execz .LBB335_31
; %bb.30:
	ds_load_2addr_stride64_b32 v[4:5], v1 offset1:1
	s_waitcnt lgkmcnt(0)
	v_add_f32_e32 v2, v5, v4
	ds_store_b32 v1, v2
.LBB335_31:
	s_or_b32 exec_lo, exec_lo, s1
	s_delay_alu instid0(SALU_CYCLE_1)
	s_mov_b32 s1, exec_lo
	s_waitcnt lgkmcnt(0)
	buffer_gl0_inv
                                        ; implicit-def: $vgpr2
	v_cmpx_gt_u32_e32 32, v0
; %bb.32:
	v_or_b32_e32 v2, 32, v0
	s_or_b32 s0, s0, exec_lo
                                        ; implicit-def: $vgpr3
; %bb.33:
	s_or_b32 exec_lo, exec_lo, s1
	v_mov_b32_e32 v4, v1
.LBB335_34:
	s_and_saveexec_b32 s1, s0
	s_cbranch_execz .LBB335_36
; %bb.35:
	v_lshlrev_b32_e32 v1, 2, v2
	ds_load_b32 v2, v4
	ds_load_b32 v1, v1
	s_waitcnt lgkmcnt(0)
	v_add_f32_e32 v3, v2, v1
.LBB335_36:
	s_or_b32 exec_lo, exec_lo, s1
	s_delay_alu instid0(SALU_CYCLE_1)
	s_mov_b32 s0, exec_lo
	v_cmpx_gt_u32_e32 32, v0
	s_cbranch_execz .LBB335_40
; %bb.37:
	v_cmp_eq_f32_e64 s0, s8, 0
	v_mul_f32_e32 v1, s12, v3
	s_delay_alu instid0(VALU_DEP_2)
	s_and_b32 vcc_lo, exec_lo, s0
	s_mov_b32 s0, 0
	s_cbranch_vccz .LBB335_41
; %bb.38:
	s_lshl_b64 s[2:3], s[10:11], 7
	v_lshlrev_b32_e32 v2, 2, v0
	s_add_u32 s2, s4, s2
	s_addc_u32 s3, s5, s3
	global_store_b32 v2, v1, s[2:3]
	s_and_not1_b32 vcc_lo, exec_lo, s0
	s_cbranch_vccnz .LBB335_40
.LBB335_39:
	s_lshl_b64 s[0:1], s[10:11], 7
	v_lshlrev_b32_e32 v0, 2, v0
	s_add_u32 s0, s4, s0
	s_addc_u32 s1, s5, s1
	global_load_b32 v2, v0, s[0:1]
	s_waitcnt vmcnt(0)
	v_fmac_f32_e32 v1, s8, v2
	global_store_b32 v0, v1, s[0:1]
.LBB335_40:
	s_nop 0
	s_sendmsg sendmsg(MSG_DEALLOC_VGPRS)
	s_endpgm
.LBB335_41:
	s_branch .LBB335_39
	.section	.rodata,"a",@progbits
	.p2align	6, 0x0
	.amdhsa_kernel _ZN9rocsparseL20bsrxmvn_17_32_kernelILj32EfllDF16_DF16_fEEvT2_20rocsparse_direction_NS_24const_host_device_scalarIT0_EES1_PKS1_PKT1_SA_S7_PKT3_PKT4_S5_PT5_21rocsparse_index_base_b
		.amdhsa_group_segment_fixed_size 4096
		.amdhsa_private_segment_fixed_size 0
		.amdhsa_kernarg_size 104
		.amdhsa_user_sgpr_count 15
		.amdhsa_user_sgpr_dispatch_ptr 0
		.amdhsa_user_sgpr_queue_ptr 0
		.amdhsa_user_sgpr_kernarg_segment_ptr 1
		.amdhsa_user_sgpr_dispatch_id 0
		.amdhsa_user_sgpr_private_segment_size 0
		.amdhsa_wavefront_size32 1
		.amdhsa_uses_dynamic_stack 0
		.amdhsa_enable_private_segment 0
		.amdhsa_system_sgpr_workgroup_id_x 1
		.amdhsa_system_sgpr_workgroup_id_y 0
		.amdhsa_system_sgpr_workgroup_id_z 0
		.amdhsa_system_sgpr_workgroup_info 0
		.amdhsa_system_vgpr_workitem_id 0
		.amdhsa_next_free_vgpr 10
		.amdhsa_next_free_sgpr 26
		.amdhsa_reserve_vcc 1
		.amdhsa_float_round_mode_32 0
		.amdhsa_float_round_mode_16_64 0
		.amdhsa_float_denorm_mode_32 3
		.amdhsa_float_denorm_mode_16_64 3
		.amdhsa_dx10_clamp 1
		.amdhsa_ieee_mode 1
		.amdhsa_fp16_overflow 0
		.amdhsa_workgroup_processor_mode 1
		.amdhsa_memory_ordered 1
		.amdhsa_forward_progress 0
		.amdhsa_shared_vgpr_count 0
		.amdhsa_exception_fp_ieee_invalid_op 0
		.amdhsa_exception_fp_denorm_src 0
		.amdhsa_exception_fp_ieee_div_zero 0
		.amdhsa_exception_fp_ieee_overflow 0
		.amdhsa_exception_fp_ieee_underflow 0
		.amdhsa_exception_fp_ieee_inexact 0
		.amdhsa_exception_int_div_zero 0
	.end_amdhsa_kernel
	.section	.text._ZN9rocsparseL20bsrxmvn_17_32_kernelILj32EfllDF16_DF16_fEEvT2_20rocsparse_direction_NS_24const_host_device_scalarIT0_EES1_PKS1_PKT1_SA_S7_PKT3_PKT4_S5_PT5_21rocsparse_index_base_b,"axG",@progbits,_ZN9rocsparseL20bsrxmvn_17_32_kernelILj32EfllDF16_DF16_fEEvT2_20rocsparse_direction_NS_24const_host_device_scalarIT0_EES1_PKS1_PKT1_SA_S7_PKT3_PKT4_S5_PT5_21rocsparse_index_base_b,comdat
.Lfunc_end335:
	.size	_ZN9rocsparseL20bsrxmvn_17_32_kernelILj32EfllDF16_DF16_fEEvT2_20rocsparse_direction_NS_24const_host_device_scalarIT0_EES1_PKS1_PKT1_SA_S7_PKT3_PKT4_S5_PT5_21rocsparse_index_base_b, .Lfunc_end335-_ZN9rocsparseL20bsrxmvn_17_32_kernelILj32EfllDF16_DF16_fEEvT2_20rocsparse_direction_NS_24const_host_device_scalarIT0_EES1_PKS1_PKT1_SA_S7_PKT3_PKT4_S5_PT5_21rocsparse_index_base_b
                                        ; -- End function
	.section	.AMDGPU.csdata,"",@progbits
; Kernel info:
; codeLenInByte = 1368
; NumSgprs: 28
; NumVgprs: 10
; ScratchSize: 0
; MemoryBound: 0
; FloatMode: 240
; IeeeMode: 1
; LDSByteSize: 4096 bytes/workgroup (compile time only)
; SGPRBlocks: 3
; VGPRBlocks: 1
; NumSGPRsForWavesPerEU: 28
; NumVGPRsForWavesPerEU: 10
; Occupancy: 16
; WaveLimiterHint : 1
; COMPUTE_PGM_RSRC2:SCRATCH_EN: 0
; COMPUTE_PGM_RSRC2:USER_SGPR: 15
; COMPUTE_PGM_RSRC2:TRAP_HANDLER: 0
; COMPUTE_PGM_RSRC2:TGID_X_EN: 1
; COMPUTE_PGM_RSRC2:TGID_Y_EN: 0
; COMPUTE_PGM_RSRC2:TGID_Z_EN: 0
; COMPUTE_PGM_RSRC2:TIDIG_COMP_CNT: 0
	.section	.text._ZN9rocsparseL20bsrxmvn_17_32_kernelILj17Efii18rocsparse_bfloat16S1_fEEvT2_20rocsparse_direction_NS_24const_host_device_scalarIT0_EES2_PKS2_PKT1_SB_S8_PKT3_PKT4_S6_PT5_21rocsparse_index_base_b,"axG",@progbits,_ZN9rocsparseL20bsrxmvn_17_32_kernelILj17Efii18rocsparse_bfloat16S1_fEEvT2_20rocsparse_direction_NS_24const_host_device_scalarIT0_EES2_PKS2_PKT1_SB_S8_PKT3_PKT4_S6_PT5_21rocsparse_index_base_b,comdat
	.globl	_ZN9rocsparseL20bsrxmvn_17_32_kernelILj17Efii18rocsparse_bfloat16S1_fEEvT2_20rocsparse_direction_NS_24const_host_device_scalarIT0_EES2_PKS2_PKT1_SB_S8_PKT3_PKT4_S6_PT5_21rocsparse_index_base_b ; -- Begin function _ZN9rocsparseL20bsrxmvn_17_32_kernelILj17Efii18rocsparse_bfloat16S1_fEEvT2_20rocsparse_direction_NS_24const_host_device_scalarIT0_EES2_PKS2_PKT1_SB_S8_PKT3_PKT4_S6_PT5_21rocsparse_index_base_b
	.p2align	8
	.type	_ZN9rocsparseL20bsrxmvn_17_32_kernelILj17Efii18rocsparse_bfloat16S1_fEEvT2_20rocsparse_direction_NS_24const_host_device_scalarIT0_EES2_PKS2_PKT1_SB_S8_PKT3_PKT4_S6_PT5_21rocsparse_index_base_b,@function
_ZN9rocsparseL20bsrxmvn_17_32_kernelILj17Efii18rocsparse_bfloat16S1_fEEvT2_20rocsparse_direction_NS_24const_host_device_scalarIT0_EES2_PKS2_PKT1_SB_S8_PKT3_PKT4_S6_PT5_21rocsparse_index_base_b: ; @_ZN9rocsparseL20bsrxmvn_17_32_kernelILj17Efii18rocsparse_bfloat16S1_fEEvT2_20rocsparse_direction_NS_24const_host_device_scalarIT0_EES2_PKS2_PKT1_SB_S8_PKT3_PKT4_S6_PT5_21rocsparse_index_base_b
; %bb.0:
	s_mov_b32 s8, s15
	s_clause 0x2
	s_load_b64 s[14:15], s[0:1], 0x58
	s_load_b64 s[10:11], s[0:1], 0x8
	;; [unrolled: 1-line block ×3, first 2 shown]
	s_waitcnt lgkmcnt(0)
	s_bitcmp1_b32 s15, 0
	s_cselect_b32 s4, -1, 0
	s_delay_alu instid0(SALU_CYCLE_1)
	s_and_b32 vcc_lo, exec_lo, s4
	s_xor_b32 s4, s4, -1
	s_cbranch_vccnz .LBB336_2
; %bb.1:
	s_load_b32 s10, s[10:11], 0x0
.LBB336_2:
	s_and_not1_b32 vcc_lo, exec_lo, s4
	s_cbranch_vccnz .LBB336_4
; %bb.3:
	s_load_b32 s2, s[2:3], 0x0
.LBB336_4:
	s_waitcnt lgkmcnt(0)
	v_cmp_neq_f32_e64 s3, s10, 0
	v_cmp_neq_f32_e64 s4, s2, 1.0
	s_delay_alu instid0(VALU_DEP_1) | instskip(NEXT) | instid1(SALU_CYCLE_1)
	s_or_b32 s3, s3, s4
	s_and_not1_b32 vcc_lo, exec_lo, s3
	s_cbranch_vccnz .LBB336_42
; %bb.5:
	s_clause 0x1
	s_load_b128 s[4:7], s[0:1], 0x18
	s_load_b64 s[12:13], s[0:1], 0x28
	s_waitcnt lgkmcnt(0)
	s_cmp_eq_u64 s[4:5], 0
	s_cbranch_scc1 .LBB336_7
; %bb.6:
	s_ashr_i32 s9, s8, 31
	s_delay_alu instid0(SALU_CYCLE_1) | instskip(NEXT) | instid1(SALU_CYCLE_1)
	s_lshl_b64 s[8:9], s[8:9], 2
	s_add_u32 s4, s4, s8
	s_addc_u32 s5, s5, s9
	s_load_b32 s3, s[4:5], 0x0
	s_waitcnt lgkmcnt(0)
	s_sub_i32 s8, s3, s14
.LBB336_7:
	s_load_b32 s3, s[0:1], 0x4
	v_mul_u32_u24_e32 v1, 0xf10, v0
	v_mov_b32_e32 v6, 0
	s_delay_alu instid0(VALU_DEP_2) | instskip(NEXT) | instid1(VALU_DEP_1)
	v_lshrrev_b32_e32 v1, 16, v1
	v_mul_lo_u16 v2, v1, 17
	s_delay_alu instid0(VALU_DEP_1)
	v_sub_nc_u16 v7, v0, v2
	s_waitcnt lgkmcnt(0)
	s_cmp_eq_u32 s3, 1
	s_cselect_b32 vcc_lo, -1, 0
	s_cmp_lg_u32 s3, 1
	s_cselect_b32 s3, -1, 0
	s_ashr_i32 s9, s8, 31
	s_delay_alu instid0(SALU_CYCLE_1) | instskip(NEXT) | instid1(SALU_CYCLE_1)
	s_lshl_b64 s[4:5], s[8:9], 2
	s_add_u32 s6, s6, s4
	s_addc_u32 s7, s7, s5
	s_add_u32 s9, s6, 4
	s_addc_u32 s11, s7, 0
	;; [unrolled: 2-line block ×3, first 2 shown]
	s_cmp_eq_u64 s[12:13], 0
	s_load_b64 s[12:13], s[0:1], 0x50
	s_cselect_b32 s5, s11, s5
	s_cselect_b32 s4, s9, s4
	s_load_b32 s11, s[6:7], 0x0
	s_load_b32 s9, s[4:5], 0x0
	s_waitcnt lgkmcnt(0)
	s_cmp_ge_i32 s11, s9
	s_cbranch_scc1 .LBB336_12
; %bb.8:
	v_mul_lo_u16 v2, v1, 31
	s_clause 0x1
	s_load_b128 s[4:7], s[0:1], 0x30
	s_load_b64 s[0:1], s[0:1], 0x40
	v_and_b32_e32 v5, 0xffff, v0
	s_sub_i32 s11, s11, s14
	v_lshrrev_b16 v2, 9, v2
	v_lshlrev_b32_e32 v4, 1, v0
	s_mul_i32 s16, s11, 0x242
	s_sub_i32 s9, s9, s14
	v_dual_mov_b32 v6, 0 :: v_dual_and_b32 v3, 0xffff, v7
	v_mul_lo_u16 v2, v2, 17
	v_mul_u32_u24_e32 v5, 0xe3, v5
	s_mul_hi_i32 s15, s11, 0x242
	s_delay_alu instid0(VALU_DEP_2) | instskip(NEXT) | instid1(VALU_DEP_1)
	v_sub_nc_u16 v1, v1, v2
	v_and_b32_e32 v8, 0xff, v1
	s_waitcnt lgkmcnt(0)
	s_add_u32 s6, s6, s16
	s_addc_u32 s7, s7, s15
	v_add_co_u32 v1, s6, s6, v4
	s_delay_alu instid0(VALU_DEP_1)
	v_add_co_ci_u32_e64 v2, null, s7, 0, s6
	v_cndmask_b32_e32 v3, v3, v8, vcc_lo
	v_lshrrev_b32_e32 v8, 16, v5
	s_set_inst_prefetch_distance 0x1
	s_branch .LBB336_10
	.p2align	6
.LBB336_9:                              ;   in Loop: Header=BB336_10 Depth=1
	s_or_b32 exec_lo, exec_lo, s6
	s_add_i32 s11, s11, 1
	s_delay_alu instid0(SALU_CYCLE_1)
	s_cmp_lt_i32 s11, s9
	s_cbranch_scc0 .LBB336_12
.LBB336_10:                             ; =>This Inner Loop Header: Depth=1
	s_delay_alu instid0(VALU_DEP_1) | instskip(SKIP_1) | instid1(VALU_DEP_1)
	v_add_nc_u32_e32 v4, s11, v8
	s_mov_b32 s6, exec_lo
	v_cmpx_gt_i32_e64 s9, v4
	s_cbranch_execz .LBB336_9
; %bb.11:                               ;   in Loop: Header=BB336_10 Depth=1
	v_ashrrev_i32_e32 v5, 31, v4
	s_delay_alu instid0(VALU_DEP_1) | instskip(NEXT) | instid1(VALU_DEP_1)
	v_lshlrev_b64 v[4:5], 2, v[4:5]
	v_add_co_u32 v4, vcc_lo, s4, v4
	s_delay_alu instid0(VALU_DEP_2) | instskip(SKIP_3) | instid1(VALU_DEP_1)
	v_add_co_ci_u32_e32 v5, vcc_lo, s5, v5, vcc_lo
	global_load_b32 v4, v[4:5], off
	s_waitcnt vmcnt(0)
	v_subrev_nc_u32_e32 v9, s14, v4
	v_mad_u64_u32 v[4:5], null, v9, 17, v[3:4]
	s_delay_alu instid0(VALU_DEP_1) | instskip(NEXT) | instid1(VALU_DEP_1)
	v_ashrrev_i32_e32 v5, 31, v4
	v_lshlrev_b64 v[4:5], 1, v[4:5]
	s_delay_alu instid0(VALU_DEP_1) | instskip(NEXT) | instid1(VALU_DEP_2)
	v_add_co_u32 v4, vcc_lo, s0, v4
	v_add_co_ci_u32_e32 v5, vcc_lo, s1, v5, vcc_lo
	global_load_u16 v9, v[1:2], off
	global_load_u16 v4, v[4:5], off
	v_add_co_u32 v1, vcc_lo, 0x242, v1
	v_add_co_ci_u32_e32 v2, vcc_lo, 0, v2, vcc_lo
	s_waitcnt vmcnt(1)
	v_lshlrev_b32_e32 v5, 16, v9
	s_waitcnt vmcnt(0)
	v_lshlrev_b32_e32 v4, 16, v4
	s_delay_alu instid0(VALU_DEP_1)
	v_fmac_f32_e32 v6, v5, v4
	s_branch .LBB336_9
.LBB336_12:
	s_set_inst_prefetch_distance 0x2
	v_lshlrev_b32_e32 v1, 2, v0
	s_and_b32 vcc_lo, exec_lo, s3
	ds_store_b32 v1, v6
	s_waitcnt lgkmcnt(0)
	s_barrier
	buffer_gl0_inv
	s_cbranch_vccz .LBB336_24
; %bb.13:
	s_mov_b32 s0, exec_lo
	v_cmpx_eq_u16_e32 0, v7
	s_cbranch_execz .LBB336_15
; %bb.14:
	ds_load_2addr_b32 v[2:3], v1 offset1:16
	s_waitcnt lgkmcnt(0)
	v_add_f32_e32 v2, v3, v2
	ds_store_b32 v1, v2
.LBB336_15:
	s_or_b32 exec_lo, exec_lo, s0
	s_delay_alu instid0(SALU_CYCLE_1)
	s_mov_b32 s0, exec_lo
	s_waitcnt lgkmcnt(0)
	s_barrier
	buffer_gl0_inv
	v_cmpx_gt_u16_e32 8, v7
	s_cbranch_execz .LBB336_17
; %bb.16:
	ds_load_2addr_b32 v[2:3], v1 offset1:8
	s_waitcnt lgkmcnt(0)
	v_add_f32_e32 v2, v3, v2
	ds_store_b32 v1, v2
.LBB336_17:
	s_or_b32 exec_lo, exec_lo, s0
	s_delay_alu instid0(SALU_CYCLE_1)
	s_mov_b32 s0, exec_lo
	s_waitcnt lgkmcnt(0)
	s_barrier
	buffer_gl0_inv
	v_cmpx_gt_u16_e32 4, v7
	;; [unrolled: 14-line block ×3, first 2 shown]
	s_cbranch_execz .LBB336_21
; %bb.20:
	ds_load_2addr_b32 v[2:3], v1 offset1:2
	s_waitcnt lgkmcnt(0)
	v_add_f32_e32 v2, v3, v2
	ds_store_b32 v1, v2
.LBB336_21:
	s_or_b32 exec_lo, exec_lo, s0
	s_mov_b32 s0, 0
	s_mov_b32 s1, 0
	s_mov_b32 s3, exec_lo
	s_waitcnt lgkmcnt(0)
	s_barrier
	buffer_gl0_inv
                                        ; implicit-def: $vgpr2
                                        ; implicit-def: $vgpr3
	v_cmpx_gt_u32_e32 17, v0
	s_xor_b32 s3, exec_lo, s3
; %bb.22:
	v_mad_u32_u24 v2, v0, 17, 1
	v_lshl_add_u32 v3, v0, 6, v1
	s_mov_b32 s1, exec_lo
; %bb.23:
	s_or_b32 exec_lo, exec_lo, s3
	s_delay_alu instid0(SALU_CYCLE_1)
	s_and_b32 vcc_lo, exec_lo, s0
	v_cmp_gt_u32_e64 s0, 17, v0
	s_cbranch_vccnz .LBB336_25
	s_branch .LBB336_36
.LBB336_24:
	s_mov_b32 s1, 0
                                        ; implicit-def: $vgpr2
                                        ; implicit-def: $vgpr3
	v_cmp_gt_u32_e64 s0, 17, v0
	s_cbranch_execz .LBB336_36
.LBB336_25:
	s_delay_alu instid0(VALU_DEP_1)
	s_and_saveexec_b32 s3, s0
	s_cbranch_execz .LBB336_27
; %bb.26:
	ds_load_b32 v2, v1 offset:1088
	ds_load_b32 v3, v1
	s_waitcnt lgkmcnt(0)
	v_add_f32_e32 v2, v2, v3
	ds_store_b32 v1, v2
.LBB336_27:
	s_or_b32 exec_lo, exec_lo, s3
	s_delay_alu instid0(SALU_CYCLE_1)
	s_mov_b32 s3, exec_lo
	s_waitcnt lgkmcnt(0)
	s_barrier
	buffer_gl0_inv
	v_cmpx_gt_u32_e32 0x88, v0
	s_cbranch_execz .LBB336_29
; %bb.28:
	ds_load_2addr_b32 v[2:3], v1 offset1:136
	s_waitcnt lgkmcnt(0)
	v_add_f32_e32 v2, v3, v2
	ds_store_b32 v1, v2
.LBB336_29:
	s_or_b32 exec_lo, exec_lo, s3
	s_delay_alu instid0(SALU_CYCLE_1)
	s_mov_b32 s3, exec_lo
	s_waitcnt lgkmcnt(0)
	s_barrier
	buffer_gl0_inv
	v_cmpx_gt_u32_e32 0x44, v0
	s_cbranch_execz .LBB336_31
; %bb.30:
	ds_load_2addr_b32 v[2:3], v1 offset1:68
	s_waitcnt lgkmcnt(0)
	v_add_f32_e32 v2, v3, v2
	ds_store_b32 v1, v2
.LBB336_31:
	s_or_b32 exec_lo, exec_lo, s3
	s_delay_alu instid0(SALU_CYCLE_1)
	s_mov_b32 s3, exec_lo
	s_waitcnt lgkmcnt(0)
	s_barrier
	buffer_gl0_inv
	v_cmpx_gt_u32_e32 34, v0
	s_cbranch_execz .LBB336_33
; %bb.32:
	ds_load_2addr_b32 v[2:3], v1 offset1:34
	s_waitcnt lgkmcnt(0)
	v_add_f32_e32 v2, v3, v2
	ds_store_b32 v1, v2
.LBB336_33:
	s_or_b32 exec_lo, exec_lo, s3
	s_waitcnt lgkmcnt(0)
	buffer_gl0_inv
                                        ; implicit-def: $vgpr2
	s_and_saveexec_b32 s3, s0
; %bb.34:
	v_add_nc_u32_e32 v2, 17, v0
	s_or_b32 s1, s1, exec_lo
                                        ; implicit-def: $vgpr6
; %bb.35:
	s_or_b32 exec_lo, exec_lo, s3
	v_mov_b32_e32 v3, v1
.LBB336_36:
	s_and_saveexec_b32 s0, s1
	s_cbranch_execz .LBB336_38
; %bb.37:
	v_lshlrev_b32_e32 v1, 2, v2
	ds_load_b32 v2, v3
	ds_load_b32 v1, v1
	s_waitcnt lgkmcnt(0)
	v_add_f32_e32 v6, v2, v1
.LBB336_38:
	s_or_b32 exec_lo, exec_lo, s0
	s_delay_alu instid0(SALU_CYCLE_1)
	s_mov_b32 s0, exec_lo
	v_cmpx_gt_u32_e32 17, v0
	s_cbranch_execz .LBB336_42
; %bb.39:
	v_cmp_eq_f32_e64 s0, s2, 0
	v_mul_f32_e32 v1, s10, v6
	s_delay_alu instid0(VALU_DEP_2)
	s_and_b32 vcc_lo, exec_lo, s0
	s_mov_b32 s0, 0
	s_cbranch_vccz .LBB336_43
; %bb.40:
	s_delay_alu instid0(VALU_DEP_1) | instskip(SKIP_1) | instid1(VALU_DEP_1)
	v_mad_u64_u32 v[2:3], null, s8, 17, v[0:1]
	v_mov_b32_e32 v3, 0
	v_lshlrev_b64 v[2:3], 2, v[2:3]
	s_delay_alu instid0(VALU_DEP_1) | instskip(NEXT) | instid1(VALU_DEP_2)
	v_add_co_u32 v2, vcc_lo, s12, v2
	v_add_co_ci_u32_e32 v3, vcc_lo, s13, v3, vcc_lo
	global_store_b32 v[2:3], v1, off
	s_and_not1_b32 vcc_lo, exec_lo, s0
	s_cbranch_vccnz .LBB336_42
.LBB336_41:
	v_mad_u64_u32 v[2:3], null, s8, 17, v[0:1]
	v_mov_b32_e32 v3, 0
	s_delay_alu instid0(VALU_DEP_1) | instskip(NEXT) | instid1(VALU_DEP_1)
	v_lshlrev_b64 v[2:3], 2, v[2:3]
	v_add_co_u32 v2, vcc_lo, s12, v2
	s_delay_alu instid0(VALU_DEP_2)
	v_add_co_ci_u32_e32 v3, vcc_lo, s13, v3, vcc_lo
	global_load_b32 v0, v[2:3], off
	s_waitcnt vmcnt(0)
	v_fmac_f32_e32 v1, s2, v0
	global_store_b32 v[2:3], v1, off
.LBB336_42:
	s_nop 0
	s_sendmsg sendmsg(MSG_DEALLOC_VGPRS)
	s_endpgm
.LBB336_43:
	s_branch .LBB336_41
	.section	.rodata,"a",@progbits
	.p2align	6, 0x0
	.amdhsa_kernel _ZN9rocsparseL20bsrxmvn_17_32_kernelILj17Efii18rocsparse_bfloat16S1_fEEvT2_20rocsparse_direction_NS_24const_host_device_scalarIT0_EES2_PKS2_PKT1_SB_S8_PKT3_PKT4_S6_PT5_21rocsparse_index_base_b
		.amdhsa_group_segment_fixed_size 1156
		.amdhsa_private_segment_fixed_size 0
		.amdhsa_kernarg_size 96
		.amdhsa_user_sgpr_count 15
		.amdhsa_user_sgpr_dispatch_ptr 0
		.amdhsa_user_sgpr_queue_ptr 0
		.amdhsa_user_sgpr_kernarg_segment_ptr 1
		.amdhsa_user_sgpr_dispatch_id 0
		.amdhsa_user_sgpr_private_segment_size 0
		.amdhsa_wavefront_size32 1
		.amdhsa_uses_dynamic_stack 0
		.amdhsa_enable_private_segment 0
		.amdhsa_system_sgpr_workgroup_id_x 1
		.amdhsa_system_sgpr_workgroup_id_y 0
		.amdhsa_system_sgpr_workgroup_id_z 0
		.amdhsa_system_sgpr_workgroup_info 0
		.amdhsa_system_vgpr_workitem_id 0
		.amdhsa_next_free_vgpr 10
		.amdhsa_next_free_sgpr 17
		.amdhsa_reserve_vcc 1
		.amdhsa_float_round_mode_32 0
		.amdhsa_float_round_mode_16_64 0
		.amdhsa_float_denorm_mode_32 3
		.amdhsa_float_denorm_mode_16_64 3
		.amdhsa_dx10_clamp 1
		.amdhsa_ieee_mode 1
		.amdhsa_fp16_overflow 0
		.amdhsa_workgroup_processor_mode 1
		.amdhsa_memory_ordered 1
		.amdhsa_forward_progress 0
		.amdhsa_shared_vgpr_count 0
		.amdhsa_exception_fp_ieee_invalid_op 0
		.amdhsa_exception_fp_denorm_src 0
		.amdhsa_exception_fp_ieee_div_zero 0
		.amdhsa_exception_fp_ieee_overflow 0
		.amdhsa_exception_fp_ieee_underflow 0
		.amdhsa_exception_fp_ieee_inexact 0
		.amdhsa_exception_int_div_zero 0
	.end_amdhsa_kernel
	.section	.text._ZN9rocsparseL20bsrxmvn_17_32_kernelILj17Efii18rocsparse_bfloat16S1_fEEvT2_20rocsparse_direction_NS_24const_host_device_scalarIT0_EES2_PKS2_PKT1_SB_S8_PKT3_PKT4_S6_PT5_21rocsparse_index_base_b,"axG",@progbits,_ZN9rocsparseL20bsrxmvn_17_32_kernelILj17Efii18rocsparse_bfloat16S1_fEEvT2_20rocsparse_direction_NS_24const_host_device_scalarIT0_EES2_PKS2_PKT1_SB_S8_PKT3_PKT4_S6_PT5_21rocsparse_index_base_b,comdat
.Lfunc_end336:
	.size	_ZN9rocsparseL20bsrxmvn_17_32_kernelILj17Efii18rocsparse_bfloat16S1_fEEvT2_20rocsparse_direction_NS_24const_host_device_scalarIT0_EES2_PKS2_PKT1_SB_S8_PKT3_PKT4_S6_PT5_21rocsparse_index_base_b, .Lfunc_end336-_ZN9rocsparseL20bsrxmvn_17_32_kernelILj17Efii18rocsparse_bfloat16S1_fEEvT2_20rocsparse_direction_NS_24const_host_device_scalarIT0_EES2_PKS2_PKT1_SB_S8_PKT3_PKT4_S6_PT5_21rocsparse_index_base_b
                                        ; -- End function
	.section	.AMDGPU.csdata,"",@progbits
; Kernel info:
; codeLenInByte = 1548
; NumSgprs: 19
; NumVgprs: 10
; ScratchSize: 0
; MemoryBound: 0
; FloatMode: 240
; IeeeMode: 1
; LDSByteSize: 1156 bytes/workgroup (compile time only)
; SGPRBlocks: 2
; VGPRBlocks: 1
; NumSGPRsForWavesPerEU: 19
; NumVGPRsForWavesPerEU: 10
; Occupancy: 15
; WaveLimiterHint : 1
; COMPUTE_PGM_RSRC2:SCRATCH_EN: 0
; COMPUTE_PGM_RSRC2:USER_SGPR: 15
; COMPUTE_PGM_RSRC2:TRAP_HANDLER: 0
; COMPUTE_PGM_RSRC2:TGID_X_EN: 1
; COMPUTE_PGM_RSRC2:TGID_Y_EN: 0
; COMPUTE_PGM_RSRC2:TGID_Z_EN: 0
; COMPUTE_PGM_RSRC2:TIDIG_COMP_CNT: 0
	.section	.text._ZN9rocsparseL20bsrxmvn_17_32_kernelILj18Efii18rocsparse_bfloat16S1_fEEvT2_20rocsparse_direction_NS_24const_host_device_scalarIT0_EES2_PKS2_PKT1_SB_S8_PKT3_PKT4_S6_PT5_21rocsparse_index_base_b,"axG",@progbits,_ZN9rocsparseL20bsrxmvn_17_32_kernelILj18Efii18rocsparse_bfloat16S1_fEEvT2_20rocsparse_direction_NS_24const_host_device_scalarIT0_EES2_PKS2_PKT1_SB_S8_PKT3_PKT4_S6_PT5_21rocsparse_index_base_b,comdat
	.globl	_ZN9rocsparseL20bsrxmvn_17_32_kernelILj18Efii18rocsparse_bfloat16S1_fEEvT2_20rocsparse_direction_NS_24const_host_device_scalarIT0_EES2_PKS2_PKT1_SB_S8_PKT3_PKT4_S6_PT5_21rocsparse_index_base_b ; -- Begin function _ZN9rocsparseL20bsrxmvn_17_32_kernelILj18Efii18rocsparse_bfloat16S1_fEEvT2_20rocsparse_direction_NS_24const_host_device_scalarIT0_EES2_PKS2_PKT1_SB_S8_PKT3_PKT4_S6_PT5_21rocsparse_index_base_b
	.p2align	8
	.type	_ZN9rocsparseL20bsrxmvn_17_32_kernelILj18Efii18rocsparse_bfloat16S1_fEEvT2_20rocsparse_direction_NS_24const_host_device_scalarIT0_EES2_PKS2_PKT1_SB_S8_PKT3_PKT4_S6_PT5_21rocsparse_index_base_b,@function
_ZN9rocsparseL20bsrxmvn_17_32_kernelILj18Efii18rocsparse_bfloat16S1_fEEvT2_20rocsparse_direction_NS_24const_host_device_scalarIT0_EES2_PKS2_PKT1_SB_S8_PKT3_PKT4_S6_PT5_21rocsparse_index_base_b: ; @_ZN9rocsparseL20bsrxmvn_17_32_kernelILj18Efii18rocsparse_bfloat16S1_fEEvT2_20rocsparse_direction_NS_24const_host_device_scalarIT0_EES2_PKS2_PKT1_SB_S8_PKT3_PKT4_S6_PT5_21rocsparse_index_base_b
; %bb.0:
	s_mov_b32 s8, s15
	s_clause 0x2
	s_load_b64 s[14:15], s[0:1], 0x58
	s_load_b64 s[10:11], s[0:1], 0x8
	;; [unrolled: 1-line block ×3, first 2 shown]
	s_waitcnt lgkmcnt(0)
	s_bitcmp1_b32 s15, 0
	s_cselect_b32 s4, -1, 0
	s_delay_alu instid0(SALU_CYCLE_1)
	s_and_b32 vcc_lo, exec_lo, s4
	s_xor_b32 s4, s4, -1
	s_cbranch_vccnz .LBB337_2
; %bb.1:
	s_load_b32 s10, s[10:11], 0x0
.LBB337_2:
	s_and_not1_b32 vcc_lo, exec_lo, s4
	s_cbranch_vccnz .LBB337_4
; %bb.3:
	s_load_b32 s2, s[2:3], 0x0
.LBB337_4:
	s_waitcnt lgkmcnt(0)
	v_cmp_neq_f32_e64 s3, s10, 0
	v_cmp_neq_f32_e64 s4, s2, 1.0
	s_delay_alu instid0(VALU_DEP_1) | instskip(NEXT) | instid1(SALU_CYCLE_1)
	s_or_b32 s3, s3, s4
	s_and_not1_b32 vcc_lo, exec_lo, s3
	s_cbranch_vccnz .LBB337_42
; %bb.5:
	s_clause 0x1
	s_load_b128 s[4:7], s[0:1], 0x18
	s_load_b64 s[12:13], s[0:1], 0x28
	s_waitcnt lgkmcnt(0)
	s_cmp_eq_u64 s[4:5], 0
	s_cbranch_scc1 .LBB337_7
; %bb.6:
	s_ashr_i32 s9, s8, 31
	s_delay_alu instid0(SALU_CYCLE_1) | instskip(NEXT) | instid1(SALU_CYCLE_1)
	s_lshl_b64 s[8:9], s[8:9], 2
	s_add_u32 s4, s4, s8
	s_addc_u32 s5, s5, s9
	s_load_b32 s3, s[4:5], 0x0
	s_waitcnt lgkmcnt(0)
	s_sub_i32 s8, s3, s14
.LBB337_7:
	s_load_b32 s3, s[0:1], 0x4
	v_mul_u32_u24_e32 v1, 0xe39, v0
	v_mov_b32_e32 v6, 0
	s_delay_alu instid0(VALU_DEP_2) | instskip(NEXT) | instid1(VALU_DEP_1)
	v_lshrrev_b32_e32 v1, 16, v1
	v_mul_lo_u16 v2, v1, 18
	s_delay_alu instid0(VALU_DEP_1)
	v_sub_nc_u16 v7, v0, v2
	s_waitcnt lgkmcnt(0)
	s_cmp_eq_u32 s3, 1
	s_cselect_b32 vcc_lo, -1, 0
	s_cmp_lg_u32 s3, 1
	s_cselect_b32 s3, -1, 0
	s_ashr_i32 s9, s8, 31
	s_delay_alu instid0(SALU_CYCLE_1) | instskip(NEXT) | instid1(SALU_CYCLE_1)
	s_lshl_b64 s[4:5], s[8:9], 2
	s_add_u32 s6, s6, s4
	s_addc_u32 s7, s7, s5
	s_add_u32 s9, s6, 4
	s_addc_u32 s11, s7, 0
	;; [unrolled: 2-line block ×3, first 2 shown]
	s_cmp_eq_u64 s[12:13], 0
	s_load_b64 s[12:13], s[0:1], 0x50
	s_cselect_b32 s5, s11, s5
	s_cselect_b32 s4, s9, s4
	s_load_b32 s11, s[6:7], 0x0
	s_load_b32 s9, s[4:5], 0x0
	s_waitcnt lgkmcnt(0)
	s_cmp_ge_i32 s11, s9
	s_cbranch_scc1 .LBB337_12
; %bb.8:
	v_mul_lo_u16 v2, v1, 15
	s_clause 0x1
	s_load_b128 s[4:7], s[0:1], 0x30
	s_load_b64 s[0:1], s[0:1], 0x40
	v_and_b32_e32 v5, 0xffff, v0
	s_sub_i32 s11, s11, s14
	v_lshrrev_b16 v2, 8, v2
	v_lshlrev_b32_e32 v4, 1, v0
	s_mul_i32 s16, s11, 0x288
	s_sub_i32 s9, s9, s14
	v_dual_mov_b32 v6, 0 :: v_dual_and_b32 v3, 0xffff, v7
	v_mul_lo_u16 v2, v2, 18
	v_mul_u32_u24_e32 v5, 0x195, v5
	s_mul_hi_i32 s15, s11, 0x288
	s_delay_alu instid0(VALU_DEP_2) | instskip(NEXT) | instid1(VALU_DEP_1)
	v_sub_nc_u16 v1, v1, v2
	v_and_b32_e32 v8, 0xff, v1
	s_waitcnt lgkmcnt(0)
	s_add_u32 s6, s6, s16
	s_addc_u32 s7, s7, s15
	v_add_co_u32 v1, s6, s6, v4
	s_delay_alu instid0(VALU_DEP_1)
	v_add_co_ci_u32_e64 v2, null, s7, 0, s6
	v_cndmask_b32_e32 v3, v3, v8, vcc_lo
	v_lshrrev_b32_e32 v8, 17, v5
	s_set_inst_prefetch_distance 0x1
	s_branch .LBB337_10
	.p2align	6
.LBB337_9:                              ;   in Loop: Header=BB337_10 Depth=1
	s_or_b32 exec_lo, exec_lo, s6
	s_add_i32 s11, s11, 1
	s_delay_alu instid0(SALU_CYCLE_1)
	s_cmp_lt_i32 s11, s9
	s_cbranch_scc0 .LBB337_12
.LBB337_10:                             ; =>This Inner Loop Header: Depth=1
	s_delay_alu instid0(VALU_DEP_1) | instskip(SKIP_1) | instid1(VALU_DEP_1)
	v_add_nc_u32_e32 v4, s11, v8
	s_mov_b32 s6, exec_lo
	v_cmpx_gt_i32_e64 s9, v4
	s_cbranch_execz .LBB337_9
; %bb.11:                               ;   in Loop: Header=BB337_10 Depth=1
	v_ashrrev_i32_e32 v5, 31, v4
	s_delay_alu instid0(VALU_DEP_1) | instskip(NEXT) | instid1(VALU_DEP_1)
	v_lshlrev_b64 v[4:5], 2, v[4:5]
	v_add_co_u32 v4, vcc_lo, s4, v4
	s_delay_alu instid0(VALU_DEP_2) | instskip(SKIP_3) | instid1(VALU_DEP_1)
	v_add_co_ci_u32_e32 v5, vcc_lo, s5, v5, vcc_lo
	global_load_b32 v4, v[4:5], off
	s_waitcnt vmcnt(0)
	v_subrev_nc_u32_e32 v9, s14, v4
	v_mad_u64_u32 v[4:5], null, v9, 18, v[3:4]
	s_delay_alu instid0(VALU_DEP_1) | instskip(NEXT) | instid1(VALU_DEP_1)
	v_ashrrev_i32_e32 v5, 31, v4
	v_lshlrev_b64 v[4:5], 1, v[4:5]
	s_delay_alu instid0(VALU_DEP_1) | instskip(NEXT) | instid1(VALU_DEP_2)
	v_add_co_u32 v4, vcc_lo, s0, v4
	v_add_co_ci_u32_e32 v5, vcc_lo, s1, v5, vcc_lo
	global_load_u16 v9, v[1:2], off
	global_load_u16 v4, v[4:5], off
	v_add_co_u32 v1, vcc_lo, 0x288, v1
	v_add_co_ci_u32_e32 v2, vcc_lo, 0, v2, vcc_lo
	s_waitcnt vmcnt(1)
	v_lshlrev_b32_e32 v5, 16, v9
	s_waitcnt vmcnt(0)
	v_lshlrev_b32_e32 v4, 16, v4
	s_delay_alu instid0(VALU_DEP_1)
	v_fmac_f32_e32 v6, v5, v4
	s_branch .LBB337_9
.LBB337_12:
	s_set_inst_prefetch_distance 0x2
	v_lshlrev_b32_e32 v1, 2, v0
	s_and_b32 vcc_lo, exec_lo, s3
	ds_store_b32 v1, v6
	s_waitcnt lgkmcnt(0)
	s_barrier
	buffer_gl0_inv
	s_cbranch_vccz .LBB337_24
; %bb.13:
	v_cmp_gt_u16_e32 vcc_lo, 2, v7
	s_and_saveexec_b32 s0, vcc_lo
	s_cbranch_execz .LBB337_15
; %bb.14:
	ds_load_2addr_b32 v[2:3], v1 offset1:16
	s_waitcnt lgkmcnt(0)
	v_add_f32_e32 v2, v3, v2
	ds_store_b32 v1, v2
.LBB337_15:
	s_or_b32 exec_lo, exec_lo, s0
	s_delay_alu instid0(SALU_CYCLE_1)
	s_mov_b32 s1, exec_lo
	s_waitcnt lgkmcnt(0)
	s_barrier
	buffer_gl0_inv
	v_cmpx_gt_u16_e32 8, v7
	s_cbranch_execz .LBB337_17
; %bb.16:
	ds_load_2addr_b32 v[2:3], v1 offset1:8
	s_waitcnt lgkmcnt(0)
	v_add_f32_e32 v2, v3, v2
	ds_store_b32 v1, v2
.LBB337_17:
	s_or_b32 exec_lo, exec_lo, s1
	s_delay_alu instid0(SALU_CYCLE_1)
	s_mov_b32 s1, exec_lo
	s_waitcnt lgkmcnt(0)
	s_barrier
	buffer_gl0_inv
	v_cmpx_gt_u16_e32 4, v7
	s_cbranch_execz .LBB337_19
; %bb.18:
	ds_load_2addr_b32 v[2:3], v1 offset1:4
	s_waitcnt lgkmcnt(0)
	v_add_f32_e32 v2, v3, v2
	ds_store_b32 v1, v2
.LBB337_19:
	s_or_b32 exec_lo, exec_lo, s1
	s_waitcnt lgkmcnt(0)
	s_barrier
	buffer_gl0_inv
	s_and_saveexec_b32 s0, vcc_lo
	s_cbranch_execz .LBB337_21
; %bb.20:
	ds_load_2addr_b32 v[2:3], v1 offset1:2
	s_waitcnt lgkmcnt(0)
	v_add_f32_e32 v2, v3, v2
	ds_store_b32 v1, v2
.LBB337_21:
	s_or_b32 exec_lo, exec_lo, s0
	s_mov_b32 s0, 0
	s_mov_b32 s1, 0
	s_mov_b32 s3, exec_lo
	s_waitcnt lgkmcnt(0)
	s_barrier
	buffer_gl0_inv
                                        ; implicit-def: $vgpr2
                                        ; implicit-def: $vgpr3
	v_cmpx_gt_u32_e32 18, v0
	s_xor_b32 s3, exec_lo, s3
; %bb.22:
	v_mul_u32_u24_e32 v2, 18, v0
	v_mad_u32_u24 v3, 0x44, v0, v1
	s_mov_b32 s1, exec_lo
	s_delay_alu instid0(VALU_DEP_2)
	v_or_b32_e32 v2, 1, v2
; %bb.23:
	s_or_b32 exec_lo, exec_lo, s3
	s_delay_alu instid0(SALU_CYCLE_1)
	s_and_b32 vcc_lo, exec_lo, s0
	s_cbranch_vccnz .LBB337_25
	s_branch .LBB337_36
.LBB337_24:
	s_mov_b32 s1, 0
                                        ; implicit-def: $vgpr2
                                        ; implicit-def: $vgpr3
	s_cbranch_execz .LBB337_36
.LBB337_25:
	v_cmp_gt_u32_e32 vcc_lo, 36, v0
	s_and_saveexec_b32 s0, vcc_lo
	s_cbranch_execz .LBB337_27
; %bb.26:
	ds_load_b32 v2, v1 offset:1152
	ds_load_b32 v3, v1
	s_waitcnt lgkmcnt(0)
	v_add_f32_e32 v2, v2, v3
	ds_store_b32 v1, v2
.LBB337_27:
	s_or_b32 exec_lo, exec_lo, s0
	s_delay_alu instid0(SALU_CYCLE_1)
	s_mov_b32 s3, exec_lo
	s_waitcnt lgkmcnt(0)
	s_barrier
	buffer_gl0_inv
	v_cmpx_gt_u32_e32 0x90, v0
	s_cbranch_execz .LBB337_29
; %bb.28:
	ds_load_2addr_b32 v[2:3], v1 offset1:144
	s_waitcnt lgkmcnt(0)
	v_add_f32_e32 v2, v3, v2
	ds_store_b32 v1, v2
.LBB337_29:
	s_or_b32 exec_lo, exec_lo, s3
	s_delay_alu instid0(SALU_CYCLE_1)
	s_mov_b32 s3, exec_lo
	s_waitcnt lgkmcnt(0)
	s_barrier
	buffer_gl0_inv
	v_cmpx_gt_u32_e32 0x48, v0
	s_cbranch_execz .LBB337_31
; %bb.30:
	ds_load_2addr_b32 v[2:3], v1 offset1:72
	s_waitcnt lgkmcnt(0)
	v_add_f32_e32 v2, v3, v2
	ds_store_b32 v1, v2
.LBB337_31:
	s_or_b32 exec_lo, exec_lo, s3
	s_waitcnt lgkmcnt(0)
	s_barrier
	buffer_gl0_inv
	s_and_saveexec_b32 s0, vcc_lo
	s_cbranch_execz .LBB337_33
; %bb.32:
	ds_load_2addr_b32 v[2:3], v1 offset1:36
	s_waitcnt lgkmcnt(0)
	v_add_f32_e32 v2, v3, v2
	ds_store_b32 v1, v2
.LBB337_33:
	s_or_b32 exec_lo, exec_lo, s0
	s_delay_alu instid0(SALU_CYCLE_1)
	s_mov_b32 s0, exec_lo
	s_waitcnt lgkmcnt(0)
	buffer_gl0_inv
                                        ; implicit-def: $vgpr2
	v_cmpx_gt_u32_e32 18, v0
; %bb.34:
	v_add_nc_u32_e32 v2, 18, v0
	s_or_b32 s1, s1, exec_lo
                                        ; implicit-def: $vgpr6
; %bb.35:
	s_or_b32 exec_lo, exec_lo, s0
	v_mov_b32_e32 v3, v1
.LBB337_36:
	s_and_saveexec_b32 s0, s1
	s_cbranch_execz .LBB337_38
; %bb.37:
	v_lshlrev_b32_e32 v1, 2, v2
	ds_load_b32 v2, v3
	ds_load_b32 v1, v1
	s_waitcnt lgkmcnt(0)
	v_add_f32_e32 v6, v2, v1
.LBB337_38:
	s_or_b32 exec_lo, exec_lo, s0
	s_delay_alu instid0(SALU_CYCLE_1)
	s_mov_b32 s0, exec_lo
	v_cmpx_gt_u32_e32 18, v0
	s_cbranch_execz .LBB337_42
; %bb.39:
	v_cmp_eq_f32_e64 s0, s2, 0
	v_mul_f32_e32 v1, s10, v6
	s_delay_alu instid0(VALU_DEP_2)
	s_and_b32 vcc_lo, exec_lo, s0
	s_mov_b32 s0, 0
	s_cbranch_vccz .LBB337_43
; %bb.40:
	s_delay_alu instid0(VALU_DEP_1) | instskip(SKIP_1) | instid1(VALU_DEP_1)
	v_mad_u64_u32 v[2:3], null, s8, 18, v[0:1]
	v_mov_b32_e32 v3, 0
	v_lshlrev_b64 v[2:3], 2, v[2:3]
	s_delay_alu instid0(VALU_DEP_1) | instskip(NEXT) | instid1(VALU_DEP_2)
	v_add_co_u32 v2, vcc_lo, s12, v2
	v_add_co_ci_u32_e32 v3, vcc_lo, s13, v3, vcc_lo
	global_store_b32 v[2:3], v1, off
	s_and_not1_b32 vcc_lo, exec_lo, s0
	s_cbranch_vccnz .LBB337_42
.LBB337_41:
	v_mad_u64_u32 v[2:3], null, s8, 18, v[0:1]
	v_mov_b32_e32 v3, 0
	s_delay_alu instid0(VALU_DEP_1) | instskip(NEXT) | instid1(VALU_DEP_1)
	v_lshlrev_b64 v[2:3], 2, v[2:3]
	v_add_co_u32 v2, vcc_lo, s12, v2
	s_delay_alu instid0(VALU_DEP_2)
	v_add_co_ci_u32_e32 v3, vcc_lo, s13, v3, vcc_lo
	global_load_b32 v0, v[2:3], off
	s_waitcnt vmcnt(0)
	v_fmac_f32_e32 v1, s2, v0
	global_store_b32 v[2:3], v1, off
.LBB337_42:
	s_nop 0
	s_sendmsg sendmsg(MSG_DEALLOC_VGPRS)
	s_endpgm
.LBB337_43:
	s_branch .LBB337_41
	.section	.rodata,"a",@progbits
	.p2align	6, 0x0
	.amdhsa_kernel _ZN9rocsparseL20bsrxmvn_17_32_kernelILj18Efii18rocsparse_bfloat16S1_fEEvT2_20rocsparse_direction_NS_24const_host_device_scalarIT0_EES2_PKS2_PKT1_SB_S8_PKT3_PKT4_S6_PT5_21rocsparse_index_base_b
		.amdhsa_group_segment_fixed_size 1296
		.amdhsa_private_segment_fixed_size 0
		.amdhsa_kernarg_size 96
		.amdhsa_user_sgpr_count 15
		.amdhsa_user_sgpr_dispatch_ptr 0
		.amdhsa_user_sgpr_queue_ptr 0
		.amdhsa_user_sgpr_kernarg_segment_ptr 1
		.amdhsa_user_sgpr_dispatch_id 0
		.amdhsa_user_sgpr_private_segment_size 0
		.amdhsa_wavefront_size32 1
		.amdhsa_uses_dynamic_stack 0
		.amdhsa_enable_private_segment 0
		.amdhsa_system_sgpr_workgroup_id_x 1
		.amdhsa_system_sgpr_workgroup_id_y 0
		.amdhsa_system_sgpr_workgroup_id_z 0
		.amdhsa_system_sgpr_workgroup_info 0
		.amdhsa_system_vgpr_workitem_id 0
		.amdhsa_next_free_vgpr 10
		.amdhsa_next_free_sgpr 17
		.amdhsa_reserve_vcc 1
		.amdhsa_float_round_mode_32 0
		.amdhsa_float_round_mode_16_64 0
		.amdhsa_float_denorm_mode_32 3
		.amdhsa_float_denorm_mode_16_64 3
		.amdhsa_dx10_clamp 1
		.amdhsa_ieee_mode 1
		.amdhsa_fp16_overflow 0
		.amdhsa_workgroup_processor_mode 1
		.amdhsa_memory_ordered 1
		.amdhsa_forward_progress 0
		.amdhsa_shared_vgpr_count 0
		.amdhsa_exception_fp_ieee_invalid_op 0
		.amdhsa_exception_fp_denorm_src 0
		.amdhsa_exception_fp_ieee_div_zero 0
		.amdhsa_exception_fp_ieee_overflow 0
		.amdhsa_exception_fp_ieee_underflow 0
		.amdhsa_exception_fp_ieee_inexact 0
		.amdhsa_exception_int_div_zero 0
	.end_amdhsa_kernel
	.section	.text._ZN9rocsparseL20bsrxmvn_17_32_kernelILj18Efii18rocsparse_bfloat16S1_fEEvT2_20rocsparse_direction_NS_24const_host_device_scalarIT0_EES2_PKS2_PKT1_SB_S8_PKT3_PKT4_S6_PT5_21rocsparse_index_base_b,"axG",@progbits,_ZN9rocsparseL20bsrxmvn_17_32_kernelILj18Efii18rocsparse_bfloat16S1_fEEvT2_20rocsparse_direction_NS_24const_host_device_scalarIT0_EES2_PKS2_PKT1_SB_S8_PKT3_PKT4_S6_PT5_21rocsparse_index_base_b,comdat
.Lfunc_end337:
	.size	_ZN9rocsparseL20bsrxmvn_17_32_kernelILj18Efii18rocsparse_bfloat16S1_fEEvT2_20rocsparse_direction_NS_24const_host_device_scalarIT0_EES2_PKS2_PKT1_SB_S8_PKT3_PKT4_S6_PT5_21rocsparse_index_base_b, .Lfunc_end337-_ZN9rocsparseL20bsrxmvn_17_32_kernelILj18Efii18rocsparse_bfloat16S1_fEEvT2_20rocsparse_direction_NS_24const_host_device_scalarIT0_EES2_PKS2_PKT1_SB_S8_PKT3_PKT4_S6_PT5_21rocsparse_index_base_b
                                        ; -- End function
	.section	.AMDGPU.csdata,"",@progbits
; Kernel info:
; codeLenInByte = 1532
; NumSgprs: 19
; NumVgprs: 10
; ScratchSize: 0
; MemoryBound: 0
; FloatMode: 240
; IeeeMode: 1
; LDSByteSize: 1296 bytes/workgroup (compile time only)
; SGPRBlocks: 2
; VGPRBlocks: 1
; NumSGPRsForWavesPerEU: 19
; NumVGPRsForWavesPerEU: 10
; Occupancy: 14
; WaveLimiterHint : 1
; COMPUTE_PGM_RSRC2:SCRATCH_EN: 0
; COMPUTE_PGM_RSRC2:USER_SGPR: 15
; COMPUTE_PGM_RSRC2:TRAP_HANDLER: 0
; COMPUTE_PGM_RSRC2:TGID_X_EN: 1
; COMPUTE_PGM_RSRC2:TGID_Y_EN: 0
; COMPUTE_PGM_RSRC2:TGID_Z_EN: 0
; COMPUTE_PGM_RSRC2:TIDIG_COMP_CNT: 0
	.section	.text._ZN9rocsparseL20bsrxmvn_17_32_kernelILj19Efii18rocsparse_bfloat16S1_fEEvT2_20rocsparse_direction_NS_24const_host_device_scalarIT0_EES2_PKS2_PKT1_SB_S8_PKT3_PKT4_S6_PT5_21rocsparse_index_base_b,"axG",@progbits,_ZN9rocsparseL20bsrxmvn_17_32_kernelILj19Efii18rocsparse_bfloat16S1_fEEvT2_20rocsparse_direction_NS_24const_host_device_scalarIT0_EES2_PKS2_PKT1_SB_S8_PKT3_PKT4_S6_PT5_21rocsparse_index_base_b,comdat
	.globl	_ZN9rocsparseL20bsrxmvn_17_32_kernelILj19Efii18rocsparse_bfloat16S1_fEEvT2_20rocsparse_direction_NS_24const_host_device_scalarIT0_EES2_PKS2_PKT1_SB_S8_PKT3_PKT4_S6_PT5_21rocsparse_index_base_b ; -- Begin function _ZN9rocsparseL20bsrxmvn_17_32_kernelILj19Efii18rocsparse_bfloat16S1_fEEvT2_20rocsparse_direction_NS_24const_host_device_scalarIT0_EES2_PKS2_PKT1_SB_S8_PKT3_PKT4_S6_PT5_21rocsparse_index_base_b
	.p2align	8
	.type	_ZN9rocsparseL20bsrxmvn_17_32_kernelILj19Efii18rocsparse_bfloat16S1_fEEvT2_20rocsparse_direction_NS_24const_host_device_scalarIT0_EES2_PKS2_PKT1_SB_S8_PKT3_PKT4_S6_PT5_21rocsparse_index_base_b,@function
_ZN9rocsparseL20bsrxmvn_17_32_kernelILj19Efii18rocsparse_bfloat16S1_fEEvT2_20rocsparse_direction_NS_24const_host_device_scalarIT0_EES2_PKS2_PKT1_SB_S8_PKT3_PKT4_S6_PT5_21rocsparse_index_base_b: ; @_ZN9rocsparseL20bsrxmvn_17_32_kernelILj19Efii18rocsparse_bfloat16S1_fEEvT2_20rocsparse_direction_NS_24const_host_device_scalarIT0_EES2_PKS2_PKT1_SB_S8_PKT3_PKT4_S6_PT5_21rocsparse_index_base_b
; %bb.0:
	s_mov_b32 s8, s15
	s_clause 0x2
	s_load_b64 s[14:15], s[0:1], 0x58
	s_load_b64 s[10:11], s[0:1], 0x8
	;; [unrolled: 1-line block ×3, first 2 shown]
	s_waitcnt lgkmcnt(0)
	s_bitcmp1_b32 s15, 0
	s_cselect_b32 s4, -1, 0
	s_delay_alu instid0(SALU_CYCLE_1)
	s_and_b32 vcc_lo, exec_lo, s4
	s_xor_b32 s4, s4, -1
	s_cbranch_vccnz .LBB338_2
; %bb.1:
	s_load_b32 s10, s[10:11], 0x0
.LBB338_2:
	s_and_not1_b32 vcc_lo, exec_lo, s4
	s_cbranch_vccnz .LBB338_4
; %bb.3:
	s_load_b32 s2, s[2:3], 0x0
.LBB338_4:
	s_waitcnt lgkmcnt(0)
	v_cmp_neq_f32_e64 s3, s10, 0
	v_cmp_neq_f32_e64 s4, s2, 1.0
	s_delay_alu instid0(VALU_DEP_1) | instskip(NEXT) | instid1(SALU_CYCLE_1)
	s_or_b32 s3, s3, s4
	s_and_not1_b32 vcc_lo, exec_lo, s3
	s_cbranch_vccnz .LBB338_42
; %bb.5:
	s_clause 0x1
	s_load_b128 s[4:7], s[0:1], 0x18
	s_load_b64 s[12:13], s[0:1], 0x28
	s_waitcnt lgkmcnt(0)
	s_cmp_eq_u64 s[4:5], 0
	s_cbranch_scc1 .LBB338_7
; %bb.6:
	s_ashr_i32 s9, s8, 31
	s_delay_alu instid0(SALU_CYCLE_1) | instskip(NEXT) | instid1(SALU_CYCLE_1)
	s_lshl_b64 s[8:9], s[8:9], 2
	s_add_u32 s4, s4, s8
	s_addc_u32 s5, s5, s9
	s_load_b32 s3, s[4:5], 0x0
	s_waitcnt lgkmcnt(0)
	s_sub_i32 s8, s3, s14
.LBB338_7:
	s_load_b32 s3, s[0:1], 0x4
	v_mul_u32_u24_e32 v1, 0xd7a, v0
	v_mov_b32_e32 v6, 0
	s_delay_alu instid0(VALU_DEP_2) | instskip(NEXT) | instid1(VALU_DEP_1)
	v_lshrrev_b32_e32 v1, 16, v1
	v_mul_lo_u16 v2, v1, 19
	s_delay_alu instid0(VALU_DEP_1)
	v_sub_nc_u16 v7, v0, v2
	s_waitcnt lgkmcnt(0)
	s_cmp_eq_u32 s3, 1
	s_cselect_b32 vcc_lo, -1, 0
	s_cmp_lg_u32 s3, 1
	s_cselect_b32 s3, -1, 0
	s_ashr_i32 s9, s8, 31
	s_delay_alu instid0(SALU_CYCLE_1) | instskip(NEXT) | instid1(SALU_CYCLE_1)
	s_lshl_b64 s[4:5], s[8:9], 2
	s_add_u32 s6, s6, s4
	s_addc_u32 s7, s7, s5
	s_add_u32 s9, s6, 4
	s_addc_u32 s11, s7, 0
	;; [unrolled: 2-line block ×3, first 2 shown]
	s_cmp_eq_u64 s[12:13], 0
	s_load_b64 s[12:13], s[0:1], 0x50
	s_cselect_b32 s5, s11, s5
	s_cselect_b32 s4, s9, s4
	s_load_b32 s11, s[6:7], 0x0
	s_load_b32 s9, s[4:5], 0x0
	s_waitcnt lgkmcnt(0)
	s_cmp_ge_i32 s11, s9
	s_cbranch_scc1 .LBB338_12
; %bb.8:
	v_mul_lo_u16 v2, v1, 14
	s_clause 0x1
	s_load_b128 s[4:7], s[0:1], 0x30
	s_load_b64 s[0:1], s[0:1], 0x40
	v_and_b32_e32 v5, 0xffff, v0
	s_sub_i32 s11, s11, s14
	v_lshrrev_b16 v2, 8, v2
	v_lshlrev_b32_e32 v4, 1, v0
	s_mul_i32 s16, s11, 0x2d2
	s_sub_i32 s9, s9, s14
	v_dual_mov_b32 v6, 0 :: v_dual_and_b32 v3, 0xffff, v7
	v_mul_lo_u16 v2, v2, 19
	v_mul_u32_u24_e32 v5, 0xb6, v5
	s_mul_hi_i32 s15, s11, 0x2d2
	s_delay_alu instid0(VALU_DEP_2) | instskip(NEXT) | instid1(VALU_DEP_1)
	v_sub_nc_u16 v1, v1, v2
	v_and_b32_e32 v8, 0xff, v1
	s_waitcnt lgkmcnt(0)
	s_add_u32 s6, s6, s16
	s_addc_u32 s7, s7, s15
	v_add_co_u32 v1, s6, s6, v4
	s_delay_alu instid0(VALU_DEP_1)
	v_add_co_ci_u32_e64 v2, null, s7, 0, s6
	v_cndmask_b32_e32 v3, v3, v8, vcc_lo
	v_lshrrev_b32_e32 v8, 16, v5
	s_set_inst_prefetch_distance 0x1
	s_branch .LBB338_10
	.p2align	6
.LBB338_9:                              ;   in Loop: Header=BB338_10 Depth=1
	s_or_b32 exec_lo, exec_lo, s6
	s_add_i32 s11, s11, 1
	s_delay_alu instid0(SALU_CYCLE_1)
	s_cmp_lt_i32 s11, s9
	s_cbranch_scc0 .LBB338_12
.LBB338_10:                             ; =>This Inner Loop Header: Depth=1
	s_delay_alu instid0(VALU_DEP_1) | instskip(SKIP_1) | instid1(VALU_DEP_1)
	v_add_nc_u32_e32 v4, s11, v8
	s_mov_b32 s6, exec_lo
	v_cmpx_gt_i32_e64 s9, v4
	s_cbranch_execz .LBB338_9
; %bb.11:                               ;   in Loop: Header=BB338_10 Depth=1
	v_ashrrev_i32_e32 v5, 31, v4
	s_delay_alu instid0(VALU_DEP_1) | instskip(NEXT) | instid1(VALU_DEP_1)
	v_lshlrev_b64 v[4:5], 2, v[4:5]
	v_add_co_u32 v4, vcc_lo, s4, v4
	s_delay_alu instid0(VALU_DEP_2) | instskip(SKIP_3) | instid1(VALU_DEP_1)
	v_add_co_ci_u32_e32 v5, vcc_lo, s5, v5, vcc_lo
	global_load_b32 v4, v[4:5], off
	s_waitcnt vmcnt(0)
	v_subrev_nc_u32_e32 v9, s14, v4
	v_mad_u64_u32 v[4:5], null, v9, 19, v[3:4]
	s_delay_alu instid0(VALU_DEP_1) | instskip(NEXT) | instid1(VALU_DEP_1)
	v_ashrrev_i32_e32 v5, 31, v4
	v_lshlrev_b64 v[4:5], 1, v[4:5]
	s_delay_alu instid0(VALU_DEP_1) | instskip(NEXT) | instid1(VALU_DEP_2)
	v_add_co_u32 v4, vcc_lo, s0, v4
	v_add_co_ci_u32_e32 v5, vcc_lo, s1, v5, vcc_lo
	global_load_u16 v9, v[1:2], off
	global_load_u16 v4, v[4:5], off
	v_add_co_u32 v1, vcc_lo, 0x2d2, v1
	v_add_co_ci_u32_e32 v2, vcc_lo, 0, v2, vcc_lo
	s_waitcnt vmcnt(1)
	v_lshlrev_b32_e32 v5, 16, v9
	s_waitcnt vmcnt(0)
	v_lshlrev_b32_e32 v4, 16, v4
	s_delay_alu instid0(VALU_DEP_1)
	v_fmac_f32_e32 v6, v5, v4
	s_branch .LBB338_9
.LBB338_12:
	s_set_inst_prefetch_distance 0x2
	v_lshlrev_b32_e32 v1, 2, v0
	s_and_b32 vcc_lo, exec_lo, s3
	ds_store_b32 v1, v6
	s_waitcnt lgkmcnt(0)
	s_barrier
	buffer_gl0_inv
	s_cbranch_vccz .LBB338_24
; %bb.13:
	s_mov_b32 s0, exec_lo
	v_cmpx_gt_u16_e32 3, v7
	s_cbranch_execz .LBB338_15
; %bb.14:
	ds_load_2addr_b32 v[2:3], v1 offset1:16
	s_waitcnt lgkmcnt(0)
	v_add_f32_e32 v2, v3, v2
	ds_store_b32 v1, v2
.LBB338_15:
	s_or_b32 exec_lo, exec_lo, s0
	s_delay_alu instid0(SALU_CYCLE_1)
	s_mov_b32 s0, exec_lo
	s_waitcnt lgkmcnt(0)
	s_barrier
	buffer_gl0_inv
	v_cmpx_gt_u16_e32 8, v7
	s_cbranch_execz .LBB338_17
; %bb.16:
	ds_load_2addr_b32 v[2:3], v1 offset1:8
	s_waitcnt lgkmcnt(0)
	v_add_f32_e32 v2, v3, v2
	ds_store_b32 v1, v2
.LBB338_17:
	s_or_b32 exec_lo, exec_lo, s0
	s_delay_alu instid0(SALU_CYCLE_1)
	s_mov_b32 s0, exec_lo
	s_waitcnt lgkmcnt(0)
	s_barrier
	buffer_gl0_inv
	;; [unrolled: 14-line block ×3, first 2 shown]
	v_cmpx_gt_u16_e32 2, v7
	s_cbranch_execz .LBB338_21
; %bb.20:
	ds_load_2addr_b32 v[2:3], v1 offset1:2
	s_waitcnt lgkmcnt(0)
	v_add_f32_e32 v2, v3, v2
	ds_store_b32 v1, v2
.LBB338_21:
	s_or_b32 exec_lo, exec_lo, s0
	s_mov_b32 s1, 0
	s_mov_b32 s0, 0
	s_mov_b32 s3, exec_lo
	s_waitcnt lgkmcnt(0)
	s_barrier
	buffer_gl0_inv
                                        ; implicit-def: $vgpr2
                                        ; implicit-def: $vgpr3
	v_cmpx_gt_u32_e32 19, v0
	s_xor_b32 s3, exec_lo, s3
; %bb.22:
	v_mad_u32_u24 v2, v0, 19, 1
	v_mad_u32_u24 v3, 0x48, v0, v1
	s_mov_b32 s0, exec_lo
; %bb.23:
	s_or_b32 exec_lo, exec_lo, s3
	s_delay_alu instid0(SALU_CYCLE_1)
	s_and_b32 vcc_lo, exec_lo, s1
	s_cbranch_vccnz .LBB338_25
	s_branch .LBB338_36
.LBB338_24:
	s_mov_b32 s0, 0
                                        ; implicit-def: $vgpr2
                                        ; implicit-def: $vgpr3
	s_cbranch_execz .LBB338_36
.LBB338_25:
	s_mov_b32 s1, exec_lo
	v_cmpx_gt_u32_e32 57, v0
	s_cbranch_execz .LBB338_27
; %bb.26:
	ds_load_b32 v2, v1 offset:1216
	ds_load_b32 v3, v1
	s_waitcnt lgkmcnt(0)
	v_add_f32_e32 v2, v2, v3
	ds_store_b32 v1, v2
.LBB338_27:
	s_or_b32 exec_lo, exec_lo, s1
	s_delay_alu instid0(SALU_CYCLE_1)
	s_mov_b32 s1, exec_lo
	s_waitcnt lgkmcnt(0)
	s_barrier
	buffer_gl0_inv
	v_cmpx_gt_u32_e32 0x98, v0
	s_cbranch_execz .LBB338_29
; %bb.28:
	ds_load_2addr_b32 v[2:3], v1 offset1:152
	s_waitcnt lgkmcnt(0)
	v_add_f32_e32 v2, v3, v2
	ds_store_b32 v1, v2
.LBB338_29:
	s_or_b32 exec_lo, exec_lo, s1
	s_delay_alu instid0(SALU_CYCLE_1)
	s_mov_b32 s1, exec_lo
	s_waitcnt lgkmcnt(0)
	s_barrier
	buffer_gl0_inv
	v_cmpx_gt_u32_e32 0x4c, v0
	s_cbranch_execz .LBB338_31
; %bb.30:
	ds_load_2addr_b32 v[2:3], v1 offset1:76
	s_waitcnt lgkmcnt(0)
	v_add_f32_e32 v2, v3, v2
	ds_store_b32 v1, v2
.LBB338_31:
	;; [unrolled: 14-line block ×3, first 2 shown]
	s_or_b32 exec_lo, exec_lo, s1
	s_delay_alu instid0(SALU_CYCLE_1)
	s_mov_b32 s1, exec_lo
	s_waitcnt lgkmcnt(0)
	buffer_gl0_inv
                                        ; implicit-def: $vgpr2
	v_cmpx_gt_u32_e32 19, v0
; %bb.34:
	v_add_nc_u32_e32 v2, 19, v0
	s_or_b32 s0, s0, exec_lo
                                        ; implicit-def: $vgpr6
; %bb.35:
	s_or_b32 exec_lo, exec_lo, s1
	v_mov_b32_e32 v3, v1
.LBB338_36:
	s_and_saveexec_b32 s1, s0
	s_cbranch_execz .LBB338_38
; %bb.37:
	v_lshlrev_b32_e32 v1, 2, v2
	ds_load_b32 v2, v3
	ds_load_b32 v1, v1
	s_waitcnt lgkmcnt(0)
	v_add_f32_e32 v6, v2, v1
.LBB338_38:
	s_or_b32 exec_lo, exec_lo, s1
	s_delay_alu instid0(SALU_CYCLE_1)
	s_mov_b32 s0, exec_lo
	v_cmpx_gt_u32_e32 19, v0
	s_cbranch_execz .LBB338_42
; %bb.39:
	v_cmp_eq_f32_e64 s0, s2, 0
	v_mul_f32_e32 v1, s10, v6
	s_delay_alu instid0(VALU_DEP_2)
	s_and_b32 vcc_lo, exec_lo, s0
	s_mov_b32 s0, 0
	s_cbranch_vccz .LBB338_43
; %bb.40:
	s_delay_alu instid0(VALU_DEP_1) | instskip(SKIP_1) | instid1(VALU_DEP_1)
	v_mad_u64_u32 v[2:3], null, s8, 19, v[0:1]
	v_mov_b32_e32 v3, 0
	v_lshlrev_b64 v[2:3], 2, v[2:3]
	s_delay_alu instid0(VALU_DEP_1) | instskip(NEXT) | instid1(VALU_DEP_2)
	v_add_co_u32 v2, vcc_lo, s12, v2
	v_add_co_ci_u32_e32 v3, vcc_lo, s13, v3, vcc_lo
	global_store_b32 v[2:3], v1, off
	s_and_not1_b32 vcc_lo, exec_lo, s0
	s_cbranch_vccnz .LBB338_42
.LBB338_41:
	v_mad_u64_u32 v[2:3], null, s8, 19, v[0:1]
	v_mov_b32_e32 v3, 0
	s_delay_alu instid0(VALU_DEP_1) | instskip(NEXT) | instid1(VALU_DEP_1)
	v_lshlrev_b64 v[2:3], 2, v[2:3]
	v_add_co_u32 v2, vcc_lo, s12, v2
	s_delay_alu instid0(VALU_DEP_2)
	v_add_co_ci_u32_e32 v3, vcc_lo, s13, v3, vcc_lo
	global_load_b32 v0, v[2:3], off
	s_waitcnt vmcnt(0)
	v_fmac_f32_e32 v1, s2, v0
	global_store_b32 v[2:3], v1, off
.LBB338_42:
	s_nop 0
	s_sendmsg sendmsg(MSG_DEALLOC_VGPRS)
	s_endpgm
.LBB338_43:
	s_branch .LBB338_41
	.section	.rodata,"a",@progbits
	.p2align	6, 0x0
	.amdhsa_kernel _ZN9rocsparseL20bsrxmvn_17_32_kernelILj19Efii18rocsparse_bfloat16S1_fEEvT2_20rocsparse_direction_NS_24const_host_device_scalarIT0_EES2_PKS2_PKT1_SB_S8_PKT3_PKT4_S6_PT5_21rocsparse_index_base_b
		.amdhsa_group_segment_fixed_size 1444
		.amdhsa_private_segment_fixed_size 0
		.amdhsa_kernarg_size 96
		.amdhsa_user_sgpr_count 15
		.amdhsa_user_sgpr_dispatch_ptr 0
		.amdhsa_user_sgpr_queue_ptr 0
		.amdhsa_user_sgpr_kernarg_segment_ptr 1
		.amdhsa_user_sgpr_dispatch_id 0
		.amdhsa_user_sgpr_private_segment_size 0
		.amdhsa_wavefront_size32 1
		.amdhsa_uses_dynamic_stack 0
		.amdhsa_enable_private_segment 0
		.amdhsa_system_sgpr_workgroup_id_x 1
		.amdhsa_system_sgpr_workgroup_id_y 0
		.amdhsa_system_sgpr_workgroup_id_z 0
		.amdhsa_system_sgpr_workgroup_info 0
		.amdhsa_system_vgpr_workitem_id 0
		.amdhsa_next_free_vgpr 10
		.amdhsa_next_free_sgpr 17
		.amdhsa_reserve_vcc 1
		.amdhsa_float_round_mode_32 0
		.amdhsa_float_round_mode_16_64 0
		.amdhsa_float_denorm_mode_32 3
		.amdhsa_float_denorm_mode_16_64 3
		.amdhsa_dx10_clamp 1
		.amdhsa_ieee_mode 1
		.amdhsa_fp16_overflow 0
		.amdhsa_workgroup_processor_mode 1
		.amdhsa_memory_ordered 1
		.amdhsa_forward_progress 0
		.amdhsa_shared_vgpr_count 0
		.amdhsa_exception_fp_ieee_invalid_op 0
		.amdhsa_exception_fp_denorm_src 0
		.amdhsa_exception_fp_ieee_div_zero 0
		.amdhsa_exception_fp_ieee_overflow 0
		.amdhsa_exception_fp_ieee_underflow 0
		.amdhsa_exception_fp_ieee_inexact 0
		.amdhsa_exception_int_div_zero 0
	.end_amdhsa_kernel
	.section	.text._ZN9rocsparseL20bsrxmvn_17_32_kernelILj19Efii18rocsparse_bfloat16S1_fEEvT2_20rocsparse_direction_NS_24const_host_device_scalarIT0_EES2_PKS2_PKT1_SB_S8_PKT3_PKT4_S6_PT5_21rocsparse_index_base_b,"axG",@progbits,_ZN9rocsparseL20bsrxmvn_17_32_kernelILj19Efii18rocsparse_bfloat16S1_fEEvT2_20rocsparse_direction_NS_24const_host_device_scalarIT0_EES2_PKS2_PKT1_SB_S8_PKT3_PKT4_S6_PT5_21rocsparse_index_base_b,comdat
.Lfunc_end338:
	.size	_ZN9rocsparseL20bsrxmvn_17_32_kernelILj19Efii18rocsparse_bfloat16S1_fEEvT2_20rocsparse_direction_NS_24const_host_device_scalarIT0_EES2_PKS2_PKT1_SB_S8_PKT3_PKT4_S6_PT5_21rocsparse_index_base_b, .Lfunc_end338-_ZN9rocsparseL20bsrxmvn_17_32_kernelILj19Efii18rocsparse_bfloat16S1_fEEvT2_20rocsparse_direction_NS_24const_host_device_scalarIT0_EES2_PKS2_PKT1_SB_S8_PKT3_PKT4_S6_PT5_21rocsparse_index_base_b
                                        ; -- End function
	.section	.AMDGPU.csdata,"",@progbits
; Kernel info:
; codeLenInByte = 1544
; NumSgprs: 19
; NumVgprs: 10
; ScratchSize: 0
; MemoryBound: 0
; FloatMode: 240
; IeeeMode: 1
; LDSByteSize: 1444 bytes/workgroup (compile time only)
; SGPRBlocks: 2
; VGPRBlocks: 1
; NumSGPRsForWavesPerEU: 19
; NumVGPRsForWavesPerEU: 10
; Occupancy: 15
; WaveLimiterHint : 1
; COMPUTE_PGM_RSRC2:SCRATCH_EN: 0
; COMPUTE_PGM_RSRC2:USER_SGPR: 15
; COMPUTE_PGM_RSRC2:TRAP_HANDLER: 0
; COMPUTE_PGM_RSRC2:TGID_X_EN: 1
; COMPUTE_PGM_RSRC2:TGID_Y_EN: 0
; COMPUTE_PGM_RSRC2:TGID_Z_EN: 0
; COMPUTE_PGM_RSRC2:TIDIG_COMP_CNT: 0
	.section	.text._ZN9rocsparseL20bsrxmvn_17_32_kernelILj20Efii18rocsparse_bfloat16S1_fEEvT2_20rocsparse_direction_NS_24const_host_device_scalarIT0_EES2_PKS2_PKT1_SB_S8_PKT3_PKT4_S6_PT5_21rocsparse_index_base_b,"axG",@progbits,_ZN9rocsparseL20bsrxmvn_17_32_kernelILj20Efii18rocsparse_bfloat16S1_fEEvT2_20rocsparse_direction_NS_24const_host_device_scalarIT0_EES2_PKS2_PKT1_SB_S8_PKT3_PKT4_S6_PT5_21rocsparse_index_base_b,comdat
	.globl	_ZN9rocsparseL20bsrxmvn_17_32_kernelILj20Efii18rocsparse_bfloat16S1_fEEvT2_20rocsparse_direction_NS_24const_host_device_scalarIT0_EES2_PKS2_PKT1_SB_S8_PKT3_PKT4_S6_PT5_21rocsparse_index_base_b ; -- Begin function _ZN9rocsparseL20bsrxmvn_17_32_kernelILj20Efii18rocsparse_bfloat16S1_fEEvT2_20rocsparse_direction_NS_24const_host_device_scalarIT0_EES2_PKS2_PKT1_SB_S8_PKT3_PKT4_S6_PT5_21rocsparse_index_base_b
	.p2align	8
	.type	_ZN9rocsparseL20bsrxmvn_17_32_kernelILj20Efii18rocsparse_bfloat16S1_fEEvT2_20rocsparse_direction_NS_24const_host_device_scalarIT0_EES2_PKS2_PKT1_SB_S8_PKT3_PKT4_S6_PT5_21rocsparse_index_base_b,@function
_ZN9rocsparseL20bsrxmvn_17_32_kernelILj20Efii18rocsparse_bfloat16S1_fEEvT2_20rocsparse_direction_NS_24const_host_device_scalarIT0_EES2_PKS2_PKT1_SB_S8_PKT3_PKT4_S6_PT5_21rocsparse_index_base_b: ; @_ZN9rocsparseL20bsrxmvn_17_32_kernelILj20Efii18rocsparse_bfloat16S1_fEEvT2_20rocsparse_direction_NS_24const_host_device_scalarIT0_EES2_PKS2_PKT1_SB_S8_PKT3_PKT4_S6_PT5_21rocsparse_index_base_b
; %bb.0:
	s_mov_b32 s8, s15
	s_clause 0x2
	s_load_b64 s[14:15], s[0:1], 0x58
	s_load_b64 s[10:11], s[0:1], 0x8
	;; [unrolled: 1-line block ×3, first 2 shown]
	s_waitcnt lgkmcnt(0)
	s_bitcmp1_b32 s15, 0
	s_cselect_b32 s4, -1, 0
	s_delay_alu instid0(SALU_CYCLE_1)
	s_and_b32 vcc_lo, exec_lo, s4
	s_xor_b32 s4, s4, -1
	s_cbranch_vccnz .LBB339_2
; %bb.1:
	s_load_b32 s10, s[10:11], 0x0
.LBB339_2:
	s_and_not1_b32 vcc_lo, exec_lo, s4
	s_cbranch_vccnz .LBB339_4
; %bb.3:
	s_load_b32 s2, s[2:3], 0x0
.LBB339_4:
	s_waitcnt lgkmcnt(0)
	v_cmp_neq_f32_e64 s3, s10, 0
	v_cmp_neq_f32_e64 s4, s2, 1.0
	s_delay_alu instid0(VALU_DEP_1) | instskip(NEXT) | instid1(SALU_CYCLE_1)
	s_or_b32 s3, s3, s4
	s_and_not1_b32 vcc_lo, exec_lo, s3
	s_cbranch_vccnz .LBB339_42
; %bb.5:
	s_clause 0x1
	s_load_b128 s[4:7], s[0:1], 0x18
	s_load_b64 s[12:13], s[0:1], 0x28
	s_waitcnt lgkmcnt(0)
	s_cmp_eq_u64 s[4:5], 0
	s_cbranch_scc1 .LBB339_7
; %bb.6:
	s_ashr_i32 s9, s8, 31
	s_delay_alu instid0(SALU_CYCLE_1) | instskip(NEXT) | instid1(SALU_CYCLE_1)
	s_lshl_b64 s[8:9], s[8:9], 2
	s_add_u32 s4, s4, s8
	s_addc_u32 s5, s5, s9
	s_load_b32 s3, s[4:5], 0x0
	s_waitcnt lgkmcnt(0)
	s_sub_i32 s8, s3, s14
.LBB339_7:
	s_load_b32 s3, s[0:1], 0x4
	v_mul_u32_u24_e32 v1, 0xccd, v0
	v_mov_b32_e32 v6, 0
	s_delay_alu instid0(VALU_DEP_2) | instskip(NEXT) | instid1(VALU_DEP_1)
	v_lshrrev_b32_e32 v1, 16, v1
	v_mul_lo_u16 v2, v1, 20
	s_delay_alu instid0(VALU_DEP_1)
	v_sub_nc_u16 v7, v0, v2
	s_waitcnt lgkmcnt(0)
	s_cmp_eq_u32 s3, 1
	s_cselect_b32 vcc_lo, -1, 0
	s_cmp_lg_u32 s3, 1
	s_cselect_b32 s3, -1, 0
	s_ashr_i32 s9, s8, 31
	s_delay_alu instid0(SALU_CYCLE_1) | instskip(NEXT) | instid1(SALU_CYCLE_1)
	s_lshl_b64 s[4:5], s[8:9], 2
	s_add_u32 s6, s6, s4
	s_addc_u32 s7, s7, s5
	s_add_u32 s9, s6, 4
	s_addc_u32 s11, s7, 0
	;; [unrolled: 2-line block ×3, first 2 shown]
	s_cmp_eq_u64 s[12:13], 0
	s_load_b64 s[12:13], s[0:1], 0x50
	s_cselect_b32 s5, s11, s5
	s_cselect_b32 s4, s9, s4
	s_load_b32 s11, s[6:7], 0x0
	s_load_b32 s9, s[4:5], 0x0
	s_waitcnt lgkmcnt(0)
	s_cmp_ge_i32 s11, s9
	s_cbranch_scc1 .LBB339_12
; %bb.8:
	v_mul_lo_u16 v2, v1, 13
	s_clause 0x1
	s_load_b128 s[4:7], s[0:1], 0x30
	s_load_b64 s[0:1], s[0:1], 0x40
	v_and_b32_e32 v5, 0xffff, v0
	s_sub_i32 s11, s11, s14
	v_lshrrev_b16 v2, 8, v2
	v_lshlrev_b32_e32 v4, 1, v0
	s_mul_i32 s16, s11, 0x320
	s_sub_i32 s9, s9, s14
	v_dual_mov_b32 v6, 0 :: v_dual_and_b32 v3, 0xffff, v7
	v_mul_lo_u16 v2, v2, 20
	v_mul_u32_u24_e32 v5, 0xa4, v5
	s_mul_hi_i32 s15, s11, 0x320
	s_delay_alu instid0(VALU_DEP_2) | instskip(NEXT) | instid1(VALU_DEP_1)
	v_sub_nc_u16 v1, v1, v2
	v_and_b32_e32 v8, 0xff, v1
	s_waitcnt lgkmcnt(0)
	s_add_u32 s6, s6, s16
	s_addc_u32 s7, s7, s15
	v_add_co_u32 v1, s6, s6, v4
	s_delay_alu instid0(VALU_DEP_1)
	v_add_co_ci_u32_e64 v2, null, s7, 0, s6
	v_cndmask_b32_e32 v3, v3, v8, vcc_lo
	v_lshrrev_b32_e32 v8, 16, v5
	s_set_inst_prefetch_distance 0x1
	s_branch .LBB339_10
	.p2align	6
.LBB339_9:                              ;   in Loop: Header=BB339_10 Depth=1
	s_or_b32 exec_lo, exec_lo, s6
	s_add_i32 s11, s11, 1
	s_delay_alu instid0(SALU_CYCLE_1)
	s_cmp_lt_i32 s11, s9
	s_cbranch_scc0 .LBB339_12
.LBB339_10:                             ; =>This Inner Loop Header: Depth=1
	s_delay_alu instid0(VALU_DEP_1) | instskip(SKIP_1) | instid1(VALU_DEP_1)
	v_add_nc_u32_e32 v4, s11, v8
	s_mov_b32 s6, exec_lo
	v_cmpx_gt_i32_e64 s9, v4
	s_cbranch_execz .LBB339_9
; %bb.11:                               ;   in Loop: Header=BB339_10 Depth=1
	v_ashrrev_i32_e32 v5, 31, v4
	s_delay_alu instid0(VALU_DEP_1) | instskip(NEXT) | instid1(VALU_DEP_1)
	v_lshlrev_b64 v[4:5], 2, v[4:5]
	v_add_co_u32 v4, vcc_lo, s4, v4
	s_delay_alu instid0(VALU_DEP_2) | instskip(SKIP_3) | instid1(VALU_DEP_1)
	v_add_co_ci_u32_e32 v5, vcc_lo, s5, v5, vcc_lo
	global_load_b32 v4, v[4:5], off
	s_waitcnt vmcnt(0)
	v_subrev_nc_u32_e32 v9, s14, v4
	v_mad_u64_u32 v[4:5], null, v9, 20, v[3:4]
	s_delay_alu instid0(VALU_DEP_1) | instskip(NEXT) | instid1(VALU_DEP_1)
	v_ashrrev_i32_e32 v5, 31, v4
	v_lshlrev_b64 v[4:5], 1, v[4:5]
	s_delay_alu instid0(VALU_DEP_1) | instskip(NEXT) | instid1(VALU_DEP_2)
	v_add_co_u32 v4, vcc_lo, s0, v4
	v_add_co_ci_u32_e32 v5, vcc_lo, s1, v5, vcc_lo
	global_load_u16 v9, v[1:2], off
	global_load_u16 v4, v[4:5], off
	v_add_co_u32 v1, vcc_lo, 0x320, v1
	v_add_co_ci_u32_e32 v2, vcc_lo, 0, v2, vcc_lo
	s_waitcnt vmcnt(1)
	v_lshlrev_b32_e32 v5, 16, v9
	s_waitcnt vmcnt(0)
	v_lshlrev_b32_e32 v4, 16, v4
	s_delay_alu instid0(VALU_DEP_1)
	v_fmac_f32_e32 v6, v5, v4
	s_branch .LBB339_9
.LBB339_12:
	s_set_inst_prefetch_distance 0x2
	v_lshlrev_b32_e32 v1, 2, v0
	s_and_b32 vcc_lo, exec_lo, s3
	ds_store_b32 v1, v6
	s_waitcnt lgkmcnt(0)
	s_barrier
	buffer_gl0_inv
	s_cbranch_vccz .LBB339_24
; %bb.13:
	v_cmp_gt_u16_e32 vcc_lo, 4, v7
	s_and_saveexec_b32 s0, vcc_lo
	s_cbranch_execz .LBB339_15
; %bb.14:
	ds_load_2addr_b32 v[2:3], v1 offset1:16
	s_waitcnt lgkmcnt(0)
	v_add_f32_e32 v2, v3, v2
	ds_store_b32 v1, v2
.LBB339_15:
	s_or_b32 exec_lo, exec_lo, s0
	s_delay_alu instid0(SALU_CYCLE_1)
	s_mov_b32 s1, exec_lo
	s_waitcnt lgkmcnt(0)
	s_barrier
	buffer_gl0_inv
	v_cmpx_gt_u16_e32 8, v7
	s_cbranch_execz .LBB339_17
; %bb.16:
	ds_load_2addr_b32 v[2:3], v1 offset1:8
	s_waitcnt lgkmcnt(0)
	v_add_f32_e32 v2, v3, v2
	ds_store_b32 v1, v2
.LBB339_17:
	s_or_b32 exec_lo, exec_lo, s1
	s_waitcnt lgkmcnt(0)
	s_barrier
	buffer_gl0_inv
	s_and_saveexec_b32 s0, vcc_lo
	s_cbranch_execz .LBB339_19
; %bb.18:
	ds_load_2addr_b32 v[2:3], v1 offset1:4
	s_waitcnt lgkmcnt(0)
	v_add_f32_e32 v2, v3, v2
	ds_store_b32 v1, v2
.LBB339_19:
	s_or_b32 exec_lo, exec_lo, s0
	s_delay_alu instid0(SALU_CYCLE_1)
	s_mov_b32 s0, exec_lo
	s_waitcnt lgkmcnt(0)
	s_barrier
	buffer_gl0_inv
	v_cmpx_gt_u16_e32 2, v7
	s_cbranch_execz .LBB339_21
; %bb.20:
	ds_load_2addr_b32 v[2:3], v1 offset1:2
	s_waitcnt lgkmcnt(0)
	v_add_f32_e32 v2, v3, v2
	ds_store_b32 v1, v2
.LBB339_21:
	s_or_b32 exec_lo, exec_lo, s0
	s_mov_b32 s0, 0
	s_mov_b32 s1, 0
	s_mov_b32 s3, exec_lo
	s_waitcnt lgkmcnt(0)
	s_barrier
	buffer_gl0_inv
                                        ; implicit-def: $vgpr2
                                        ; implicit-def: $vgpr3
	v_cmpx_gt_u32_e32 20, v0
	s_xor_b32 s3, exec_lo, s3
; %bb.22:
	v_mul_u32_u24_e32 v2, 20, v0
	v_mad_u32_u24 v3, 0x4c, v0, v1
	s_mov_b32 s1, exec_lo
	s_delay_alu instid0(VALU_DEP_2)
	v_or_b32_e32 v2, 1, v2
; %bb.23:
	s_or_b32 exec_lo, exec_lo, s3
	s_delay_alu instid0(SALU_CYCLE_1)
	s_and_b32 vcc_lo, exec_lo, s0
	s_cbranch_vccnz .LBB339_25
	s_branch .LBB339_36
.LBB339_24:
	s_mov_b32 s1, 0
                                        ; implicit-def: $vgpr2
                                        ; implicit-def: $vgpr3
	s_cbranch_execz .LBB339_36
.LBB339_25:
	v_cmp_gt_u32_e32 vcc_lo, 0x50, v0
	s_and_saveexec_b32 s0, vcc_lo
	s_cbranch_execz .LBB339_27
; %bb.26:
	ds_load_2addr_stride64_b32 v[2:3], v1 offset1:5
	s_waitcnt lgkmcnt(0)
	v_add_f32_e32 v2, v3, v2
	ds_store_b32 v1, v2
.LBB339_27:
	s_or_b32 exec_lo, exec_lo, s0
	s_delay_alu instid0(SALU_CYCLE_1)
	s_mov_b32 s3, exec_lo
	s_waitcnt lgkmcnt(0)
	s_barrier
	buffer_gl0_inv
	v_cmpx_gt_u32_e32 0xa0, v0
	s_cbranch_execz .LBB339_29
; %bb.28:
	ds_load_2addr_b32 v[2:3], v1 offset1:160
	s_waitcnt lgkmcnt(0)
	v_add_f32_e32 v2, v3, v2
	ds_store_b32 v1, v2
.LBB339_29:
	s_or_b32 exec_lo, exec_lo, s3
	s_waitcnt lgkmcnt(0)
	s_barrier
	buffer_gl0_inv
	s_and_saveexec_b32 s0, vcc_lo
	s_cbranch_execz .LBB339_31
; %bb.30:
	ds_load_2addr_b32 v[2:3], v1 offset1:80
	s_waitcnt lgkmcnt(0)
	v_add_f32_e32 v2, v3, v2
	ds_store_b32 v1, v2
.LBB339_31:
	s_or_b32 exec_lo, exec_lo, s0
	s_delay_alu instid0(SALU_CYCLE_1)
	s_mov_b32 s0, exec_lo
	s_waitcnt lgkmcnt(0)
	s_barrier
	buffer_gl0_inv
	v_cmpx_gt_u32_e32 40, v0
	s_cbranch_execz .LBB339_33
; %bb.32:
	ds_load_2addr_b32 v[2:3], v1 offset1:40
	s_waitcnt lgkmcnt(0)
	v_add_f32_e32 v2, v3, v2
	ds_store_b32 v1, v2
.LBB339_33:
	s_or_b32 exec_lo, exec_lo, s0
	s_delay_alu instid0(SALU_CYCLE_1)
	s_mov_b32 s0, exec_lo
	s_waitcnt lgkmcnt(0)
	buffer_gl0_inv
                                        ; implicit-def: $vgpr2
	v_cmpx_gt_u32_e32 20, v0
; %bb.34:
	v_add_nc_u32_e32 v2, 20, v0
	s_or_b32 s1, s1, exec_lo
                                        ; implicit-def: $vgpr6
; %bb.35:
	s_or_b32 exec_lo, exec_lo, s0
	v_mov_b32_e32 v3, v1
.LBB339_36:
	s_and_saveexec_b32 s0, s1
	s_cbranch_execz .LBB339_38
; %bb.37:
	v_lshlrev_b32_e32 v1, 2, v2
	ds_load_b32 v2, v3
	ds_load_b32 v1, v1
	s_waitcnt lgkmcnt(0)
	v_add_f32_e32 v6, v2, v1
.LBB339_38:
	s_or_b32 exec_lo, exec_lo, s0
	s_delay_alu instid0(SALU_CYCLE_1)
	s_mov_b32 s0, exec_lo
	v_cmpx_gt_u32_e32 20, v0
	s_cbranch_execz .LBB339_42
; %bb.39:
	v_cmp_eq_f32_e64 s0, s2, 0
	v_mul_f32_e32 v1, s10, v6
	s_delay_alu instid0(VALU_DEP_2)
	s_and_b32 vcc_lo, exec_lo, s0
	s_mov_b32 s0, 0
	s_cbranch_vccz .LBB339_43
; %bb.40:
	s_delay_alu instid0(VALU_DEP_1) | instskip(SKIP_1) | instid1(VALU_DEP_1)
	v_mad_u64_u32 v[2:3], null, s8, 20, v[0:1]
	v_mov_b32_e32 v3, 0
	v_lshlrev_b64 v[2:3], 2, v[2:3]
	s_delay_alu instid0(VALU_DEP_1) | instskip(NEXT) | instid1(VALU_DEP_2)
	v_add_co_u32 v2, vcc_lo, s12, v2
	v_add_co_ci_u32_e32 v3, vcc_lo, s13, v3, vcc_lo
	global_store_b32 v[2:3], v1, off
	s_and_not1_b32 vcc_lo, exec_lo, s0
	s_cbranch_vccnz .LBB339_42
.LBB339_41:
	v_mad_u64_u32 v[2:3], null, s8, 20, v[0:1]
	v_mov_b32_e32 v3, 0
	s_delay_alu instid0(VALU_DEP_1) | instskip(NEXT) | instid1(VALU_DEP_1)
	v_lshlrev_b64 v[2:3], 2, v[2:3]
	v_add_co_u32 v2, vcc_lo, s12, v2
	s_delay_alu instid0(VALU_DEP_2)
	v_add_co_ci_u32_e32 v3, vcc_lo, s13, v3, vcc_lo
	global_load_b32 v0, v[2:3], off
	s_waitcnt vmcnt(0)
	v_fmac_f32_e32 v1, s2, v0
	global_store_b32 v[2:3], v1, off
.LBB339_42:
	s_nop 0
	s_sendmsg sendmsg(MSG_DEALLOC_VGPRS)
	s_endpgm
.LBB339_43:
	s_branch .LBB339_41
	.section	.rodata,"a",@progbits
	.p2align	6, 0x0
	.amdhsa_kernel _ZN9rocsparseL20bsrxmvn_17_32_kernelILj20Efii18rocsparse_bfloat16S1_fEEvT2_20rocsparse_direction_NS_24const_host_device_scalarIT0_EES2_PKS2_PKT1_SB_S8_PKT3_PKT4_S6_PT5_21rocsparse_index_base_b
		.amdhsa_group_segment_fixed_size 1600
		.amdhsa_private_segment_fixed_size 0
		.amdhsa_kernarg_size 96
		.amdhsa_user_sgpr_count 15
		.amdhsa_user_sgpr_dispatch_ptr 0
		.amdhsa_user_sgpr_queue_ptr 0
		.amdhsa_user_sgpr_kernarg_segment_ptr 1
		.amdhsa_user_sgpr_dispatch_id 0
		.amdhsa_user_sgpr_private_segment_size 0
		.amdhsa_wavefront_size32 1
		.amdhsa_uses_dynamic_stack 0
		.amdhsa_enable_private_segment 0
		.amdhsa_system_sgpr_workgroup_id_x 1
		.amdhsa_system_sgpr_workgroup_id_y 0
		.amdhsa_system_sgpr_workgroup_id_z 0
		.amdhsa_system_sgpr_workgroup_info 0
		.amdhsa_system_vgpr_workitem_id 0
		.amdhsa_next_free_vgpr 10
		.amdhsa_next_free_sgpr 17
		.amdhsa_reserve_vcc 1
		.amdhsa_float_round_mode_32 0
		.amdhsa_float_round_mode_16_64 0
		.amdhsa_float_denorm_mode_32 3
		.amdhsa_float_denorm_mode_16_64 3
		.amdhsa_dx10_clamp 1
		.amdhsa_ieee_mode 1
		.amdhsa_fp16_overflow 0
		.amdhsa_workgroup_processor_mode 1
		.amdhsa_memory_ordered 1
		.amdhsa_forward_progress 0
		.amdhsa_shared_vgpr_count 0
		.amdhsa_exception_fp_ieee_invalid_op 0
		.amdhsa_exception_fp_denorm_src 0
		.amdhsa_exception_fp_ieee_div_zero 0
		.amdhsa_exception_fp_ieee_overflow 0
		.amdhsa_exception_fp_ieee_underflow 0
		.amdhsa_exception_fp_ieee_inexact 0
		.amdhsa_exception_int_div_zero 0
	.end_amdhsa_kernel
	.section	.text._ZN9rocsparseL20bsrxmvn_17_32_kernelILj20Efii18rocsparse_bfloat16S1_fEEvT2_20rocsparse_direction_NS_24const_host_device_scalarIT0_EES2_PKS2_PKT1_SB_S8_PKT3_PKT4_S6_PT5_21rocsparse_index_base_b,"axG",@progbits,_ZN9rocsparseL20bsrxmvn_17_32_kernelILj20Efii18rocsparse_bfloat16S1_fEEvT2_20rocsparse_direction_NS_24const_host_device_scalarIT0_EES2_PKS2_PKT1_SB_S8_PKT3_PKT4_S6_PT5_21rocsparse_index_base_b,comdat
.Lfunc_end339:
	.size	_ZN9rocsparseL20bsrxmvn_17_32_kernelILj20Efii18rocsparse_bfloat16S1_fEEvT2_20rocsparse_direction_NS_24const_host_device_scalarIT0_EES2_PKS2_PKT1_SB_S8_PKT3_PKT4_S6_PT5_21rocsparse_index_base_b, .Lfunc_end339-_ZN9rocsparseL20bsrxmvn_17_32_kernelILj20Efii18rocsparse_bfloat16S1_fEEvT2_20rocsparse_direction_NS_24const_host_device_scalarIT0_EES2_PKS2_PKT1_SB_S8_PKT3_PKT4_S6_PT5_21rocsparse_index_base_b
                                        ; -- End function
	.section	.AMDGPU.csdata,"",@progbits
; Kernel info:
; codeLenInByte = 1524
; NumSgprs: 19
; NumVgprs: 10
; ScratchSize: 0
; MemoryBound: 0
; FloatMode: 240
; IeeeMode: 1
; LDSByteSize: 1600 bytes/workgroup (compile time only)
; SGPRBlocks: 2
; VGPRBlocks: 1
; NumSGPRsForWavesPerEU: 19
; NumVGPRsForWavesPerEU: 10
; Occupancy: 13
; WaveLimiterHint : 1
; COMPUTE_PGM_RSRC2:SCRATCH_EN: 0
; COMPUTE_PGM_RSRC2:USER_SGPR: 15
; COMPUTE_PGM_RSRC2:TRAP_HANDLER: 0
; COMPUTE_PGM_RSRC2:TGID_X_EN: 1
; COMPUTE_PGM_RSRC2:TGID_Y_EN: 0
; COMPUTE_PGM_RSRC2:TGID_Z_EN: 0
; COMPUTE_PGM_RSRC2:TIDIG_COMP_CNT: 0
	.section	.text._ZN9rocsparseL20bsrxmvn_17_32_kernelILj21Efii18rocsparse_bfloat16S1_fEEvT2_20rocsparse_direction_NS_24const_host_device_scalarIT0_EES2_PKS2_PKT1_SB_S8_PKT3_PKT4_S6_PT5_21rocsparse_index_base_b,"axG",@progbits,_ZN9rocsparseL20bsrxmvn_17_32_kernelILj21Efii18rocsparse_bfloat16S1_fEEvT2_20rocsparse_direction_NS_24const_host_device_scalarIT0_EES2_PKS2_PKT1_SB_S8_PKT3_PKT4_S6_PT5_21rocsparse_index_base_b,comdat
	.globl	_ZN9rocsparseL20bsrxmvn_17_32_kernelILj21Efii18rocsparse_bfloat16S1_fEEvT2_20rocsparse_direction_NS_24const_host_device_scalarIT0_EES2_PKS2_PKT1_SB_S8_PKT3_PKT4_S6_PT5_21rocsparse_index_base_b ; -- Begin function _ZN9rocsparseL20bsrxmvn_17_32_kernelILj21Efii18rocsparse_bfloat16S1_fEEvT2_20rocsparse_direction_NS_24const_host_device_scalarIT0_EES2_PKS2_PKT1_SB_S8_PKT3_PKT4_S6_PT5_21rocsparse_index_base_b
	.p2align	8
	.type	_ZN9rocsparseL20bsrxmvn_17_32_kernelILj21Efii18rocsparse_bfloat16S1_fEEvT2_20rocsparse_direction_NS_24const_host_device_scalarIT0_EES2_PKS2_PKT1_SB_S8_PKT3_PKT4_S6_PT5_21rocsparse_index_base_b,@function
_ZN9rocsparseL20bsrxmvn_17_32_kernelILj21Efii18rocsparse_bfloat16S1_fEEvT2_20rocsparse_direction_NS_24const_host_device_scalarIT0_EES2_PKS2_PKT1_SB_S8_PKT3_PKT4_S6_PT5_21rocsparse_index_base_b: ; @_ZN9rocsparseL20bsrxmvn_17_32_kernelILj21Efii18rocsparse_bfloat16S1_fEEvT2_20rocsparse_direction_NS_24const_host_device_scalarIT0_EES2_PKS2_PKT1_SB_S8_PKT3_PKT4_S6_PT5_21rocsparse_index_base_b
; %bb.0:
	s_mov_b32 s8, s15
	s_clause 0x2
	s_load_b64 s[14:15], s[0:1], 0x58
	s_load_b64 s[10:11], s[0:1], 0x8
	;; [unrolled: 1-line block ×3, first 2 shown]
	s_waitcnt lgkmcnt(0)
	s_bitcmp1_b32 s15, 0
	s_cselect_b32 s4, -1, 0
	s_delay_alu instid0(SALU_CYCLE_1)
	s_and_b32 vcc_lo, exec_lo, s4
	s_xor_b32 s4, s4, -1
	s_cbranch_vccnz .LBB340_2
; %bb.1:
	s_load_b32 s10, s[10:11], 0x0
.LBB340_2:
	s_and_not1_b32 vcc_lo, exec_lo, s4
	s_cbranch_vccnz .LBB340_4
; %bb.3:
	s_load_b32 s2, s[2:3], 0x0
.LBB340_4:
	s_waitcnt lgkmcnt(0)
	v_cmp_neq_f32_e64 s3, s10, 0
	v_cmp_neq_f32_e64 s4, s2, 1.0
	s_delay_alu instid0(VALU_DEP_1) | instskip(NEXT) | instid1(SALU_CYCLE_1)
	s_or_b32 s3, s3, s4
	s_and_not1_b32 vcc_lo, exec_lo, s3
	s_cbranch_vccnz .LBB340_42
; %bb.5:
	s_clause 0x1
	s_load_b128 s[4:7], s[0:1], 0x18
	s_load_b64 s[12:13], s[0:1], 0x28
	s_waitcnt lgkmcnt(0)
	s_cmp_eq_u64 s[4:5], 0
	s_cbranch_scc1 .LBB340_7
; %bb.6:
	s_ashr_i32 s9, s8, 31
	s_delay_alu instid0(SALU_CYCLE_1) | instskip(NEXT) | instid1(SALU_CYCLE_1)
	s_lshl_b64 s[8:9], s[8:9], 2
	s_add_u32 s4, s4, s8
	s_addc_u32 s5, s5, s9
	s_load_b32 s3, s[4:5], 0x0
	s_waitcnt lgkmcnt(0)
	s_sub_i32 s8, s3, s14
.LBB340_7:
	s_load_b32 s3, s[0:1], 0x4
	v_mul_u32_u24_e32 v1, 0xc31, v0
	v_mov_b32_e32 v6, 0
	s_delay_alu instid0(VALU_DEP_2) | instskip(NEXT) | instid1(VALU_DEP_1)
	v_lshrrev_b32_e32 v1, 16, v1
	v_mul_lo_u16 v2, v1, 21
	s_delay_alu instid0(VALU_DEP_1)
	v_sub_nc_u16 v7, v0, v2
	s_waitcnt lgkmcnt(0)
	s_cmp_eq_u32 s3, 1
	s_cselect_b32 vcc_lo, -1, 0
	s_cmp_lg_u32 s3, 1
	s_cselect_b32 s3, -1, 0
	s_ashr_i32 s9, s8, 31
	s_delay_alu instid0(SALU_CYCLE_1) | instskip(NEXT) | instid1(SALU_CYCLE_1)
	s_lshl_b64 s[4:5], s[8:9], 2
	s_add_u32 s6, s6, s4
	s_addc_u32 s7, s7, s5
	s_add_u32 s9, s6, 4
	s_addc_u32 s11, s7, 0
	;; [unrolled: 2-line block ×3, first 2 shown]
	s_cmp_eq_u64 s[12:13], 0
	s_load_b64 s[12:13], s[0:1], 0x50
	s_cselect_b32 s5, s11, s5
	s_cselect_b32 s4, s9, s4
	s_load_b32 s11, s[6:7], 0x0
	s_load_b32 s9, s[4:5], 0x0
	s_waitcnt lgkmcnt(0)
	s_cmp_ge_i32 s11, s9
	s_cbranch_scc1 .LBB340_12
; %bb.8:
	v_mul_lo_u16 v2, v1, 25
	s_clause 0x1
	s_load_b128 s[4:7], s[0:1], 0x30
	s_load_b64 s[0:1], s[0:1], 0x40
	v_and_b32_e32 v5, 0xffff, v0
	s_sub_i32 s11, s11, s14
	v_lshrrev_b16 v2, 9, v2
	v_lshlrev_b32_e32 v4, 1, v0
	s_mul_i32 s16, s11, 0x372
	s_sub_i32 s9, s9, s14
	v_dual_mov_b32 v6, 0 :: v_dual_and_b32 v3, 0xffff, v7
	v_mul_lo_u16 v2, v2, 21
	v_mul_u32_u24_e32 v5, 0x253, v5
	s_mul_hi_i32 s15, s11, 0x372
	s_delay_alu instid0(VALU_DEP_2) | instskip(NEXT) | instid1(VALU_DEP_1)
	v_sub_nc_u16 v1, v1, v2
	v_and_b32_e32 v8, 0xff, v1
	s_waitcnt lgkmcnt(0)
	s_add_u32 s6, s6, s16
	s_addc_u32 s7, s7, s15
	v_add_co_u32 v1, s6, s6, v4
	s_delay_alu instid0(VALU_DEP_1)
	v_add_co_ci_u32_e64 v2, null, s7, 0, s6
	v_cndmask_b32_e32 v3, v3, v8, vcc_lo
	v_lshrrev_b32_e32 v8, 18, v5
	s_set_inst_prefetch_distance 0x1
	s_branch .LBB340_10
	.p2align	6
.LBB340_9:                              ;   in Loop: Header=BB340_10 Depth=1
	s_or_b32 exec_lo, exec_lo, s6
	s_add_i32 s11, s11, 1
	s_delay_alu instid0(SALU_CYCLE_1)
	s_cmp_lt_i32 s11, s9
	s_cbranch_scc0 .LBB340_12
.LBB340_10:                             ; =>This Inner Loop Header: Depth=1
	s_delay_alu instid0(VALU_DEP_1) | instskip(SKIP_1) | instid1(VALU_DEP_1)
	v_add_nc_u32_e32 v4, s11, v8
	s_mov_b32 s6, exec_lo
	v_cmpx_gt_i32_e64 s9, v4
	s_cbranch_execz .LBB340_9
; %bb.11:                               ;   in Loop: Header=BB340_10 Depth=1
	v_ashrrev_i32_e32 v5, 31, v4
	s_delay_alu instid0(VALU_DEP_1) | instskip(NEXT) | instid1(VALU_DEP_1)
	v_lshlrev_b64 v[4:5], 2, v[4:5]
	v_add_co_u32 v4, vcc_lo, s4, v4
	s_delay_alu instid0(VALU_DEP_2) | instskip(SKIP_3) | instid1(VALU_DEP_1)
	v_add_co_ci_u32_e32 v5, vcc_lo, s5, v5, vcc_lo
	global_load_b32 v4, v[4:5], off
	s_waitcnt vmcnt(0)
	v_subrev_nc_u32_e32 v9, s14, v4
	v_mad_u64_u32 v[4:5], null, v9, 21, v[3:4]
	s_delay_alu instid0(VALU_DEP_1) | instskip(NEXT) | instid1(VALU_DEP_1)
	v_ashrrev_i32_e32 v5, 31, v4
	v_lshlrev_b64 v[4:5], 1, v[4:5]
	s_delay_alu instid0(VALU_DEP_1) | instskip(NEXT) | instid1(VALU_DEP_2)
	v_add_co_u32 v4, vcc_lo, s0, v4
	v_add_co_ci_u32_e32 v5, vcc_lo, s1, v5, vcc_lo
	global_load_u16 v9, v[1:2], off
	global_load_u16 v4, v[4:5], off
	v_add_co_u32 v1, vcc_lo, 0x372, v1
	v_add_co_ci_u32_e32 v2, vcc_lo, 0, v2, vcc_lo
	s_waitcnt vmcnt(1)
	v_lshlrev_b32_e32 v5, 16, v9
	s_waitcnt vmcnt(0)
	v_lshlrev_b32_e32 v4, 16, v4
	s_delay_alu instid0(VALU_DEP_1)
	v_fmac_f32_e32 v6, v5, v4
	s_branch .LBB340_9
.LBB340_12:
	s_set_inst_prefetch_distance 0x2
	v_lshlrev_b32_e32 v1, 2, v0
	s_and_b32 vcc_lo, exec_lo, s3
	ds_store_b32 v1, v6
	s_waitcnt lgkmcnt(0)
	s_barrier
	buffer_gl0_inv
	s_cbranch_vccz .LBB340_24
; %bb.13:
	s_mov_b32 s0, exec_lo
	v_cmpx_gt_u16_e32 5, v7
	s_cbranch_execz .LBB340_15
; %bb.14:
	ds_load_2addr_b32 v[2:3], v1 offset1:16
	s_waitcnt lgkmcnt(0)
	v_add_f32_e32 v2, v3, v2
	ds_store_b32 v1, v2
.LBB340_15:
	s_or_b32 exec_lo, exec_lo, s0
	s_delay_alu instid0(SALU_CYCLE_1)
	s_mov_b32 s0, exec_lo
	s_waitcnt lgkmcnt(0)
	s_barrier
	buffer_gl0_inv
	v_cmpx_gt_u16_e32 8, v7
	s_cbranch_execz .LBB340_17
; %bb.16:
	ds_load_2addr_b32 v[2:3], v1 offset1:8
	s_waitcnt lgkmcnt(0)
	v_add_f32_e32 v2, v3, v2
	ds_store_b32 v1, v2
.LBB340_17:
	s_or_b32 exec_lo, exec_lo, s0
	s_delay_alu instid0(SALU_CYCLE_1)
	s_mov_b32 s0, exec_lo
	s_waitcnt lgkmcnt(0)
	s_barrier
	buffer_gl0_inv
	;; [unrolled: 14-line block ×3, first 2 shown]
	v_cmpx_gt_u16_e32 2, v7
	s_cbranch_execz .LBB340_21
; %bb.20:
	ds_load_2addr_b32 v[2:3], v1 offset1:2
	s_waitcnt lgkmcnt(0)
	v_add_f32_e32 v2, v3, v2
	ds_store_b32 v1, v2
.LBB340_21:
	s_or_b32 exec_lo, exec_lo, s0
	s_mov_b32 s1, 0
	s_mov_b32 s0, 0
	s_mov_b32 s3, exec_lo
	s_waitcnt lgkmcnt(0)
	s_barrier
	buffer_gl0_inv
                                        ; implicit-def: $vgpr2
                                        ; implicit-def: $vgpr3
	v_cmpx_gt_u32_e32 21, v0
	s_xor_b32 s3, exec_lo, s3
; %bb.22:
	v_mad_u32_u24 v2, v0, 21, 1
	v_mad_u32_u24 v3, 0x50, v0, v1
	s_mov_b32 s0, exec_lo
; %bb.23:
	s_or_b32 exec_lo, exec_lo, s3
	s_delay_alu instid0(SALU_CYCLE_1)
	s_and_b32 vcc_lo, exec_lo, s1
	s_cbranch_vccnz .LBB340_25
	s_branch .LBB340_36
.LBB340_24:
	s_mov_b32 s0, 0
                                        ; implicit-def: $vgpr2
                                        ; implicit-def: $vgpr3
	s_cbranch_execz .LBB340_36
.LBB340_25:
	s_mov_b32 s1, exec_lo
	v_cmpx_gt_u32_e32 0x69, v0
	s_cbranch_execz .LBB340_27
; %bb.26:
	ds_load_b32 v2, v1 offset:1344
	ds_load_b32 v3, v1
	s_waitcnt lgkmcnt(0)
	v_add_f32_e32 v2, v2, v3
	ds_store_b32 v1, v2
.LBB340_27:
	s_or_b32 exec_lo, exec_lo, s1
	s_delay_alu instid0(SALU_CYCLE_1)
	s_mov_b32 s1, exec_lo
	s_waitcnt lgkmcnt(0)
	s_barrier
	buffer_gl0_inv
	v_cmpx_gt_u32_e32 0xa8, v0
	s_cbranch_execz .LBB340_29
; %bb.28:
	ds_load_2addr_b32 v[2:3], v1 offset1:168
	s_waitcnt lgkmcnt(0)
	v_add_f32_e32 v2, v3, v2
	ds_store_b32 v1, v2
.LBB340_29:
	s_or_b32 exec_lo, exec_lo, s1
	s_delay_alu instid0(SALU_CYCLE_1)
	s_mov_b32 s1, exec_lo
	s_waitcnt lgkmcnt(0)
	s_barrier
	buffer_gl0_inv
	v_cmpx_gt_u32_e32 0x54, v0
	s_cbranch_execz .LBB340_31
; %bb.30:
	ds_load_2addr_b32 v[2:3], v1 offset1:84
	s_waitcnt lgkmcnt(0)
	v_add_f32_e32 v2, v3, v2
	ds_store_b32 v1, v2
.LBB340_31:
	s_or_b32 exec_lo, exec_lo, s1
	s_delay_alu instid0(SALU_CYCLE_1)
	s_mov_b32 s1, exec_lo
	s_waitcnt lgkmcnt(0)
	s_barrier
	buffer_gl0_inv
	v_cmpx_gt_u32_e32 42, v0
	s_cbranch_execz .LBB340_33
; %bb.32:
	ds_load_2addr_b32 v[2:3], v1 offset1:42
	s_waitcnt lgkmcnt(0)
	v_add_f32_e32 v2, v3, v2
	ds_store_b32 v1, v2
.LBB340_33:
	s_or_b32 exec_lo, exec_lo, s1
	s_delay_alu instid0(SALU_CYCLE_1)
	s_mov_b32 s1, exec_lo
	s_waitcnt lgkmcnt(0)
	buffer_gl0_inv
                                        ; implicit-def: $vgpr2
	v_cmpx_gt_u32_e32 21, v0
; %bb.34:
	v_add_nc_u32_e32 v2, 21, v0
	s_or_b32 s0, s0, exec_lo
                                        ; implicit-def: $vgpr6
; %bb.35:
	s_or_b32 exec_lo, exec_lo, s1
	v_mov_b32_e32 v3, v1
.LBB340_36:
	s_and_saveexec_b32 s1, s0
	s_cbranch_execz .LBB340_38
; %bb.37:
	v_lshlrev_b32_e32 v1, 2, v2
	ds_load_b32 v2, v3
	ds_load_b32 v1, v1
	s_waitcnt lgkmcnt(0)
	v_add_f32_e32 v6, v2, v1
.LBB340_38:
	s_or_b32 exec_lo, exec_lo, s1
	s_delay_alu instid0(SALU_CYCLE_1)
	s_mov_b32 s0, exec_lo
	v_cmpx_gt_u32_e32 21, v0
	s_cbranch_execz .LBB340_42
; %bb.39:
	v_cmp_eq_f32_e64 s0, s2, 0
	v_mul_f32_e32 v1, s10, v6
	s_delay_alu instid0(VALU_DEP_2)
	s_and_b32 vcc_lo, exec_lo, s0
	s_mov_b32 s0, 0
	s_cbranch_vccz .LBB340_43
; %bb.40:
	s_delay_alu instid0(VALU_DEP_1) | instskip(SKIP_1) | instid1(VALU_DEP_1)
	v_mad_u64_u32 v[2:3], null, s8, 21, v[0:1]
	v_mov_b32_e32 v3, 0
	v_lshlrev_b64 v[2:3], 2, v[2:3]
	s_delay_alu instid0(VALU_DEP_1) | instskip(NEXT) | instid1(VALU_DEP_2)
	v_add_co_u32 v2, vcc_lo, s12, v2
	v_add_co_ci_u32_e32 v3, vcc_lo, s13, v3, vcc_lo
	global_store_b32 v[2:3], v1, off
	s_and_not1_b32 vcc_lo, exec_lo, s0
	s_cbranch_vccnz .LBB340_42
.LBB340_41:
	v_mad_u64_u32 v[2:3], null, s8, 21, v[0:1]
	v_mov_b32_e32 v3, 0
	s_delay_alu instid0(VALU_DEP_1) | instskip(NEXT) | instid1(VALU_DEP_1)
	v_lshlrev_b64 v[2:3], 2, v[2:3]
	v_add_co_u32 v2, vcc_lo, s12, v2
	s_delay_alu instid0(VALU_DEP_2)
	v_add_co_ci_u32_e32 v3, vcc_lo, s13, v3, vcc_lo
	global_load_b32 v0, v[2:3], off
	s_waitcnt vmcnt(0)
	v_fmac_f32_e32 v1, s2, v0
	global_store_b32 v[2:3], v1, off
.LBB340_42:
	s_nop 0
	s_sendmsg sendmsg(MSG_DEALLOC_VGPRS)
	s_endpgm
.LBB340_43:
	s_branch .LBB340_41
	.section	.rodata,"a",@progbits
	.p2align	6, 0x0
	.amdhsa_kernel _ZN9rocsparseL20bsrxmvn_17_32_kernelILj21Efii18rocsparse_bfloat16S1_fEEvT2_20rocsparse_direction_NS_24const_host_device_scalarIT0_EES2_PKS2_PKT1_SB_S8_PKT3_PKT4_S6_PT5_21rocsparse_index_base_b
		.amdhsa_group_segment_fixed_size 1764
		.amdhsa_private_segment_fixed_size 0
		.amdhsa_kernarg_size 96
		.amdhsa_user_sgpr_count 15
		.amdhsa_user_sgpr_dispatch_ptr 0
		.amdhsa_user_sgpr_queue_ptr 0
		.amdhsa_user_sgpr_kernarg_segment_ptr 1
		.amdhsa_user_sgpr_dispatch_id 0
		.amdhsa_user_sgpr_private_segment_size 0
		.amdhsa_wavefront_size32 1
		.amdhsa_uses_dynamic_stack 0
		.amdhsa_enable_private_segment 0
		.amdhsa_system_sgpr_workgroup_id_x 1
		.amdhsa_system_sgpr_workgroup_id_y 0
		.amdhsa_system_sgpr_workgroup_id_z 0
		.amdhsa_system_sgpr_workgroup_info 0
		.amdhsa_system_vgpr_workitem_id 0
		.amdhsa_next_free_vgpr 10
		.amdhsa_next_free_sgpr 17
		.amdhsa_reserve_vcc 1
		.amdhsa_float_round_mode_32 0
		.amdhsa_float_round_mode_16_64 0
		.amdhsa_float_denorm_mode_32 3
		.amdhsa_float_denorm_mode_16_64 3
		.amdhsa_dx10_clamp 1
		.amdhsa_ieee_mode 1
		.amdhsa_fp16_overflow 0
		.amdhsa_workgroup_processor_mode 1
		.amdhsa_memory_ordered 1
		.amdhsa_forward_progress 0
		.amdhsa_shared_vgpr_count 0
		.amdhsa_exception_fp_ieee_invalid_op 0
		.amdhsa_exception_fp_denorm_src 0
		.amdhsa_exception_fp_ieee_div_zero 0
		.amdhsa_exception_fp_ieee_overflow 0
		.amdhsa_exception_fp_ieee_underflow 0
		.amdhsa_exception_fp_ieee_inexact 0
		.amdhsa_exception_int_div_zero 0
	.end_amdhsa_kernel
	.section	.text._ZN9rocsparseL20bsrxmvn_17_32_kernelILj21Efii18rocsparse_bfloat16S1_fEEvT2_20rocsparse_direction_NS_24const_host_device_scalarIT0_EES2_PKS2_PKT1_SB_S8_PKT3_PKT4_S6_PT5_21rocsparse_index_base_b,"axG",@progbits,_ZN9rocsparseL20bsrxmvn_17_32_kernelILj21Efii18rocsparse_bfloat16S1_fEEvT2_20rocsparse_direction_NS_24const_host_device_scalarIT0_EES2_PKS2_PKT1_SB_S8_PKT3_PKT4_S6_PT5_21rocsparse_index_base_b,comdat
.Lfunc_end340:
	.size	_ZN9rocsparseL20bsrxmvn_17_32_kernelILj21Efii18rocsparse_bfloat16S1_fEEvT2_20rocsparse_direction_NS_24const_host_device_scalarIT0_EES2_PKS2_PKT1_SB_S8_PKT3_PKT4_S6_PT5_21rocsparse_index_base_b, .Lfunc_end340-_ZN9rocsparseL20bsrxmvn_17_32_kernelILj21Efii18rocsparse_bfloat16S1_fEEvT2_20rocsparse_direction_NS_24const_host_device_scalarIT0_EES2_PKS2_PKT1_SB_S8_PKT3_PKT4_S6_PT5_21rocsparse_index_base_b
                                        ; -- End function
	.section	.AMDGPU.csdata,"",@progbits
; Kernel info:
; codeLenInByte = 1548
; NumSgprs: 19
; NumVgprs: 10
; ScratchSize: 0
; MemoryBound: 0
; FloatMode: 240
; IeeeMode: 1
; LDSByteSize: 1764 bytes/workgroup (compile time only)
; SGPRBlocks: 2
; VGPRBlocks: 1
; NumSGPRsForWavesPerEU: 19
; NumVGPRsForWavesPerEU: 10
; Occupancy: 14
; WaveLimiterHint : 1
; COMPUTE_PGM_RSRC2:SCRATCH_EN: 0
; COMPUTE_PGM_RSRC2:USER_SGPR: 15
; COMPUTE_PGM_RSRC2:TRAP_HANDLER: 0
; COMPUTE_PGM_RSRC2:TGID_X_EN: 1
; COMPUTE_PGM_RSRC2:TGID_Y_EN: 0
; COMPUTE_PGM_RSRC2:TGID_Z_EN: 0
; COMPUTE_PGM_RSRC2:TIDIG_COMP_CNT: 0
	.section	.text._ZN9rocsparseL20bsrxmvn_17_32_kernelILj22Efii18rocsparse_bfloat16S1_fEEvT2_20rocsparse_direction_NS_24const_host_device_scalarIT0_EES2_PKS2_PKT1_SB_S8_PKT3_PKT4_S6_PT5_21rocsparse_index_base_b,"axG",@progbits,_ZN9rocsparseL20bsrxmvn_17_32_kernelILj22Efii18rocsparse_bfloat16S1_fEEvT2_20rocsparse_direction_NS_24const_host_device_scalarIT0_EES2_PKS2_PKT1_SB_S8_PKT3_PKT4_S6_PT5_21rocsparse_index_base_b,comdat
	.globl	_ZN9rocsparseL20bsrxmvn_17_32_kernelILj22Efii18rocsparse_bfloat16S1_fEEvT2_20rocsparse_direction_NS_24const_host_device_scalarIT0_EES2_PKS2_PKT1_SB_S8_PKT3_PKT4_S6_PT5_21rocsparse_index_base_b ; -- Begin function _ZN9rocsparseL20bsrxmvn_17_32_kernelILj22Efii18rocsparse_bfloat16S1_fEEvT2_20rocsparse_direction_NS_24const_host_device_scalarIT0_EES2_PKS2_PKT1_SB_S8_PKT3_PKT4_S6_PT5_21rocsparse_index_base_b
	.p2align	8
	.type	_ZN9rocsparseL20bsrxmvn_17_32_kernelILj22Efii18rocsparse_bfloat16S1_fEEvT2_20rocsparse_direction_NS_24const_host_device_scalarIT0_EES2_PKS2_PKT1_SB_S8_PKT3_PKT4_S6_PT5_21rocsparse_index_base_b,@function
_ZN9rocsparseL20bsrxmvn_17_32_kernelILj22Efii18rocsparse_bfloat16S1_fEEvT2_20rocsparse_direction_NS_24const_host_device_scalarIT0_EES2_PKS2_PKT1_SB_S8_PKT3_PKT4_S6_PT5_21rocsparse_index_base_b: ; @_ZN9rocsparseL20bsrxmvn_17_32_kernelILj22Efii18rocsparse_bfloat16S1_fEEvT2_20rocsparse_direction_NS_24const_host_device_scalarIT0_EES2_PKS2_PKT1_SB_S8_PKT3_PKT4_S6_PT5_21rocsparse_index_base_b
; %bb.0:
	s_mov_b32 s8, s15
	s_clause 0x2
	s_load_b64 s[14:15], s[0:1], 0x58
	s_load_b64 s[10:11], s[0:1], 0x8
	;; [unrolled: 1-line block ×3, first 2 shown]
	s_waitcnt lgkmcnt(0)
	s_bitcmp1_b32 s15, 0
	s_cselect_b32 s4, -1, 0
	s_delay_alu instid0(SALU_CYCLE_1)
	s_and_b32 vcc_lo, exec_lo, s4
	s_xor_b32 s4, s4, -1
	s_cbranch_vccnz .LBB341_2
; %bb.1:
	s_load_b32 s10, s[10:11], 0x0
.LBB341_2:
	s_and_not1_b32 vcc_lo, exec_lo, s4
	s_cbranch_vccnz .LBB341_4
; %bb.3:
	s_load_b32 s2, s[2:3], 0x0
.LBB341_4:
	s_waitcnt lgkmcnt(0)
	v_cmp_neq_f32_e64 s3, s10, 0
	v_cmp_neq_f32_e64 s4, s2, 1.0
	s_delay_alu instid0(VALU_DEP_1) | instskip(NEXT) | instid1(SALU_CYCLE_1)
	s_or_b32 s3, s3, s4
	s_and_not1_b32 vcc_lo, exec_lo, s3
	s_cbranch_vccnz .LBB341_42
; %bb.5:
	s_clause 0x1
	s_load_b128 s[4:7], s[0:1], 0x18
	s_load_b64 s[12:13], s[0:1], 0x28
	s_waitcnt lgkmcnt(0)
	s_cmp_eq_u64 s[4:5], 0
	s_cbranch_scc1 .LBB341_7
; %bb.6:
	s_ashr_i32 s9, s8, 31
	s_delay_alu instid0(SALU_CYCLE_1) | instskip(NEXT) | instid1(SALU_CYCLE_1)
	s_lshl_b64 s[8:9], s[8:9], 2
	s_add_u32 s4, s4, s8
	s_addc_u32 s5, s5, s9
	s_load_b32 s3, s[4:5], 0x0
	s_waitcnt lgkmcnt(0)
	s_sub_i32 s8, s3, s14
.LBB341_7:
	s_load_b32 s3, s[0:1], 0x4
	v_mul_u32_u24_e32 v1, 0xba3, v0
	v_mov_b32_e32 v6, 0
	s_delay_alu instid0(VALU_DEP_2) | instskip(NEXT) | instid1(VALU_DEP_1)
	v_lshrrev_b32_e32 v1, 16, v1
	v_mul_lo_u16 v2, v1, 22
	s_delay_alu instid0(VALU_DEP_1)
	v_sub_nc_u16 v7, v0, v2
	s_waitcnt lgkmcnt(0)
	s_cmp_eq_u32 s3, 1
	s_cselect_b32 vcc_lo, -1, 0
	s_cmp_lg_u32 s3, 1
	s_cselect_b32 s3, -1, 0
	s_ashr_i32 s9, s8, 31
	s_delay_alu instid0(SALU_CYCLE_1) | instskip(NEXT) | instid1(SALU_CYCLE_1)
	s_lshl_b64 s[4:5], s[8:9], 2
	s_add_u32 s6, s6, s4
	s_addc_u32 s7, s7, s5
	s_add_u32 s9, s6, 4
	s_addc_u32 s11, s7, 0
	;; [unrolled: 2-line block ×3, first 2 shown]
	s_cmp_eq_u64 s[12:13], 0
	s_load_b64 s[12:13], s[0:1], 0x50
	s_cselect_b32 s5, s11, s5
	s_cselect_b32 s4, s9, s4
	s_load_b32 s11, s[6:7], 0x0
	s_load_b32 s9, s[4:5], 0x0
	s_waitcnt lgkmcnt(0)
	s_cmp_ge_i32 s11, s9
	s_cbranch_scc1 .LBB341_12
; %bb.8:
	v_mul_lo_u16 v2, v1, 12
	s_clause 0x1
	s_load_b128 s[4:7], s[0:1], 0x30
	s_load_b64 s[0:1], s[0:1], 0x40
	v_and_b32_e32 v5, 0xffff, v0
	s_sub_i32 s11, s11, s14
	v_lshrrev_b16 v2, 8, v2
	v_lshlrev_b32_e32 v4, 1, v0
	s_mul_i32 s16, s11, 0x3c8
	s_sub_i32 s9, s9, s14
	v_dual_mov_b32 v6, 0 :: v_dual_and_b32 v3, 0xffff, v7
	v_mul_lo_u16 v2, v2, 22
	v_mul_u32_u24_e32 v5, 0x10f, v5
	s_mul_hi_i32 s15, s11, 0x3c8
	s_delay_alu instid0(VALU_DEP_2) | instskip(NEXT) | instid1(VALU_DEP_1)
	v_sub_nc_u16 v1, v1, v2
	v_and_b32_e32 v8, 0xff, v1
	s_waitcnt lgkmcnt(0)
	s_add_u32 s6, s6, s16
	s_addc_u32 s7, s7, s15
	v_add_co_u32 v1, s6, s6, v4
	s_delay_alu instid0(VALU_DEP_1)
	v_add_co_ci_u32_e64 v2, null, s7, 0, s6
	v_cndmask_b32_e32 v3, v3, v8, vcc_lo
	v_lshrrev_b32_e32 v8, 17, v5
	s_set_inst_prefetch_distance 0x1
	s_branch .LBB341_10
	.p2align	6
.LBB341_9:                              ;   in Loop: Header=BB341_10 Depth=1
	s_or_b32 exec_lo, exec_lo, s6
	s_add_i32 s11, s11, 1
	s_delay_alu instid0(SALU_CYCLE_1)
	s_cmp_lt_i32 s11, s9
	s_cbranch_scc0 .LBB341_12
.LBB341_10:                             ; =>This Inner Loop Header: Depth=1
	s_delay_alu instid0(VALU_DEP_1) | instskip(SKIP_1) | instid1(VALU_DEP_1)
	v_add_nc_u32_e32 v4, s11, v8
	s_mov_b32 s6, exec_lo
	v_cmpx_gt_i32_e64 s9, v4
	s_cbranch_execz .LBB341_9
; %bb.11:                               ;   in Loop: Header=BB341_10 Depth=1
	v_ashrrev_i32_e32 v5, 31, v4
	s_delay_alu instid0(VALU_DEP_1) | instskip(NEXT) | instid1(VALU_DEP_1)
	v_lshlrev_b64 v[4:5], 2, v[4:5]
	v_add_co_u32 v4, vcc_lo, s4, v4
	s_delay_alu instid0(VALU_DEP_2) | instskip(SKIP_3) | instid1(VALU_DEP_1)
	v_add_co_ci_u32_e32 v5, vcc_lo, s5, v5, vcc_lo
	global_load_b32 v4, v[4:5], off
	s_waitcnt vmcnt(0)
	v_subrev_nc_u32_e32 v9, s14, v4
	v_mad_u64_u32 v[4:5], null, v9, 22, v[3:4]
	s_delay_alu instid0(VALU_DEP_1) | instskip(NEXT) | instid1(VALU_DEP_1)
	v_ashrrev_i32_e32 v5, 31, v4
	v_lshlrev_b64 v[4:5], 1, v[4:5]
	s_delay_alu instid0(VALU_DEP_1) | instskip(NEXT) | instid1(VALU_DEP_2)
	v_add_co_u32 v4, vcc_lo, s0, v4
	v_add_co_ci_u32_e32 v5, vcc_lo, s1, v5, vcc_lo
	global_load_u16 v9, v[1:2], off
	global_load_u16 v4, v[4:5], off
	v_add_co_u32 v1, vcc_lo, 0x3c8, v1
	v_add_co_ci_u32_e32 v2, vcc_lo, 0, v2, vcc_lo
	s_waitcnt vmcnt(1)
	v_lshlrev_b32_e32 v5, 16, v9
	s_waitcnt vmcnt(0)
	v_lshlrev_b32_e32 v4, 16, v4
	s_delay_alu instid0(VALU_DEP_1)
	v_fmac_f32_e32 v6, v5, v4
	s_branch .LBB341_9
.LBB341_12:
	s_set_inst_prefetch_distance 0x2
	v_lshlrev_b32_e32 v1, 2, v0
	s_and_b32 vcc_lo, exec_lo, s3
	ds_store_b32 v1, v6
	s_waitcnt lgkmcnt(0)
	s_barrier
	buffer_gl0_inv
	s_cbranch_vccz .LBB341_24
; %bb.13:
	s_mov_b32 s0, exec_lo
	v_cmpx_gt_u16_e32 6, v7
	s_cbranch_execz .LBB341_15
; %bb.14:
	ds_load_2addr_b32 v[2:3], v1 offset1:16
	s_waitcnt lgkmcnt(0)
	v_add_f32_e32 v2, v3, v2
	ds_store_b32 v1, v2
.LBB341_15:
	s_or_b32 exec_lo, exec_lo, s0
	s_delay_alu instid0(SALU_CYCLE_1)
	s_mov_b32 s0, exec_lo
	s_waitcnt lgkmcnt(0)
	s_barrier
	buffer_gl0_inv
	v_cmpx_gt_u16_e32 8, v7
	s_cbranch_execz .LBB341_17
; %bb.16:
	ds_load_2addr_b32 v[2:3], v1 offset1:8
	s_waitcnt lgkmcnt(0)
	v_add_f32_e32 v2, v3, v2
	ds_store_b32 v1, v2
.LBB341_17:
	s_or_b32 exec_lo, exec_lo, s0
	s_delay_alu instid0(SALU_CYCLE_1)
	s_mov_b32 s0, exec_lo
	s_waitcnt lgkmcnt(0)
	s_barrier
	buffer_gl0_inv
	;; [unrolled: 14-line block ×3, first 2 shown]
	v_cmpx_gt_u16_e32 2, v7
	s_cbranch_execz .LBB341_21
; %bb.20:
	ds_load_2addr_b32 v[2:3], v1 offset1:2
	s_waitcnt lgkmcnt(0)
	v_add_f32_e32 v2, v3, v2
	ds_store_b32 v1, v2
.LBB341_21:
	s_or_b32 exec_lo, exec_lo, s0
	s_mov_b32 s1, 0
	s_mov_b32 s0, 0
	s_mov_b32 s3, exec_lo
	s_waitcnt lgkmcnt(0)
	s_barrier
	buffer_gl0_inv
                                        ; implicit-def: $vgpr2
                                        ; implicit-def: $vgpr3
	v_cmpx_gt_u32_e32 22, v0
	s_xor_b32 s3, exec_lo, s3
; %bb.22:
	v_mul_u32_u24_e32 v2, 22, v0
	v_mad_u32_u24 v3, 0x54, v0, v1
	s_mov_b32 s0, exec_lo
	s_delay_alu instid0(VALU_DEP_2)
	v_or_b32_e32 v2, 1, v2
; %bb.23:
	s_or_b32 exec_lo, exec_lo, s3
	s_delay_alu instid0(SALU_CYCLE_1)
	s_and_b32 vcc_lo, exec_lo, s1
	s_cbranch_vccnz .LBB341_25
	s_branch .LBB341_36
.LBB341_24:
	s_mov_b32 s0, 0
                                        ; implicit-def: $vgpr2
                                        ; implicit-def: $vgpr3
	s_cbranch_execz .LBB341_36
.LBB341_25:
	s_mov_b32 s1, exec_lo
	v_cmpx_gt_u32_e32 0x84, v0
	s_cbranch_execz .LBB341_27
; %bb.26:
	ds_load_b32 v2, v1 offset:1408
	ds_load_b32 v3, v1
	s_waitcnt lgkmcnt(0)
	v_add_f32_e32 v2, v2, v3
	ds_store_b32 v1, v2
.LBB341_27:
	s_or_b32 exec_lo, exec_lo, s1
	s_delay_alu instid0(SALU_CYCLE_1)
	s_mov_b32 s1, exec_lo
	s_waitcnt lgkmcnt(0)
	s_barrier
	buffer_gl0_inv
	v_cmpx_gt_u32_e32 0xb0, v0
	s_cbranch_execz .LBB341_29
; %bb.28:
	ds_load_2addr_b32 v[2:3], v1 offset1:176
	s_waitcnt lgkmcnt(0)
	v_add_f32_e32 v2, v3, v2
	ds_store_b32 v1, v2
.LBB341_29:
	s_or_b32 exec_lo, exec_lo, s1
	s_delay_alu instid0(SALU_CYCLE_1)
	s_mov_b32 s1, exec_lo
	s_waitcnt lgkmcnt(0)
	s_barrier
	buffer_gl0_inv
	v_cmpx_gt_u32_e32 0x58, v0
	s_cbranch_execz .LBB341_31
; %bb.30:
	ds_load_2addr_b32 v[2:3], v1 offset1:88
	s_waitcnt lgkmcnt(0)
	v_add_f32_e32 v2, v3, v2
	ds_store_b32 v1, v2
.LBB341_31:
	;; [unrolled: 14-line block ×3, first 2 shown]
	s_or_b32 exec_lo, exec_lo, s1
	s_delay_alu instid0(SALU_CYCLE_1)
	s_mov_b32 s1, exec_lo
	s_waitcnt lgkmcnt(0)
	buffer_gl0_inv
                                        ; implicit-def: $vgpr2
	v_cmpx_gt_u32_e32 22, v0
; %bb.34:
	v_add_nc_u32_e32 v2, 22, v0
	s_or_b32 s0, s0, exec_lo
                                        ; implicit-def: $vgpr6
; %bb.35:
	s_or_b32 exec_lo, exec_lo, s1
	v_mov_b32_e32 v3, v1
.LBB341_36:
	s_and_saveexec_b32 s1, s0
	s_cbranch_execz .LBB341_38
; %bb.37:
	v_lshlrev_b32_e32 v1, 2, v2
	ds_load_b32 v2, v3
	ds_load_b32 v1, v1
	s_waitcnt lgkmcnt(0)
	v_add_f32_e32 v6, v2, v1
.LBB341_38:
	s_or_b32 exec_lo, exec_lo, s1
	s_delay_alu instid0(SALU_CYCLE_1)
	s_mov_b32 s0, exec_lo
	v_cmpx_gt_u32_e32 22, v0
	s_cbranch_execz .LBB341_42
; %bb.39:
	v_cmp_eq_f32_e64 s0, s2, 0
	v_mul_f32_e32 v1, s10, v6
	s_delay_alu instid0(VALU_DEP_2)
	s_and_b32 vcc_lo, exec_lo, s0
	s_mov_b32 s0, 0
	s_cbranch_vccz .LBB341_43
; %bb.40:
	s_delay_alu instid0(VALU_DEP_1) | instskip(SKIP_1) | instid1(VALU_DEP_1)
	v_mad_u64_u32 v[2:3], null, s8, 22, v[0:1]
	v_mov_b32_e32 v3, 0
	v_lshlrev_b64 v[2:3], 2, v[2:3]
	s_delay_alu instid0(VALU_DEP_1) | instskip(NEXT) | instid1(VALU_DEP_2)
	v_add_co_u32 v2, vcc_lo, s12, v2
	v_add_co_ci_u32_e32 v3, vcc_lo, s13, v3, vcc_lo
	global_store_b32 v[2:3], v1, off
	s_and_not1_b32 vcc_lo, exec_lo, s0
	s_cbranch_vccnz .LBB341_42
.LBB341_41:
	v_mad_u64_u32 v[2:3], null, s8, 22, v[0:1]
	v_mov_b32_e32 v3, 0
	s_delay_alu instid0(VALU_DEP_1) | instskip(NEXT) | instid1(VALU_DEP_1)
	v_lshlrev_b64 v[2:3], 2, v[2:3]
	v_add_co_u32 v2, vcc_lo, s12, v2
	s_delay_alu instid0(VALU_DEP_2)
	v_add_co_ci_u32_e32 v3, vcc_lo, s13, v3, vcc_lo
	global_load_b32 v0, v[2:3], off
	s_waitcnt vmcnt(0)
	v_fmac_f32_e32 v1, s2, v0
	global_store_b32 v[2:3], v1, off
.LBB341_42:
	s_nop 0
	s_sendmsg sendmsg(MSG_DEALLOC_VGPRS)
	s_endpgm
.LBB341_43:
	s_branch .LBB341_41
	.section	.rodata,"a",@progbits
	.p2align	6, 0x0
	.amdhsa_kernel _ZN9rocsparseL20bsrxmvn_17_32_kernelILj22Efii18rocsparse_bfloat16S1_fEEvT2_20rocsparse_direction_NS_24const_host_device_scalarIT0_EES2_PKS2_PKT1_SB_S8_PKT3_PKT4_S6_PT5_21rocsparse_index_base_b
		.amdhsa_group_segment_fixed_size 1936
		.amdhsa_private_segment_fixed_size 0
		.amdhsa_kernarg_size 96
		.amdhsa_user_sgpr_count 15
		.amdhsa_user_sgpr_dispatch_ptr 0
		.amdhsa_user_sgpr_queue_ptr 0
		.amdhsa_user_sgpr_kernarg_segment_ptr 1
		.amdhsa_user_sgpr_dispatch_id 0
		.amdhsa_user_sgpr_private_segment_size 0
		.amdhsa_wavefront_size32 1
		.amdhsa_uses_dynamic_stack 0
		.amdhsa_enable_private_segment 0
		.amdhsa_system_sgpr_workgroup_id_x 1
		.amdhsa_system_sgpr_workgroup_id_y 0
		.amdhsa_system_sgpr_workgroup_id_z 0
		.amdhsa_system_sgpr_workgroup_info 0
		.amdhsa_system_vgpr_workitem_id 0
		.amdhsa_next_free_vgpr 10
		.amdhsa_next_free_sgpr 17
		.amdhsa_reserve_vcc 1
		.amdhsa_float_round_mode_32 0
		.amdhsa_float_round_mode_16_64 0
		.amdhsa_float_denorm_mode_32 3
		.amdhsa_float_denorm_mode_16_64 3
		.amdhsa_dx10_clamp 1
		.amdhsa_ieee_mode 1
		.amdhsa_fp16_overflow 0
		.amdhsa_workgroup_processor_mode 1
		.amdhsa_memory_ordered 1
		.amdhsa_forward_progress 0
		.amdhsa_shared_vgpr_count 0
		.amdhsa_exception_fp_ieee_invalid_op 0
		.amdhsa_exception_fp_denorm_src 0
		.amdhsa_exception_fp_ieee_div_zero 0
		.amdhsa_exception_fp_ieee_overflow 0
		.amdhsa_exception_fp_ieee_underflow 0
		.amdhsa_exception_fp_ieee_inexact 0
		.amdhsa_exception_int_div_zero 0
	.end_amdhsa_kernel
	.section	.text._ZN9rocsparseL20bsrxmvn_17_32_kernelILj22Efii18rocsparse_bfloat16S1_fEEvT2_20rocsparse_direction_NS_24const_host_device_scalarIT0_EES2_PKS2_PKT1_SB_S8_PKT3_PKT4_S6_PT5_21rocsparse_index_base_b,"axG",@progbits,_ZN9rocsparseL20bsrxmvn_17_32_kernelILj22Efii18rocsparse_bfloat16S1_fEEvT2_20rocsparse_direction_NS_24const_host_device_scalarIT0_EES2_PKS2_PKT1_SB_S8_PKT3_PKT4_S6_PT5_21rocsparse_index_base_b,comdat
.Lfunc_end341:
	.size	_ZN9rocsparseL20bsrxmvn_17_32_kernelILj22Efii18rocsparse_bfloat16S1_fEEvT2_20rocsparse_direction_NS_24const_host_device_scalarIT0_EES2_PKS2_PKT1_SB_S8_PKT3_PKT4_S6_PT5_21rocsparse_index_base_b, .Lfunc_end341-_ZN9rocsparseL20bsrxmvn_17_32_kernelILj22Efii18rocsparse_bfloat16S1_fEEvT2_20rocsparse_direction_NS_24const_host_device_scalarIT0_EES2_PKS2_PKT1_SB_S8_PKT3_PKT4_S6_PT5_21rocsparse_index_base_b
                                        ; -- End function
	.section	.AMDGPU.csdata,"",@progbits
; Kernel info:
; codeLenInByte = 1552
; NumSgprs: 19
; NumVgprs: 10
; ScratchSize: 0
; MemoryBound: 0
; FloatMode: 240
; IeeeMode: 1
; LDSByteSize: 1936 bytes/workgroup (compile time only)
; SGPRBlocks: 2
; VGPRBlocks: 1
; NumSGPRsForWavesPerEU: 19
; NumVGPRsForWavesPerEU: 10
; Occupancy: 16
; WaveLimiterHint : 1
; COMPUTE_PGM_RSRC2:SCRATCH_EN: 0
; COMPUTE_PGM_RSRC2:USER_SGPR: 15
; COMPUTE_PGM_RSRC2:TRAP_HANDLER: 0
; COMPUTE_PGM_RSRC2:TGID_X_EN: 1
; COMPUTE_PGM_RSRC2:TGID_Y_EN: 0
; COMPUTE_PGM_RSRC2:TGID_Z_EN: 0
; COMPUTE_PGM_RSRC2:TIDIG_COMP_CNT: 0
	.section	.text._ZN9rocsparseL20bsrxmvn_17_32_kernelILj23Efii18rocsparse_bfloat16S1_fEEvT2_20rocsparse_direction_NS_24const_host_device_scalarIT0_EES2_PKS2_PKT1_SB_S8_PKT3_PKT4_S6_PT5_21rocsparse_index_base_b,"axG",@progbits,_ZN9rocsparseL20bsrxmvn_17_32_kernelILj23Efii18rocsparse_bfloat16S1_fEEvT2_20rocsparse_direction_NS_24const_host_device_scalarIT0_EES2_PKS2_PKT1_SB_S8_PKT3_PKT4_S6_PT5_21rocsparse_index_base_b,comdat
	.globl	_ZN9rocsparseL20bsrxmvn_17_32_kernelILj23Efii18rocsparse_bfloat16S1_fEEvT2_20rocsparse_direction_NS_24const_host_device_scalarIT0_EES2_PKS2_PKT1_SB_S8_PKT3_PKT4_S6_PT5_21rocsparse_index_base_b ; -- Begin function _ZN9rocsparseL20bsrxmvn_17_32_kernelILj23Efii18rocsparse_bfloat16S1_fEEvT2_20rocsparse_direction_NS_24const_host_device_scalarIT0_EES2_PKS2_PKT1_SB_S8_PKT3_PKT4_S6_PT5_21rocsparse_index_base_b
	.p2align	8
	.type	_ZN9rocsparseL20bsrxmvn_17_32_kernelILj23Efii18rocsparse_bfloat16S1_fEEvT2_20rocsparse_direction_NS_24const_host_device_scalarIT0_EES2_PKS2_PKT1_SB_S8_PKT3_PKT4_S6_PT5_21rocsparse_index_base_b,@function
_ZN9rocsparseL20bsrxmvn_17_32_kernelILj23Efii18rocsparse_bfloat16S1_fEEvT2_20rocsparse_direction_NS_24const_host_device_scalarIT0_EES2_PKS2_PKT1_SB_S8_PKT3_PKT4_S6_PT5_21rocsparse_index_base_b: ; @_ZN9rocsparseL20bsrxmvn_17_32_kernelILj23Efii18rocsparse_bfloat16S1_fEEvT2_20rocsparse_direction_NS_24const_host_device_scalarIT0_EES2_PKS2_PKT1_SB_S8_PKT3_PKT4_S6_PT5_21rocsparse_index_base_b
; %bb.0:
	s_mov_b32 s8, s15
	s_clause 0x2
	s_load_b64 s[14:15], s[0:1], 0x58
	s_load_b64 s[10:11], s[0:1], 0x8
	;; [unrolled: 1-line block ×3, first 2 shown]
	s_waitcnt lgkmcnt(0)
	s_bitcmp1_b32 s15, 0
	s_cselect_b32 s4, -1, 0
	s_delay_alu instid0(SALU_CYCLE_1)
	s_and_b32 vcc_lo, exec_lo, s4
	s_xor_b32 s4, s4, -1
	s_cbranch_vccnz .LBB342_2
; %bb.1:
	s_load_b32 s10, s[10:11], 0x0
.LBB342_2:
	s_and_not1_b32 vcc_lo, exec_lo, s4
	s_cbranch_vccnz .LBB342_4
; %bb.3:
	s_load_b32 s2, s[2:3], 0x0
.LBB342_4:
	s_waitcnt lgkmcnt(0)
	v_cmp_neq_f32_e64 s3, s10, 0
	v_cmp_neq_f32_e64 s4, s2, 1.0
	s_delay_alu instid0(VALU_DEP_1) | instskip(NEXT) | instid1(SALU_CYCLE_1)
	s_or_b32 s3, s3, s4
	s_and_not1_b32 vcc_lo, exec_lo, s3
	s_cbranch_vccnz .LBB342_42
; %bb.5:
	s_clause 0x1
	s_load_b128 s[4:7], s[0:1], 0x18
	s_load_b64 s[12:13], s[0:1], 0x28
	s_waitcnt lgkmcnt(0)
	s_cmp_eq_u64 s[4:5], 0
	s_cbranch_scc1 .LBB342_7
; %bb.6:
	s_ashr_i32 s9, s8, 31
	s_delay_alu instid0(SALU_CYCLE_1) | instskip(NEXT) | instid1(SALU_CYCLE_1)
	s_lshl_b64 s[8:9], s[8:9], 2
	s_add_u32 s4, s4, s8
	s_addc_u32 s5, s5, s9
	s_load_b32 s3, s[4:5], 0x0
	s_waitcnt lgkmcnt(0)
	s_sub_i32 s8, s3, s14
.LBB342_7:
	s_load_b32 s3, s[0:1], 0x4
	v_mul_u32_u24_e32 v1, 0xb22, v0
	v_mov_b32_e32 v6, 0
	s_delay_alu instid0(VALU_DEP_2) | instskip(NEXT) | instid1(VALU_DEP_1)
	v_lshrrev_b32_e32 v1, 16, v1
	v_mul_lo_u16 v2, v1, 23
	s_delay_alu instid0(VALU_DEP_1)
	v_sub_nc_u16 v7, v0, v2
	s_waitcnt lgkmcnt(0)
	s_cmp_eq_u32 s3, 1
	s_cselect_b32 vcc_lo, -1, 0
	s_cmp_lg_u32 s3, 1
	s_cselect_b32 s3, -1, 0
	s_ashr_i32 s9, s8, 31
	s_delay_alu instid0(SALU_CYCLE_1) | instskip(NEXT) | instid1(SALU_CYCLE_1)
	s_lshl_b64 s[4:5], s[8:9], 2
	s_add_u32 s6, s6, s4
	s_addc_u32 s7, s7, s5
	s_add_u32 s9, s6, 4
	s_addc_u32 s11, s7, 0
	;; [unrolled: 2-line block ×3, first 2 shown]
	s_cmp_eq_u64 s[12:13], 0
	s_load_b64 s[12:13], s[0:1], 0x50
	s_cselect_b32 s5, s11, s5
	s_cselect_b32 s4, s9, s4
	s_load_b32 s9, s[6:7], 0x0
	s_load_b32 s11, s[4:5], 0x0
	s_waitcnt lgkmcnt(0)
	s_cmp_ge_i32 s9, s11
	s_cbranch_scc1 .LBB342_12
; %bb.8:
	s_clause 0x1
	s_load_b128 s[4:7], s[0:1], 0x30
	s_load_b64 s[16:17], s[0:1], 0x40
	v_dual_mov_b32 v6, 0 :: v_dual_and_b32 v1, 0xffff, v1
	v_cmp_gt_u32_e64 s0, 0x211, v0
	v_and_b32_e32 v3, 0xffff, v7
	s_sub_i32 s9, s9, s14
	s_delay_alu instid0(VALU_DEP_3) | instskip(SKIP_2) | instid1(VALU_DEP_1)
	v_subrev_nc_u32_e32 v2, 23, v1
	s_sub_i32 s1, s11, s14
	s_mul_i32 s11, s9, 0x422
	v_cndmask_b32_e64 v1, v2, v1, s0
	v_lshlrev_b32_e32 v2, 1, v0
	s_mul_hi_i32 s0, s9, 0x422
	s_delay_alu instid0(VALU_DEP_2)
	v_cndmask_b32_e32 v1, v3, v1, vcc_lo
	v_cmp_lt_u32_e32 vcc_lo, 0x210, v0
	s_waitcnt lgkmcnt(0)
	s_add_u32 s6, s6, s11
	s_addc_u32 s0, s7, s0
	v_add_co_u32 v2, s6, s6, v2
	s_delay_alu instid0(VALU_DEP_1)
	v_add_co_ci_u32_e64 v3, null, s0, 0, s6
	v_cndmask_b32_e64 v8, 0, 1, vcc_lo
	s_set_inst_prefetch_distance 0x1
	s_branch .LBB342_10
	.p2align	6
.LBB342_9:                              ;   in Loop: Header=BB342_10 Depth=1
	s_or_b32 exec_lo, exec_lo, s0
	s_add_i32 s9, s9, 1
	s_delay_alu instid0(SALU_CYCLE_1)
	s_cmp_lt_i32 s9, s1
	s_cbranch_scc0 .LBB342_12
.LBB342_10:                             ; =>This Inner Loop Header: Depth=1
	s_delay_alu instid0(VALU_DEP_1) | instskip(SKIP_1) | instid1(VALU_DEP_1)
	v_add_nc_u32_e32 v4, s9, v8
	s_mov_b32 s0, exec_lo
	v_cmpx_gt_i32_e64 s1, v4
	s_cbranch_execz .LBB342_9
; %bb.11:                               ;   in Loop: Header=BB342_10 Depth=1
	v_ashrrev_i32_e32 v5, 31, v4
	s_delay_alu instid0(VALU_DEP_1) | instskip(NEXT) | instid1(VALU_DEP_1)
	v_lshlrev_b64 v[4:5], 2, v[4:5]
	v_add_co_u32 v4, vcc_lo, s4, v4
	s_delay_alu instid0(VALU_DEP_2) | instskip(SKIP_3) | instid1(VALU_DEP_1)
	v_add_co_ci_u32_e32 v5, vcc_lo, s5, v5, vcc_lo
	global_load_b32 v4, v[4:5], off
	s_waitcnt vmcnt(0)
	v_subrev_nc_u32_e32 v9, s14, v4
	v_mad_u64_u32 v[4:5], null, v9, 23, v[1:2]
	s_delay_alu instid0(VALU_DEP_1) | instskip(NEXT) | instid1(VALU_DEP_1)
	v_ashrrev_i32_e32 v5, 31, v4
	v_lshlrev_b64 v[4:5], 1, v[4:5]
	s_delay_alu instid0(VALU_DEP_1) | instskip(NEXT) | instid1(VALU_DEP_2)
	v_add_co_u32 v4, vcc_lo, s16, v4
	v_add_co_ci_u32_e32 v5, vcc_lo, s17, v5, vcc_lo
	global_load_u16 v9, v[2:3], off
	global_load_u16 v4, v[4:5], off
	v_add_co_u32 v2, vcc_lo, 0x422, v2
	v_add_co_ci_u32_e32 v3, vcc_lo, 0, v3, vcc_lo
	s_waitcnt vmcnt(1)
	v_lshlrev_b32_e32 v5, 16, v9
	s_waitcnt vmcnt(0)
	v_lshlrev_b32_e32 v4, 16, v4
	s_delay_alu instid0(VALU_DEP_1)
	v_fmac_f32_e32 v6, v5, v4
	s_branch .LBB342_9
.LBB342_12:
	s_set_inst_prefetch_distance 0x2
	v_lshlrev_b32_e32 v1, 2, v0
	s_and_b32 vcc_lo, exec_lo, s3
	ds_store_b32 v1, v6
	s_waitcnt lgkmcnt(0)
	s_barrier
	buffer_gl0_inv
	s_cbranch_vccz .LBB342_24
; %bb.13:
	s_mov_b32 s0, exec_lo
	v_cmpx_gt_u16_e32 7, v7
	s_cbranch_execz .LBB342_15
; %bb.14:
	ds_load_2addr_b32 v[2:3], v1 offset1:16
	s_waitcnt lgkmcnt(0)
	v_add_f32_e32 v2, v3, v2
	ds_store_b32 v1, v2
.LBB342_15:
	s_or_b32 exec_lo, exec_lo, s0
	s_delay_alu instid0(SALU_CYCLE_1)
	s_mov_b32 s0, exec_lo
	s_waitcnt lgkmcnt(0)
	s_barrier
	buffer_gl0_inv
	v_cmpx_gt_u16_e32 8, v7
	s_cbranch_execz .LBB342_17
; %bb.16:
	ds_load_2addr_b32 v[2:3], v1 offset1:8
	s_waitcnt lgkmcnt(0)
	v_add_f32_e32 v2, v3, v2
	ds_store_b32 v1, v2
.LBB342_17:
	s_or_b32 exec_lo, exec_lo, s0
	s_delay_alu instid0(SALU_CYCLE_1)
	s_mov_b32 s0, exec_lo
	s_waitcnt lgkmcnt(0)
	s_barrier
	buffer_gl0_inv
	;; [unrolled: 14-line block ×3, first 2 shown]
	v_cmpx_gt_u16_e32 2, v7
	s_cbranch_execz .LBB342_21
; %bb.20:
	ds_load_2addr_b32 v[2:3], v1 offset1:2
	s_waitcnt lgkmcnt(0)
	v_add_f32_e32 v2, v3, v2
	ds_store_b32 v1, v2
.LBB342_21:
	s_or_b32 exec_lo, exec_lo, s0
	s_mov_b32 s1, 0
	s_mov_b32 s0, 0
	s_mov_b32 s3, exec_lo
	s_waitcnt lgkmcnt(0)
	s_barrier
	buffer_gl0_inv
                                        ; implicit-def: $vgpr2
                                        ; implicit-def: $vgpr3
	v_cmpx_gt_u32_e32 23, v0
	s_xor_b32 s3, exec_lo, s3
; %bb.22:
	v_mad_u32_u24 v2, v0, 23, 1
	v_mad_u32_u24 v3, 0x58, v0, v1
	s_mov_b32 s0, exec_lo
; %bb.23:
	s_or_b32 exec_lo, exec_lo, s3
	s_delay_alu instid0(SALU_CYCLE_1)
	s_and_b32 vcc_lo, exec_lo, s1
	s_cbranch_vccnz .LBB342_25
	s_branch .LBB342_36
.LBB342_24:
	s_mov_b32 s0, 0
                                        ; implicit-def: $vgpr2
                                        ; implicit-def: $vgpr3
	s_cbranch_execz .LBB342_36
.LBB342_25:
	s_mov_b32 s1, exec_lo
	v_cmpx_gt_u32_e32 0xa1, v0
	s_cbranch_execz .LBB342_27
; %bb.26:
	ds_load_b32 v2, v1 offset:1472
	ds_load_b32 v3, v1
	s_waitcnt lgkmcnt(0)
	v_add_f32_e32 v2, v2, v3
	ds_store_b32 v1, v2
.LBB342_27:
	s_or_b32 exec_lo, exec_lo, s1
	s_delay_alu instid0(SALU_CYCLE_1)
	s_mov_b32 s1, exec_lo
	s_waitcnt lgkmcnt(0)
	s_barrier
	buffer_gl0_inv
	v_cmpx_gt_u32_e32 0xb8, v0
	s_cbranch_execz .LBB342_29
; %bb.28:
	ds_load_2addr_b32 v[2:3], v1 offset1:184
	s_waitcnt lgkmcnt(0)
	v_add_f32_e32 v2, v3, v2
	ds_store_b32 v1, v2
.LBB342_29:
	s_or_b32 exec_lo, exec_lo, s1
	s_delay_alu instid0(SALU_CYCLE_1)
	s_mov_b32 s1, exec_lo
	s_waitcnt lgkmcnt(0)
	s_barrier
	buffer_gl0_inv
	v_cmpx_gt_u32_e32 0x5c, v0
	s_cbranch_execz .LBB342_31
; %bb.30:
	ds_load_2addr_b32 v[2:3], v1 offset1:92
	s_waitcnt lgkmcnt(0)
	v_add_f32_e32 v2, v3, v2
	ds_store_b32 v1, v2
.LBB342_31:
	;; [unrolled: 14-line block ×3, first 2 shown]
	s_or_b32 exec_lo, exec_lo, s1
	s_delay_alu instid0(SALU_CYCLE_1)
	s_mov_b32 s1, exec_lo
	s_waitcnt lgkmcnt(0)
	buffer_gl0_inv
                                        ; implicit-def: $vgpr2
	v_cmpx_gt_u32_e32 23, v0
; %bb.34:
	v_add_nc_u32_e32 v2, 23, v0
	s_or_b32 s0, s0, exec_lo
                                        ; implicit-def: $vgpr6
; %bb.35:
	s_or_b32 exec_lo, exec_lo, s1
	v_mov_b32_e32 v3, v1
.LBB342_36:
	s_and_saveexec_b32 s1, s0
	s_cbranch_execz .LBB342_38
; %bb.37:
	v_lshlrev_b32_e32 v1, 2, v2
	ds_load_b32 v2, v3
	ds_load_b32 v1, v1
	s_waitcnt lgkmcnt(0)
	v_add_f32_e32 v6, v2, v1
.LBB342_38:
	s_or_b32 exec_lo, exec_lo, s1
	s_delay_alu instid0(SALU_CYCLE_1)
	s_mov_b32 s0, exec_lo
	v_cmpx_gt_u32_e32 23, v0
	s_cbranch_execz .LBB342_42
; %bb.39:
	v_cmp_eq_f32_e64 s0, s2, 0
	v_mul_f32_e32 v1, s10, v6
	s_delay_alu instid0(VALU_DEP_2)
	s_and_b32 vcc_lo, exec_lo, s0
	s_mov_b32 s0, 0
	s_cbranch_vccz .LBB342_43
; %bb.40:
	s_delay_alu instid0(VALU_DEP_1) | instskip(SKIP_1) | instid1(VALU_DEP_1)
	v_mad_u64_u32 v[2:3], null, s8, 23, v[0:1]
	v_mov_b32_e32 v3, 0
	v_lshlrev_b64 v[2:3], 2, v[2:3]
	s_delay_alu instid0(VALU_DEP_1) | instskip(NEXT) | instid1(VALU_DEP_2)
	v_add_co_u32 v2, vcc_lo, s12, v2
	v_add_co_ci_u32_e32 v3, vcc_lo, s13, v3, vcc_lo
	global_store_b32 v[2:3], v1, off
	s_and_not1_b32 vcc_lo, exec_lo, s0
	s_cbranch_vccnz .LBB342_42
.LBB342_41:
	v_mad_u64_u32 v[2:3], null, s8, 23, v[0:1]
	v_mov_b32_e32 v3, 0
	s_delay_alu instid0(VALU_DEP_1) | instskip(NEXT) | instid1(VALU_DEP_1)
	v_lshlrev_b64 v[2:3], 2, v[2:3]
	v_add_co_u32 v2, vcc_lo, s12, v2
	s_delay_alu instid0(VALU_DEP_2)
	v_add_co_ci_u32_e32 v3, vcc_lo, s13, v3, vcc_lo
	global_load_b32 v0, v[2:3], off
	s_waitcnt vmcnt(0)
	v_fmac_f32_e32 v1, s2, v0
	global_store_b32 v[2:3], v1, off
.LBB342_42:
	s_nop 0
	s_sendmsg sendmsg(MSG_DEALLOC_VGPRS)
	s_endpgm
.LBB342_43:
	s_branch .LBB342_41
	.section	.rodata,"a",@progbits
	.p2align	6, 0x0
	.amdhsa_kernel _ZN9rocsparseL20bsrxmvn_17_32_kernelILj23Efii18rocsparse_bfloat16S1_fEEvT2_20rocsparse_direction_NS_24const_host_device_scalarIT0_EES2_PKS2_PKT1_SB_S8_PKT3_PKT4_S6_PT5_21rocsparse_index_base_b
		.amdhsa_group_segment_fixed_size 2116
		.amdhsa_private_segment_fixed_size 0
		.amdhsa_kernarg_size 96
		.amdhsa_user_sgpr_count 15
		.amdhsa_user_sgpr_dispatch_ptr 0
		.amdhsa_user_sgpr_queue_ptr 0
		.amdhsa_user_sgpr_kernarg_segment_ptr 1
		.amdhsa_user_sgpr_dispatch_id 0
		.amdhsa_user_sgpr_private_segment_size 0
		.amdhsa_wavefront_size32 1
		.amdhsa_uses_dynamic_stack 0
		.amdhsa_enable_private_segment 0
		.amdhsa_system_sgpr_workgroup_id_x 1
		.amdhsa_system_sgpr_workgroup_id_y 0
		.amdhsa_system_sgpr_workgroup_id_z 0
		.amdhsa_system_sgpr_workgroup_info 0
		.amdhsa_system_vgpr_workitem_id 0
		.amdhsa_next_free_vgpr 10
		.amdhsa_next_free_sgpr 18
		.amdhsa_reserve_vcc 1
		.amdhsa_float_round_mode_32 0
		.amdhsa_float_round_mode_16_64 0
		.amdhsa_float_denorm_mode_32 3
		.amdhsa_float_denorm_mode_16_64 3
		.amdhsa_dx10_clamp 1
		.amdhsa_ieee_mode 1
		.amdhsa_fp16_overflow 0
		.amdhsa_workgroup_processor_mode 1
		.amdhsa_memory_ordered 1
		.amdhsa_forward_progress 0
		.amdhsa_shared_vgpr_count 0
		.amdhsa_exception_fp_ieee_invalid_op 0
		.amdhsa_exception_fp_denorm_src 0
		.amdhsa_exception_fp_ieee_div_zero 0
		.amdhsa_exception_fp_ieee_overflow 0
		.amdhsa_exception_fp_ieee_underflow 0
		.amdhsa_exception_fp_ieee_inexact 0
		.amdhsa_exception_int_div_zero 0
	.end_amdhsa_kernel
	.section	.text._ZN9rocsparseL20bsrxmvn_17_32_kernelILj23Efii18rocsparse_bfloat16S1_fEEvT2_20rocsparse_direction_NS_24const_host_device_scalarIT0_EES2_PKS2_PKT1_SB_S8_PKT3_PKT4_S6_PT5_21rocsparse_index_base_b,"axG",@progbits,_ZN9rocsparseL20bsrxmvn_17_32_kernelILj23Efii18rocsparse_bfloat16S1_fEEvT2_20rocsparse_direction_NS_24const_host_device_scalarIT0_EES2_PKS2_PKT1_SB_S8_PKT3_PKT4_S6_PT5_21rocsparse_index_base_b,comdat
.Lfunc_end342:
	.size	_ZN9rocsparseL20bsrxmvn_17_32_kernelILj23Efii18rocsparse_bfloat16S1_fEEvT2_20rocsparse_direction_NS_24const_host_device_scalarIT0_EES2_PKS2_PKT1_SB_S8_PKT3_PKT4_S6_PT5_21rocsparse_index_base_b, .Lfunc_end342-_ZN9rocsparseL20bsrxmvn_17_32_kernelILj23Efii18rocsparse_bfloat16S1_fEEvT2_20rocsparse_direction_NS_24const_host_device_scalarIT0_EES2_PKS2_PKT1_SB_S8_PKT3_PKT4_S6_PT5_21rocsparse_index_base_b
                                        ; -- End function
	.section	.AMDGPU.csdata,"",@progbits
; Kernel info:
; codeLenInByte = 1540
; NumSgprs: 20
; NumVgprs: 10
; ScratchSize: 0
; MemoryBound: 0
; FloatMode: 240
; IeeeMode: 1
; LDSByteSize: 2116 bytes/workgroup (compile time only)
; SGPRBlocks: 2
; VGPRBlocks: 1
; NumSGPRsForWavesPerEU: 20
; NumVGPRsForWavesPerEU: 10
; Occupancy: 13
; WaveLimiterHint : 1
; COMPUTE_PGM_RSRC2:SCRATCH_EN: 0
; COMPUTE_PGM_RSRC2:USER_SGPR: 15
; COMPUTE_PGM_RSRC2:TRAP_HANDLER: 0
; COMPUTE_PGM_RSRC2:TGID_X_EN: 1
; COMPUTE_PGM_RSRC2:TGID_Y_EN: 0
; COMPUTE_PGM_RSRC2:TGID_Z_EN: 0
; COMPUTE_PGM_RSRC2:TIDIG_COMP_CNT: 0
	.section	.text._ZN9rocsparseL20bsrxmvn_17_32_kernelILj24Efii18rocsparse_bfloat16S1_fEEvT2_20rocsparse_direction_NS_24const_host_device_scalarIT0_EES2_PKS2_PKT1_SB_S8_PKT3_PKT4_S6_PT5_21rocsparse_index_base_b,"axG",@progbits,_ZN9rocsparseL20bsrxmvn_17_32_kernelILj24Efii18rocsparse_bfloat16S1_fEEvT2_20rocsparse_direction_NS_24const_host_device_scalarIT0_EES2_PKS2_PKT1_SB_S8_PKT3_PKT4_S6_PT5_21rocsparse_index_base_b,comdat
	.globl	_ZN9rocsparseL20bsrxmvn_17_32_kernelILj24Efii18rocsparse_bfloat16S1_fEEvT2_20rocsparse_direction_NS_24const_host_device_scalarIT0_EES2_PKS2_PKT1_SB_S8_PKT3_PKT4_S6_PT5_21rocsparse_index_base_b ; -- Begin function _ZN9rocsparseL20bsrxmvn_17_32_kernelILj24Efii18rocsparse_bfloat16S1_fEEvT2_20rocsparse_direction_NS_24const_host_device_scalarIT0_EES2_PKS2_PKT1_SB_S8_PKT3_PKT4_S6_PT5_21rocsparse_index_base_b
	.p2align	8
	.type	_ZN9rocsparseL20bsrxmvn_17_32_kernelILj24Efii18rocsparse_bfloat16S1_fEEvT2_20rocsparse_direction_NS_24const_host_device_scalarIT0_EES2_PKS2_PKT1_SB_S8_PKT3_PKT4_S6_PT5_21rocsparse_index_base_b,@function
_ZN9rocsparseL20bsrxmvn_17_32_kernelILj24Efii18rocsparse_bfloat16S1_fEEvT2_20rocsparse_direction_NS_24const_host_device_scalarIT0_EES2_PKS2_PKT1_SB_S8_PKT3_PKT4_S6_PT5_21rocsparse_index_base_b: ; @_ZN9rocsparseL20bsrxmvn_17_32_kernelILj24Efii18rocsparse_bfloat16S1_fEEvT2_20rocsparse_direction_NS_24const_host_device_scalarIT0_EES2_PKS2_PKT1_SB_S8_PKT3_PKT4_S6_PT5_21rocsparse_index_base_b
; %bb.0:
	s_mov_b32 s8, s15
	s_clause 0x2
	s_load_b64 s[14:15], s[0:1], 0x58
	s_load_b64 s[10:11], s[0:1], 0x8
	;; [unrolled: 1-line block ×3, first 2 shown]
	s_waitcnt lgkmcnt(0)
	s_bitcmp1_b32 s15, 0
	s_cselect_b32 s4, -1, 0
	s_delay_alu instid0(SALU_CYCLE_1)
	s_and_b32 vcc_lo, exec_lo, s4
	s_xor_b32 s4, s4, -1
	s_cbranch_vccnz .LBB343_2
; %bb.1:
	s_load_b32 s10, s[10:11], 0x0
.LBB343_2:
	s_and_not1_b32 vcc_lo, exec_lo, s4
	s_cbranch_vccnz .LBB343_4
; %bb.3:
	s_load_b32 s2, s[2:3], 0x0
.LBB343_4:
	s_waitcnt lgkmcnt(0)
	v_cmp_neq_f32_e64 s3, s10, 0
	v_cmp_neq_f32_e64 s4, s2, 1.0
	s_delay_alu instid0(VALU_DEP_1) | instskip(NEXT) | instid1(SALU_CYCLE_1)
	s_or_b32 s3, s3, s4
	s_and_not1_b32 vcc_lo, exec_lo, s3
	s_cbranch_vccnz .LBB343_42
; %bb.5:
	s_clause 0x1
	s_load_b128 s[4:7], s[0:1], 0x18
	s_load_b64 s[12:13], s[0:1], 0x28
	s_waitcnt lgkmcnt(0)
	s_cmp_eq_u64 s[4:5], 0
	s_cbranch_scc1 .LBB343_7
; %bb.6:
	s_ashr_i32 s9, s8, 31
	s_delay_alu instid0(SALU_CYCLE_1) | instskip(NEXT) | instid1(SALU_CYCLE_1)
	s_lshl_b64 s[8:9], s[8:9], 2
	s_add_u32 s4, s4, s8
	s_addc_u32 s5, s5, s9
	s_load_b32 s3, s[4:5], 0x0
	s_waitcnt lgkmcnt(0)
	s_sub_i32 s8, s3, s14
.LBB343_7:
	s_load_b32 s3, s[0:1], 0x4
	v_mul_u32_u24_e32 v1, 0xaab, v0
	v_mov_b32_e32 v6, 0
	s_delay_alu instid0(VALU_DEP_2) | instskip(NEXT) | instid1(VALU_DEP_1)
	v_lshrrev_b32_e32 v1, 16, v1
	v_mul_lo_u16 v2, v1, 24
	s_delay_alu instid0(VALU_DEP_1)
	v_sub_nc_u16 v7, v0, v2
	s_waitcnt lgkmcnt(0)
	s_cmp_eq_u32 s3, 1
	s_cselect_b32 vcc_lo, -1, 0
	s_cmp_lg_u32 s3, 1
	s_cselect_b32 s3, -1, 0
	s_ashr_i32 s9, s8, 31
	s_delay_alu instid0(SALU_CYCLE_1) | instskip(NEXT) | instid1(SALU_CYCLE_1)
	s_lshl_b64 s[4:5], s[8:9], 2
	s_add_u32 s6, s6, s4
	s_addc_u32 s7, s7, s5
	s_add_u32 s9, s6, 4
	s_addc_u32 s11, s7, 0
	;; [unrolled: 2-line block ×3, first 2 shown]
	s_cmp_eq_u64 s[12:13], 0
	s_load_b64 s[12:13], s[0:1], 0x50
	s_cselect_b32 s5, s11, s5
	s_cselect_b32 s4, s9, s4
	s_load_b32 s9, s[6:7], 0x0
	s_load_b32 s11, s[4:5], 0x0
	s_waitcnt lgkmcnt(0)
	s_cmp_ge_i32 s9, s11
	s_cbranch_scc1 .LBB343_12
; %bb.8:
	s_clause 0x1
	s_load_b128 s[4:7], s[0:1], 0x30
	s_load_b64 s[16:17], s[0:1], 0x40
	v_dual_mov_b32 v6, 0 :: v_dual_and_b32 v1, 0xffff, v1
	v_cmp_gt_u32_e64 s0, 0x240, v0
	v_and_b32_e32 v3, 0xffff, v7
	s_sub_i32 s9, s9, s14
	s_delay_alu instid0(VALU_DEP_3) | instskip(SKIP_2) | instid1(VALU_DEP_1)
	v_subrev_nc_u32_e32 v2, 24, v1
	s_sub_i32 s1, s11, s14
	s_mul_i32 s11, s9, 0x480
	v_cndmask_b32_e64 v1, v2, v1, s0
	v_lshlrev_b32_e32 v2, 1, v0
	s_mul_hi_i32 s0, s9, 0x480
	s_delay_alu instid0(VALU_DEP_2)
	v_cndmask_b32_e32 v1, v3, v1, vcc_lo
	v_cmp_lt_u32_e32 vcc_lo, 0x23f, v0
	s_waitcnt lgkmcnt(0)
	s_add_u32 s6, s6, s11
	s_addc_u32 s0, s7, s0
	v_add_co_u32 v2, s6, s6, v2
	s_delay_alu instid0(VALU_DEP_1)
	v_add_co_ci_u32_e64 v3, null, s0, 0, s6
	v_cndmask_b32_e64 v8, 0, 1, vcc_lo
	s_set_inst_prefetch_distance 0x1
	s_branch .LBB343_10
	.p2align	6
.LBB343_9:                              ;   in Loop: Header=BB343_10 Depth=1
	s_or_b32 exec_lo, exec_lo, s0
	s_add_i32 s9, s9, 1
	s_delay_alu instid0(SALU_CYCLE_1)
	s_cmp_lt_i32 s9, s1
	s_cbranch_scc0 .LBB343_12
.LBB343_10:                             ; =>This Inner Loop Header: Depth=1
	s_delay_alu instid0(VALU_DEP_1) | instskip(SKIP_1) | instid1(VALU_DEP_1)
	v_add_nc_u32_e32 v4, s9, v8
	s_mov_b32 s0, exec_lo
	v_cmpx_gt_i32_e64 s1, v4
	s_cbranch_execz .LBB343_9
; %bb.11:                               ;   in Loop: Header=BB343_10 Depth=1
	v_ashrrev_i32_e32 v5, 31, v4
	s_delay_alu instid0(VALU_DEP_1) | instskip(NEXT) | instid1(VALU_DEP_1)
	v_lshlrev_b64 v[4:5], 2, v[4:5]
	v_add_co_u32 v4, vcc_lo, s4, v4
	s_delay_alu instid0(VALU_DEP_2) | instskip(SKIP_3) | instid1(VALU_DEP_1)
	v_add_co_ci_u32_e32 v5, vcc_lo, s5, v5, vcc_lo
	global_load_b32 v4, v[4:5], off
	s_waitcnt vmcnt(0)
	v_subrev_nc_u32_e32 v9, s14, v4
	v_mad_u64_u32 v[4:5], null, v9, 24, v[1:2]
	s_delay_alu instid0(VALU_DEP_1) | instskip(NEXT) | instid1(VALU_DEP_1)
	v_ashrrev_i32_e32 v5, 31, v4
	v_lshlrev_b64 v[4:5], 1, v[4:5]
	s_delay_alu instid0(VALU_DEP_1) | instskip(NEXT) | instid1(VALU_DEP_2)
	v_add_co_u32 v4, vcc_lo, s16, v4
	v_add_co_ci_u32_e32 v5, vcc_lo, s17, v5, vcc_lo
	global_load_u16 v9, v[2:3], off
	global_load_u16 v4, v[4:5], off
	v_add_co_u32 v2, vcc_lo, 0x480, v2
	v_add_co_ci_u32_e32 v3, vcc_lo, 0, v3, vcc_lo
	s_waitcnt vmcnt(1)
	v_lshlrev_b32_e32 v5, 16, v9
	s_waitcnt vmcnt(0)
	v_lshlrev_b32_e32 v4, 16, v4
	s_delay_alu instid0(VALU_DEP_1)
	v_fmac_f32_e32 v6, v5, v4
	s_branch .LBB343_9
.LBB343_12:
	s_set_inst_prefetch_distance 0x2
	v_lshlrev_b32_e32 v1, 2, v0
	s_and_b32 vcc_lo, exec_lo, s3
	ds_store_b32 v1, v6
	s_waitcnt lgkmcnt(0)
	s_barrier
	buffer_gl0_inv
	s_cbranch_vccz .LBB343_24
; %bb.13:
	v_cmp_gt_u16_e32 vcc_lo, 8, v7
	s_and_saveexec_b32 s0, vcc_lo
	s_cbranch_execz .LBB343_15
; %bb.14:
	ds_load_2addr_b32 v[2:3], v1 offset1:16
	s_waitcnt lgkmcnt(0)
	v_add_f32_e32 v2, v3, v2
	ds_store_b32 v1, v2
.LBB343_15:
	s_or_b32 exec_lo, exec_lo, s0
	s_waitcnt lgkmcnt(0)
	s_barrier
	buffer_gl0_inv
	s_and_saveexec_b32 s0, vcc_lo
	s_cbranch_execz .LBB343_17
; %bb.16:
	ds_load_2addr_b32 v[2:3], v1 offset1:8
	s_waitcnt lgkmcnt(0)
	v_add_f32_e32 v2, v3, v2
	ds_store_b32 v1, v2
.LBB343_17:
	s_or_b32 exec_lo, exec_lo, s0
	s_delay_alu instid0(SALU_CYCLE_1)
	s_mov_b32 s0, exec_lo
	s_waitcnt lgkmcnt(0)
	s_barrier
	buffer_gl0_inv
	v_cmpx_gt_u16_e32 4, v7
	s_cbranch_execz .LBB343_19
; %bb.18:
	ds_load_2addr_b32 v[2:3], v1 offset1:4
	s_waitcnt lgkmcnt(0)
	v_add_f32_e32 v2, v3, v2
	ds_store_b32 v1, v2
.LBB343_19:
	s_or_b32 exec_lo, exec_lo, s0
	s_delay_alu instid0(SALU_CYCLE_1)
	s_mov_b32 s0, exec_lo
	s_waitcnt lgkmcnt(0)
	s_barrier
	buffer_gl0_inv
	v_cmpx_gt_u16_e32 2, v7
	s_cbranch_execz .LBB343_21
; %bb.20:
	ds_load_2addr_b32 v[2:3], v1 offset1:2
	s_waitcnt lgkmcnt(0)
	v_add_f32_e32 v2, v3, v2
	ds_store_b32 v1, v2
.LBB343_21:
	s_or_b32 exec_lo, exec_lo, s0
	s_mov_b32 s1, 0
	s_mov_b32 s0, 0
	s_mov_b32 s3, exec_lo
	s_waitcnt lgkmcnt(0)
	s_barrier
	buffer_gl0_inv
                                        ; implicit-def: $vgpr2
                                        ; implicit-def: $vgpr3
	v_cmpx_gt_u32_e32 24, v0
	s_xor_b32 s3, exec_lo, s3
; %bb.22:
	v_mul_u32_u24_e32 v2, 24, v0
	v_mad_u32_u24 v3, 0x5c, v0, v1
	s_mov_b32 s0, exec_lo
	s_delay_alu instid0(VALU_DEP_2)
	v_or_b32_e32 v2, 1, v2
; %bb.23:
	s_or_b32 exec_lo, exec_lo, s3
	s_delay_alu instid0(SALU_CYCLE_1)
	s_and_b32 vcc_lo, exec_lo, s1
	s_cbranch_vccnz .LBB343_25
	s_branch .LBB343_36
.LBB343_24:
	s_mov_b32 s0, 0
                                        ; implicit-def: $vgpr2
                                        ; implicit-def: $vgpr3
	s_cbranch_execz .LBB343_36
.LBB343_25:
	v_cmp_gt_u32_e32 vcc_lo, 0xc0, v0
	s_and_saveexec_b32 s1, vcc_lo
	s_cbranch_execz .LBB343_27
; %bb.26:
	ds_load_2addr_stride64_b32 v[2:3], v1 offset1:6
	s_waitcnt lgkmcnt(0)
	v_add_f32_e32 v2, v3, v2
	ds_store_b32 v1, v2
.LBB343_27:
	s_or_b32 exec_lo, exec_lo, s1
	s_waitcnt lgkmcnt(0)
	s_barrier
	buffer_gl0_inv
	s_and_saveexec_b32 s1, vcc_lo
	s_cbranch_execz .LBB343_29
; %bb.28:
	ds_load_2addr_stride64_b32 v[2:3], v1 offset1:3
	s_waitcnt lgkmcnt(0)
	v_add_f32_e32 v2, v3, v2
	ds_store_b32 v1, v2
.LBB343_29:
	s_or_b32 exec_lo, exec_lo, s1
	s_delay_alu instid0(SALU_CYCLE_1)
	s_mov_b32 s1, exec_lo
	s_waitcnt lgkmcnt(0)
	s_barrier
	buffer_gl0_inv
	v_cmpx_gt_u32_e32 0x60, v0
	s_cbranch_execz .LBB343_31
; %bb.30:
	ds_load_2addr_b32 v[2:3], v1 offset1:96
	s_waitcnt lgkmcnt(0)
	v_add_f32_e32 v2, v3, v2
	ds_store_b32 v1, v2
.LBB343_31:
	s_or_b32 exec_lo, exec_lo, s1
	s_delay_alu instid0(SALU_CYCLE_1)
	s_mov_b32 s1, exec_lo
	s_waitcnt lgkmcnt(0)
	s_barrier
	buffer_gl0_inv
	v_cmpx_gt_u32_e32 48, v0
	s_cbranch_execz .LBB343_33
; %bb.32:
	ds_load_2addr_b32 v[2:3], v1 offset1:48
	s_waitcnt lgkmcnt(0)
	v_add_f32_e32 v2, v3, v2
	ds_store_b32 v1, v2
.LBB343_33:
	s_or_b32 exec_lo, exec_lo, s1
	s_delay_alu instid0(SALU_CYCLE_1)
	s_mov_b32 s1, exec_lo
	s_waitcnt lgkmcnt(0)
	buffer_gl0_inv
                                        ; implicit-def: $vgpr2
	v_cmpx_gt_u32_e32 24, v0
; %bb.34:
	v_add_nc_u32_e32 v2, 24, v0
	s_or_b32 s0, s0, exec_lo
                                        ; implicit-def: $vgpr6
; %bb.35:
	s_or_b32 exec_lo, exec_lo, s1
	v_mov_b32_e32 v3, v1
.LBB343_36:
	s_and_saveexec_b32 s1, s0
	s_cbranch_execz .LBB343_38
; %bb.37:
	v_lshlrev_b32_e32 v1, 2, v2
	ds_load_b32 v2, v3
	ds_load_b32 v1, v1
	s_waitcnt lgkmcnt(0)
	v_add_f32_e32 v6, v2, v1
.LBB343_38:
	s_or_b32 exec_lo, exec_lo, s1
	s_delay_alu instid0(SALU_CYCLE_1)
	s_mov_b32 s0, exec_lo
	v_cmpx_gt_u32_e32 24, v0
	s_cbranch_execz .LBB343_42
; %bb.39:
	v_cmp_eq_f32_e64 s0, s2, 0
	v_mul_f32_e32 v1, s10, v6
	s_delay_alu instid0(VALU_DEP_2)
	s_and_b32 vcc_lo, exec_lo, s0
	s_mov_b32 s0, 0
	s_cbranch_vccz .LBB343_43
; %bb.40:
	s_delay_alu instid0(VALU_DEP_1) | instskip(SKIP_1) | instid1(VALU_DEP_1)
	v_mad_u64_u32 v[2:3], null, s8, 24, v[0:1]
	v_mov_b32_e32 v3, 0
	v_lshlrev_b64 v[2:3], 2, v[2:3]
	s_delay_alu instid0(VALU_DEP_1) | instskip(NEXT) | instid1(VALU_DEP_2)
	v_add_co_u32 v2, vcc_lo, s12, v2
	v_add_co_ci_u32_e32 v3, vcc_lo, s13, v3, vcc_lo
	global_store_b32 v[2:3], v1, off
	s_and_not1_b32 vcc_lo, exec_lo, s0
	s_cbranch_vccnz .LBB343_42
.LBB343_41:
	v_mad_u64_u32 v[2:3], null, s8, 24, v[0:1]
	v_mov_b32_e32 v3, 0
	s_delay_alu instid0(VALU_DEP_1) | instskip(NEXT) | instid1(VALU_DEP_1)
	v_lshlrev_b64 v[2:3], 2, v[2:3]
	v_add_co_u32 v2, vcc_lo, s12, v2
	s_delay_alu instid0(VALU_DEP_2)
	v_add_co_ci_u32_e32 v3, vcc_lo, s13, v3, vcc_lo
	global_load_b32 v0, v[2:3], off
	s_waitcnt vmcnt(0)
	v_fmac_f32_e32 v1, s2, v0
	global_store_b32 v[2:3], v1, off
.LBB343_42:
	s_nop 0
	s_sendmsg sendmsg(MSG_DEALLOC_VGPRS)
	s_endpgm
.LBB343_43:
	s_branch .LBB343_41
	.section	.rodata,"a",@progbits
	.p2align	6, 0x0
	.amdhsa_kernel _ZN9rocsparseL20bsrxmvn_17_32_kernelILj24Efii18rocsparse_bfloat16S1_fEEvT2_20rocsparse_direction_NS_24const_host_device_scalarIT0_EES2_PKS2_PKT1_SB_S8_PKT3_PKT4_S6_PT5_21rocsparse_index_base_b
		.amdhsa_group_segment_fixed_size 2304
		.amdhsa_private_segment_fixed_size 0
		.amdhsa_kernarg_size 96
		.amdhsa_user_sgpr_count 15
		.amdhsa_user_sgpr_dispatch_ptr 0
		.amdhsa_user_sgpr_queue_ptr 0
		.amdhsa_user_sgpr_kernarg_segment_ptr 1
		.amdhsa_user_sgpr_dispatch_id 0
		.amdhsa_user_sgpr_private_segment_size 0
		.amdhsa_wavefront_size32 1
		.amdhsa_uses_dynamic_stack 0
		.amdhsa_enable_private_segment 0
		.amdhsa_system_sgpr_workgroup_id_x 1
		.amdhsa_system_sgpr_workgroup_id_y 0
		.amdhsa_system_sgpr_workgroup_id_z 0
		.amdhsa_system_sgpr_workgroup_info 0
		.amdhsa_system_vgpr_workitem_id 0
		.amdhsa_next_free_vgpr 10
		.amdhsa_next_free_sgpr 18
		.amdhsa_reserve_vcc 1
		.amdhsa_float_round_mode_32 0
		.amdhsa_float_round_mode_16_64 0
		.amdhsa_float_denorm_mode_32 3
		.amdhsa_float_denorm_mode_16_64 3
		.amdhsa_dx10_clamp 1
		.amdhsa_ieee_mode 1
		.amdhsa_fp16_overflow 0
		.amdhsa_workgroup_processor_mode 1
		.amdhsa_memory_ordered 1
		.amdhsa_forward_progress 0
		.amdhsa_shared_vgpr_count 0
		.amdhsa_exception_fp_ieee_invalid_op 0
		.amdhsa_exception_fp_denorm_src 0
		.amdhsa_exception_fp_ieee_div_zero 0
		.amdhsa_exception_fp_ieee_overflow 0
		.amdhsa_exception_fp_ieee_underflow 0
		.amdhsa_exception_fp_ieee_inexact 0
		.amdhsa_exception_int_div_zero 0
	.end_amdhsa_kernel
	.section	.text._ZN9rocsparseL20bsrxmvn_17_32_kernelILj24Efii18rocsparse_bfloat16S1_fEEvT2_20rocsparse_direction_NS_24const_host_device_scalarIT0_EES2_PKS2_PKT1_SB_S8_PKT3_PKT4_S6_PT5_21rocsparse_index_base_b,"axG",@progbits,_ZN9rocsparseL20bsrxmvn_17_32_kernelILj24Efii18rocsparse_bfloat16S1_fEEvT2_20rocsparse_direction_NS_24const_host_device_scalarIT0_EES2_PKS2_PKT1_SB_S8_PKT3_PKT4_S6_PT5_21rocsparse_index_base_b,comdat
.Lfunc_end343:
	.size	_ZN9rocsparseL20bsrxmvn_17_32_kernelILj24Efii18rocsparse_bfloat16S1_fEEvT2_20rocsparse_direction_NS_24const_host_device_scalarIT0_EES2_PKS2_PKT1_SB_S8_PKT3_PKT4_S6_PT5_21rocsparse_index_base_b, .Lfunc_end343-_ZN9rocsparseL20bsrxmvn_17_32_kernelILj24Efii18rocsparse_bfloat16S1_fEEvT2_20rocsparse_direction_NS_24const_host_device_scalarIT0_EES2_PKS2_PKT1_SB_S8_PKT3_PKT4_S6_PT5_21rocsparse_index_base_b
                                        ; -- End function
	.section	.AMDGPU.csdata,"",@progbits
; Kernel info:
; codeLenInByte = 1516
; NumSgprs: 20
; NumVgprs: 10
; ScratchSize: 0
; MemoryBound: 0
; FloatMode: 240
; IeeeMode: 1
; LDSByteSize: 2304 bytes/workgroup (compile time only)
; SGPRBlocks: 2
; VGPRBlocks: 1
; NumSGPRsForWavesPerEU: 20
; NumVGPRsForWavesPerEU: 10
; Occupancy: 14
; WaveLimiterHint : 1
; COMPUTE_PGM_RSRC2:SCRATCH_EN: 0
; COMPUTE_PGM_RSRC2:USER_SGPR: 15
; COMPUTE_PGM_RSRC2:TRAP_HANDLER: 0
; COMPUTE_PGM_RSRC2:TGID_X_EN: 1
; COMPUTE_PGM_RSRC2:TGID_Y_EN: 0
; COMPUTE_PGM_RSRC2:TGID_Z_EN: 0
; COMPUTE_PGM_RSRC2:TIDIG_COMP_CNT: 0
	.section	.text._ZN9rocsparseL20bsrxmvn_17_32_kernelILj25Efii18rocsparse_bfloat16S1_fEEvT2_20rocsparse_direction_NS_24const_host_device_scalarIT0_EES2_PKS2_PKT1_SB_S8_PKT3_PKT4_S6_PT5_21rocsparse_index_base_b,"axG",@progbits,_ZN9rocsparseL20bsrxmvn_17_32_kernelILj25Efii18rocsparse_bfloat16S1_fEEvT2_20rocsparse_direction_NS_24const_host_device_scalarIT0_EES2_PKS2_PKT1_SB_S8_PKT3_PKT4_S6_PT5_21rocsparse_index_base_b,comdat
	.globl	_ZN9rocsparseL20bsrxmvn_17_32_kernelILj25Efii18rocsparse_bfloat16S1_fEEvT2_20rocsparse_direction_NS_24const_host_device_scalarIT0_EES2_PKS2_PKT1_SB_S8_PKT3_PKT4_S6_PT5_21rocsparse_index_base_b ; -- Begin function _ZN9rocsparseL20bsrxmvn_17_32_kernelILj25Efii18rocsparse_bfloat16S1_fEEvT2_20rocsparse_direction_NS_24const_host_device_scalarIT0_EES2_PKS2_PKT1_SB_S8_PKT3_PKT4_S6_PT5_21rocsparse_index_base_b
	.p2align	8
	.type	_ZN9rocsparseL20bsrxmvn_17_32_kernelILj25Efii18rocsparse_bfloat16S1_fEEvT2_20rocsparse_direction_NS_24const_host_device_scalarIT0_EES2_PKS2_PKT1_SB_S8_PKT3_PKT4_S6_PT5_21rocsparse_index_base_b,@function
_ZN9rocsparseL20bsrxmvn_17_32_kernelILj25Efii18rocsparse_bfloat16S1_fEEvT2_20rocsparse_direction_NS_24const_host_device_scalarIT0_EES2_PKS2_PKT1_SB_S8_PKT3_PKT4_S6_PT5_21rocsparse_index_base_b: ; @_ZN9rocsparseL20bsrxmvn_17_32_kernelILj25Efii18rocsparse_bfloat16S1_fEEvT2_20rocsparse_direction_NS_24const_host_device_scalarIT0_EES2_PKS2_PKT1_SB_S8_PKT3_PKT4_S6_PT5_21rocsparse_index_base_b
; %bb.0:
	s_mov_b32 s8, s15
	s_clause 0x2
	s_load_b64 s[14:15], s[0:1], 0x58
	s_load_b64 s[10:11], s[0:1], 0x8
	;; [unrolled: 1-line block ×3, first 2 shown]
	s_waitcnt lgkmcnt(0)
	s_bitcmp1_b32 s15, 0
	s_cselect_b32 s4, -1, 0
	s_delay_alu instid0(SALU_CYCLE_1)
	s_and_b32 vcc_lo, exec_lo, s4
	s_xor_b32 s4, s4, -1
	s_cbranch_vccnz .LBB344_2
; %bb.1:
	s_load_b32 s10, s[10:11], 0x0
.LBB344_2:
	s_and_not1_b32 vcc_lo, exec_lo, s4
	s_cbranch_vccnz .LBB344_4
; %bb.3:
	s_load_b32 s2, s[2:3], 0x0
.LBB344_4:
	s_waitcnt lgkmcnt(0)
	v_cmp_neq_f32_e64 s3, s10, 0
	v_cmp_neq_f32_e64 s4, s2, 1.0
	s_delay_alu instid0(VALU_DEP_1) | instskip(NEXT) | instid1(SALU_CYCLE_1)
	s_or_b32 s3, s3, s4
	s_and_not1_b32 vcc_lo, exec_lo, s3
	s_cbranch_vccnz .LBB344_42
; %bb.5:
	s_clause 0x1
	s_load_b128 s[4:7], s[0:1], 0x18
	s_load_b64 s[12:13], s[0:1], 0x28
	s_waitcnt lgkmcnt(0)
	s_cmp_eq_u64 s[4:5], 0
	s_cbranch_scc1 .LBB344_7
; %bb.6:
	s_ashr_i32 s9, s8, 31
	s_delay_alu instid0(SALU_CYCLE_1) | instskip(NEXT) | instid1(SALU_CYCLE_1)
	s_lshl_b64 s[8:9], s[8:9], 2
	s_add_u32 s4, s4, s8
	s_addc_u32 s5, s5, s9
	s_load_b32 s3, s[4:5], 0x0
	s_waitcnt lgkmcnt(0)
	s_sub_i32 s8, s3, s14
.LBB344_7:
	s_load_b32 s3, s[0:1], 0x4
	v_mul_u32_u24_e32 v1, 0xa3e, v0
	v_mov_b32_e32 v6, 0
	s_delay_alu instid0(VALU_DEP_2) | instskip(NEXT) | instid1(VALU_DEP_1)
	v_lshrrev_b32_e32 v1, 16, v1
	v_mul_lo_u16 v2, v1, 25
	s_delay_alu instid0(VALU_DEP_1)
	v_sub_nc_u16 v7, v0, v2
	s_waitcnt lgkmcnt(0)
	s_cmp_eq_u32 s3, 1
	s_cselect_b32 vcc_lo, -1, 0
	s_cmp_lg_u32 s3, 1
	s_cselect_b32 s3, -1, 0
	s_ashr_i32 s9, s8, 31
	s_delay_alu instid0(SALU_CYCLE_1) | instskip(NEXT) | instid1(SALU_CYCLE_1)
	s_lshl_b64 s[4:5], s[8:9], 2
	s_add_u32 s6, s6, s4
	s_addc_u32 s7, s7, s5
	s_add_u32 s9, s6, 4
	s_addc_u32 s11, s7, 0
	s_add_u32 s4, s12, s4
	s_addc_u32 s5, s13, s5
	s_cmp_eq_u64 s[12:13], 0
	s_load_b64 s[12:13], s[0:1], 0x50
	s_cselect_b32 s5, s11, s5
	s_cselect_b32 s4, s9, s4
	s_load_b32 s9, s[6:7], 0x0
	s_load_b32 s11, s[4:5], 0x0
	s_waitcnt lgkmcnt(0)
	s_cmp_ge_i32 s9, s11
	s_cbranch_scc1 .LBB344_12
; %bb.8:
	s_clause 0x1
	s_load_b128 s[4:7], s[0:1], 0x30
	s_load_b64 s[16:17], s[0:1], 0x40
	v_dual_mov_b32 v6, 0 :: v_dual_and_b32 v1, 0xffff, v1
	v_cmp_gt_u32_e64 s0, 0x271, v0
	v_and_b32_e32 v3, 0xffff, v7
	s_sub_i32 s9, s9, s14
	s_delay_alu instid0(VALU_DEP_3) | instskip(SKIP_2) | instid1(VALU_DEP_1)
	v_subrev_nc_u32_e32 v2, 25, v1
	s_sub_i32 s1, s11, s14
	s_mul_i32 s11, s9, 0x4e2
	v_cndmask_b32_e64 v1, v2, v1, s0
	v_lshlrev_b32_e32 v2, 1, v0
	s_mul_hi_i32 s0, s9, 0x4e2
	s_delay_alu instid0(VALU_DEP_2)
	v_cndmask_b32_e32 v1, v3, v1, vcc_lo
	v_cmp_lt_u32_e32 vcc_lo, 0x270, v0
	s_waitcnt lgkmcnt(0)
	s_add_u32 s6, s6, s11
	s_addc_u32 s0, s7, s0
	v_add_co_u32 v2, s6, s6, v2
	s_delay_alu instid0(VALU_DEP_1)
	v_add_co_ci_u32_e64 v3, null, s0, 0, s6
	v_cndmask_b32_e64 v8, 0, 1, vcc_lo
	s_set_inst_prefetch_distance 0x1
	s_branch .LBB344_10
	.p2align	6
.LBB344_9:                              ;   in Loop: Header=BB344_10 Depth=1
	s_or_b32 exec_lo, exec_lo, s0
	s_add_i32 s9, s9, 1
	s_delay_alu instid0(SALU_CYCLE_1)
	s_cmp_lt_i32 s9, s1
	s_cbranch_scc0 .LBB344_12
.LBB344_10:                             ; =>This Inner Loop Header: Depth=1
	s_delay_alu instid0(VALU_DEP_1) | instskip(SKIP_1) | instid1(VALU_DEP_1)
	v_add_nc_u32_e32 v4, s9, v8
	s_mov_b32 s0, exec_lo
	v_cmpx_gt_i32_e64 s1, v4
	s_cbranch_execz .LBB344_9
; %bb.11:                               ;   in Loop: Header=BB344_10 Depth=1
	v_ashrrev_i32_e32 v5, 31, v4
	s_delay_alu instid0(VALU_DEP_1) | instskip(NEXT) | instid1(VALU_DEP_1)
	v_lshlrev_b64 v[4:5], 2, v[4:5]
	v_add_co_u32 v4, vcc_lo, s4, v4
	s_delay_alu instid0(VALU_DEP_2) | instskip(SKIP_3) | instid1(VALU_DEP_1)
	v_add_co_ci_u32_e32 v5, vcc_lo, s5, v5, vcc_lo
	global_load_b32 v4, v[4:5], off
	s_waitcnt vmcnt(0)
	v_subrev_nc_u32_e32 v9, s14, v4
	v_mad_u64_u32 v[4:5], null, v9, 25, v[1:2]
	s_delay_alu instid0(VALU_DEP_1) | instskip(NEXT) | instid1(VALU_DEP_1)
	v_ashrrev_i32_e32 v5, 31, v4
	v_lshlrev_b64 v[4:5], 1, v[4:5]
	s_delay_alu instid0(VALU_DEP_1) | instskip(NEXT) | instid1(VALU_DEP_2)
	v_add_co_u32 v4, vcc_lo, s16, v4
	v_add_co_ci_u32_e32 v5, vcc_lo, s17, v5, vcc_lo
	global_load_u16 v9, v[2:3], off
	global_load_u16 v4, v[4:5], off
	v_add_co_u32 v2, vcc_lo, 0x4e2, v2
	v_add_co_ci_u32_e32 v3, vcc_lo, 0, v3, vcc_lo
	s_waitcnt vmcnt(1)
	v_lshlrev_b32_e32 v5, 16, v9
	s_waitcnt vmcnt(0)
	v_lshlrev_b32_e32 v4, 16, v4
	s_delay_alu instid0(VALU_DEP_1)
	v_fmac_f32_e32 v6, v5, v4
	s_branch .LBB344_9
.LBB344_12:
	s_set_inst_prefetch_distance 0x2
	v_lshlrev_b32_e32 v1, 2, v0
	s_and_b32 vcc_lo, exec_lo, s3
	ds_store_b32 v1, v6
	s_waitcnt lgkmcnt(0)
	s_barrier
	buffer_gl0_inv
	s_cbranch_vccz .LBB344_24
; %bb.13:
	s_mov_b32 s0, exec_lo
	v_cmpx_gt_u16_e32 9, v7
	s_cbranch_execz .LBB344_15
; %bb.14:
	ds_load_2addr_b32 v[2:3], v1 offset1:16
	s_waitcnt lgkmcnt(0)
	v_add_f32_e32 v2, v3, v2
	ds_store_b32 v1, v2
.LBB344_15:
	s_or_b32 exec_lo, exec_lo, s0
	s_delay_alu instid0(SALU_CYCLE_1)
	s_mov_b32 s0, exec_lo
	s_waitcnt lgkmcnt(0)
	s_barrier
	buffer_gl0_inv
	v_cmpx_gt_u16_e32 8, v7
	s_cbranch_execz .LBB344_17
; %bb.16:
	ds_load_2addr_b32 v[2:3], v1 offset1:8
	s_waitcnt lgkmcnt(0)
	v_add_f32_e32 v2, v3, v2
	ds_store_b32 v1, v2
.LBB344_17:
	s_or_b32 exec_lo, exec_lo, s0
	s_delay_alu instid0(SALU_CYCLE_1)
	s_mov_b32 s0, exec_lo
	s_waitcnt lgkmcnt(0)
	s_barrier
	buffer_gl0_inv
	;; [unrolled: 14-line block ×3, first 2 shown]
	v_cmpx_gt_u16_e32 2, v7
	s_cbranch_execz .LBB344_21
; %bb.20:
	ds_load_2addr_b32 v[2:3], v1 offset1:2
	s_waitcnt lgkmcnt(0)
	v_add_f32_e32 v2, v3, v2
	ds_store_b32 v1, v2
.LBB344_21:
	s_or_b32 exec_lo, exec_lo, s0
	s_mov_b32 s1, 0
	s_mov_b32 s0, 0
	s_mov_b32 s3, exec_lo
	s_waitcnt lgkmcnt(0)
	s_barrier
	buffer_gl0_inv
                                        ; implicit-def: $vgpr2
                                        ; implicit-def: $vgpr3
	v_cmpx_gt_u32_e32 25, v0
	s_xor_b32 s3, exec_lo, s3
; %bb.22:
	v_mad_u32_u24 v2, v0, 25, 1
	v_mad_u32_u24 v3, 0x60, v0, v1
	s_mov_b32 s0, exec_lo
; %bb.23:
	s_or_b32 exec_lo, exec_lo, s3
	s_delay_alu instid0(SALU_CYCLE_1)
	s_and_b32 vcc_lo, exec_lo, s1
	s_cbranch_vccnz .LBB344_25
	s_branch .LBB344_36
.LBB344_24:
	s_mov_b32 s0, 0
                                        ; implicit-def: $vgpr2
                                        ; implicit-def: $vgpr3
	s_cbranch_execz .LBB344_36
.LBB344_25:
	s_mov_b32 s1, exec_lo
	v_cmpx_gt_u32_e32 0xe1, v0
	s_cbranch_execz .LBB344_27
; %bb.26:
	ds_load_b32 v2, v1 offset:1600
	ds_load_b32 v3, v1
	s_waitcnt lgkmcnt(0)
	v_add_f32_e32 v2, v2, v3
	ds_store_b32 v1, v2
.LBB344_27:
	s_or_b32 exec_lo, exec_lo, s1
	s_delay_alu instid0(SALU_CYCLE_1)
	s_mov_b32 s1, exec_lo
	s_waitcnt lgkmcnt(0)
	s_barrier
	buffer_gl0_inv
	v_cmpx_gt_u32_e32 0xc8, v0
	s_cbranch_execz .LBB344_29
; %bb.28:
	ds_load_2addr_b32 v[2:3], v1 offset1:200
	s_waitcnt lgkmcnt(0)
	v_add_f32_e32 v2, v3, v2
	ds_store_b32 v1, v2
.LBB344_29:
	s_or_b32 exec_lo, exec_lo, s1
	s_delay_alu instid0(SALU_CYCLE_1)
	s_mov_b32 s1, exec_lo
	s_waitcnt lgkmcnt(0)
	s_barrier
	buffer_gl0_inv
	v_cmpx_gt_u32_e32 0x64, v0
	s_cbranch_execz .LBB344_31
; %bb.30:
	ds_load_2addr_b32 v[2:3], v1 offset1:100
	s_waitcnt lgkmcnt(0)
	v_add_f32_e32 v2, v3, v2
	ds_store_b32 v1, v2
.LBB344_31:
	;; [unrolled: 14-line block ×3, first 2 shown]
	s_or_b32 exec_lo, exec_lo, s1
	s_delay_alu instid0(SALU_CYCLE_1)
	s_mov_b32 s1, exec_lo
	s_waitcnt lgkmcnt(0)
	buffer_gl0_inv
                                        ; implicit-def: $vgpr2
	v_cmpx_gt_u32_e32 25, v0
; %bb.34:
	v_add_nc_u32_e32 v2, 25, v0
	s_or_b32 s0, s0, exec_lo
                                        ; implicit-def: $vgpr6
; %bb.35:
	s_or_b32 exec_lo, exec_lo, s1
	v_mov_b32_e32 v3, v1
.LBB344_36:
	s_and_saveexec_b32 s1, s0
	s_cbranch_execz .LBB344_38
; %bb.37:
	v_lshlrev_b32_e32 v1, 2, v2
	ds_load_b32 v2, v3
	ds_load_b32 v1, v1
	s_waitcnt lgkmcnt(0)
	v_add_f32_e32 v6, v2, v1
.LBB344_38:
	s_or_b32 exec_lo, exec_lo, s1
	s_delay_alu instid0(SALU_CYCLE_1)
	s_mov_b32 s0, exec_lo
	v_cmpx_gt_u32_e32 25, v0
	s_cbranch_execz .LBB344_42
; %bb.39:
	v_cmp_eq_f32_e64 s0, s2, 0
	v_mul_f32_e32 v1, s10, v6
	s_delay_alu instid0(VALU_DEP_2)
	s_and_b32 vcc_lo, exec_lo, s0
	s_mov_b32 s0, 0
	s_cbranch_vccz .LBB344_43
; %bb.40:
	s_delay_alu instid0(VALU_DEP_1) | instskip(SKIP_1) | instid1(VALU_DEP_1)
	v_mad_u64_u32 v[2:3], null, s8, 25, v[0:1]
	v_mov_b32_e32 v3, 0
	v_lshlrev_b64 v[2:3], 2, v[2:3]
	s_delay_alu instid0(VALU_DEP_1) | instskip(NEXT) | instid1(VALU_DEP_2)
	v_add_co_u32 v2, vcc_lo, s12, v2
	v_add_co_ci_u32_e32 v3, vcc_lo, s13, v3, vcc_lo
	global_store_b32 v[2:3], v1, off
	s_and_not1_b32 vcc_lo, exec_lo, s0
	s_cbranch_vccnz .LBB344_42
.LBB344_41:
	v_mad_u64_u32 v[2:3], null, s8, 25, v[0:1]
	v_mov_b32_e32 v3, 0
	s_delay_alu instid0(VALU_DEP_1) | instskip(NEXT) | instid1(VALU_DEP_1)
	v_lshlrev_b64 v[2:3], 2, v[2:3]
	v_add_co_u32 v2, vcc_lo, s12, v2
	s_delay_alu instid0(VALU_DEP_2)
	v_add_co_ci_u32_e32 v3, vcc_lo, s13, v3, vcc_lo
	global_load_b32 v0, v[2:3], off
	s_waitcnt vmcnt(0)
	v_fmac_f32_e32 v1, s2, v0
	global_store_b32 v[2:3], v1, off
.LBB344_42:
	s_nop 0
	s_sendmsg sendmsg(MSG_DEALLOC_VGPRS)
	s_endpgm
.LBB344_43:
	s_branch .LBB344_41
	.section	.rodata,"a",@progbits
	.p2align	6, 0x0
	.amdhsa_kernel _ZN9rocsparseL20bsrxmvn_17_32_kernelILj25Efii18rocsparse_bfloat16S1_fEEvT2_20rocsparse_direction_NS_24const_host_device_scalarIT0_EES2_PKS2_PKT1_SB_S8_PKT3_PKT4_S6_PT5_21rocsparse_index_base_b
		.amdhsa_group_segment_fixed_size 2500
		.amdhsa_private_segment_fixed_size 0
		.amdhsa_kernarg_size 96
		.amdhsa_user_sgpr_count 15
		.amdhsa_user_sgpr_dispatch_ptr 0
		.amdhsa_user_sgpr_queue_ptr 0
		.amdhsa_user_sgpr_kernarg_segment_ptr 1
		.amdhsa_user_sgpr_dispatch_id 0
		.amdhsa_user_sgpr_private_segment_size 0
		.amdhsa_wavefront_size32 1
		.amdhsa_uses_dynamic_stack 0
		.amdhsa_enable_private_segment 0
		.amdhsa_system_sgpr_workgroup_id_x 1
		.amdhsa_system_sgpr_workgroup_id_y 0
		.amdhsa_system_sgpr_workgroup_id_z 0
		.amdhsa_system_sgpr_workgroup_info 0
		.amdhsa_system_vgpr_workitem_id 0
		.amdhsa_next_free_vgpr 10
		.amdhsa_next_free_sgpr 18
		.amdhsa_reserve_vcc 1
		.amdhsa_float_round_mode_32 0
		.amdhsa_float_round_mode_16_64 0
		.amdhsa_float_denorm_mode_32 3
		.amdhsa_float_denorm_mode_16_64 3
		.amdhsa_dx10_clamp 1
		.amdhsa_ieee_mode 1
		.amdhsa_fp16_overflow 0
		.amdhsa_workgroup_processor_mode 1
		.amdhsa_memory_ordered 1
		.amdhsa_forward_progress 0
		.amdhsa_shared_vgpr_count 0
		.amdhsa_exception_fp_ieee_invalid_op 0
		.amdhsa_exception_fp_denorm_src 0
		.amdhsa_exception_fp_ieee_div_zero 0
		.amdhsa_exception_fp_ieee_overflow 0
		.amdhsa_exception_fp_ieee_underflow 0
		.amdhsa_exception_fp_ieee_inexact 0
		.amdhsa_exception_int_div_zero 0
	.end_amdhsa_kernel
	.section	.text._ZN9rocsparseL20bsrxmvn_17_32_kernelILj25Efii18rocsparse_bfloat16S1_fEEvT2_20rocsparse_direction_NS_24const_host_device_scalarIT0_EES2_PKS2_PKT1_SB_S8_PKT3_PKT4_S6_PT5_21rocsparse_index_base_b,"axG",@progbits,_ZN9rocsparseL20bsrxmvn_17_32_kernelILj25Efii18rocsparse_bfloat16S1_fEEvT2_20rocsparse_direction_NS_24const_host_device_scalarIT0_EES2_PKS2_PKT1_SB_S8_PKT3_PKT4_S6_PT5_21rocsparse_index_base_b,comdat
.Lfunc_end344:
	.size	_ZN9rocsparseL20bsrxmvn_17_32_kernelILj25Efii18rocsparse_bfloat16S1_fEEvT2_20rocsparse_direction_NS_24const_host_device_scalarIT0_EES2_PKS2_PKT1_SB_S8_PKT3_PKT4_S6_PT5_21rocsparse_index_base_b, .Lfunc_end344-_ZN9rocsparseL20bsrxmvn_17_32_kernelILj25Efii18rocsparse_bfloat16S1_fEEvT2_20rocsparse_direction_NS_24const_host_device_scalarIT0_EES2_PKS2_PKT1_SB_S8_PKT3_PKT4_S6_PT5_21rocsparse_index_base_b
                                        ; -- End function
	.section	.AMDGPU.csdata,"",@progbits
; Kernel info:
; codeLenInByte = 1540
; NumSgprs: 20
; NumVgprs: 10
; ScratchSize: 0
; MemoryBound: 0
; FloatMode: 240
; IeeeMode: 1
; LDSByteSize: 2500 bytes/workgroup (compile time only)
; SGPRBlocks: 2
; VGPRBlocks: 1
; NumSGPRsForWavesPerEU: 20
; NumVGPRsForWavesPerEU: 10
; Occupancy: 15
; WaveLimiterHint : 1
; COMPUTE_PGM_RSRC2:SCRATCH_EN: 0
; COMPUTE_PGM_RSRC2:USER_SGPR: 15
; COMPUTE_PGM_RSRC2:TRAP_HANDLER: 0
; COMPUTE_PGM_RSRC2:TGID_X_EN: 1
; COMPUTE_PGM_RSRC2:TGID_Y_EN: 0
; COMPUTE_PGM_RSRC2:TGID_Z_EN: 0
; COMPUTE_PGM_RSRC2:TIDIG_COMP_CNT: 0
	.section	.text._ZN9rocsparseL20bsrxmvn_17_32_kernelILj26Efii18rocsparse_bfloat16S1_fEEvT2_20rocsparse_direction_NS_24const_host_device_scalarIT0_EES2_PKS2_PKT1_SB_S8_PKT3_PKT4_S6_PT5_21rocsparse_index_base_b,"axG",@progbits,_ZN9rocsparseL20bsrxmvn_17_32_kernelILj26Efii18rocsparse_bfloat16S1_fEEvT2_20rocsparse_direction_NS_24const_host_device_scalarIT0_EES2_PKS2_PKT1_SB_S8_PKT3_PKT4_S6_PT5_21rocsparse_index_base_b,comdat
	.globl	_ZN9rocsparseL20bsrxmvn_17_32_kernelILj26Efii18rocsparse_bfloat16S1_fEEvT2_20rocsparse_direction_NS_24const_host_device_scalarIT0_EES2_PKS2_PKT1_SB_S8_PKT3_PKT4_S6_PT5_21rocsparse_index_base_b ; -- Begin function _ZN9rocsparseL20bsrxmvn_17_32_kernelILj26Efii18rocsparse_bfloat16S1_fEEvT2_20rocsparse_direction_NS_24const_host_device_scalarIT0_EES2_PKS2_PKT1_SB_S8_PKT3_PKT4_S6_PT5_21rocsparse_index_base_b
	.p2align	8
	.type	_ZN9rocsparseL20bsrxmvn_17_32_kernelILj26Efii18rocsparse_bfloat16S1_fEEvT2_20rocsparse_direction_NS_24const_host_device_scalarIT0_EES2_PKS2_PKT1_SB_S8_PKT3_PKT4_S6_PT5_21rocsparse_index_base_b,@function
_ZN9rocsparseL20bsrxmvn_17_32_kernelILj26Efii18rocsparse_bfloat16S1_fEEvT2_20rocsparse_direction_NS_24const_host_device_scalarIT0_EES2_PKS2_PKT1_SB_S8_PKT3_PKT4_S6_PT5_21rocsparse_index_base_b: ; @_ZN9rocsparseL20bsrxmvn_17_32_kernelILj26Efii18rocsparse_bfloat16S1_fEEvT2_20rocsparse_direction_NS_24const_host_device_scalarIT0_EES2_PKS2_PKT1_SB_S8_PKT3_PKT4_S6_PT5_21rocsparse_index_base_b
; %bb.0:
	s_mov_b32 s8, s15
	s_clause 0x2
	s_load_b64 s[14:15], s[0:1], 0x58
	s_load_b64 s[10:11], s[0:1], 0x8
	;; [unrolled: 1-line block ×3, first 2 shown]
	s_waitcnt lgkmcnt(0)
	s_bitcmp1_b32 s15, 0
	s_cselect_b32 s4, -1, 0
	s_delay_alu instid0(SALU_CYCLE_1)
	s_and_b32 vcc_lo, exec_lo, s4
	s_xor_b32 s4, s4, -1
	s_cbranch_vccnz .LBB345_2
; %bb.1:
	s_load_b32 s10, s[10:11], 0x0
.LBB345_2:
	s_and_not1_b32 vcc_lo, exec_lo, s4
	s_cbranch_vccnz .LBB345_4
; %bb.3:
	s_load_b32 s2, s[2:3], 0x0
.LBB345_4:
	s_waitcnt lgkmcnt(0)
	v_cmp_neq_f32_e64 s3, s10, 0
	v_cmp_neq_f32_e64 s4, s2, 1.0
	s_delay_alu instid0(VALU_DEP_1) | instskip(NEXT) | instid1(SALU_CYCLE_1)
	s_or_b32 s3, s3, s4
	s_and_not1_b32 vcc_lo, exec_lo, s3
	s_cbranch_vccnz .LBB345_42
; %bb.5:
	s_clause 0x1
	s_load_b128 s[4:7], s[0:1], 0x18
	s_load_b64 s[12:13], s[0:1], 0x28
	s_waitcnt lgkmcnt(0)
	s_cmp_eq_u64 s[4:5], 0
	s_cbranch_scc1 .LBB345_7
; %bb.6:
	s_ashr_i32 s9, s8, 31
	s_delay_alu instid0(SALU_CYCLE_1) | instskip(NEXT) | instid1(SALU_CYCLE_1)
	s_lshl_b64 s[8:9], s[8:9], 2
	s_add_u32 s4, s4, s8
	s_addc_u32 s5, s5, s9
	s_load_b32 s3, s[4:5], 0x0
	s_waitcnt lgkmcnt(0)
	s_sub_i32 s8, s3, s14
.LBB345_7:
	s_load_b32 s3, s[0:1], 0x4
	v_mul_u32_u24_e32 v1, 0x9d9, v0
	v_mov_b32_e32 v6, 0
	s_delay_alu instid0(VALU_DEP_2) | instskip(NEXT) | instid1(VALU_DEP_1)
	v_lshrrev_b32_e32 v1, 16, v1
	v_mul_lo_u16 v2, v1, 26
	s_delay_alu instid0(VALU_DEP_1)
	v_sub_nc_u16 v7, v0, v2
	s_waitcnt lgkmcnt(0)
	s_cmp_eq_u32 s3, 1
	s_cselect_b32 vcc_lo, -1, 0
	s_cmp_lg_u32 s3, 1
	s_cselect_b32 s3, -1, 0
	s_ashr_i32 s9, s8, 31
	s_delay_alu instid0(SALU_CYCLE_1) | instskip(NEXT) | instid1(SALU_CYCLE_1)
	s_lshl_b64 s[4:5], s[8:9], 2
	s_add_u32 s6, s6, s4
	s_addc_u32 s7, s7, s5
	s_add_u32 s9, s6, 4
	s_addc_u32 s11, s7, 0
	;; [unrolled: 2-line block ×3, first 2 shown]
	s_cmp_eq_u64 s[12:13], 0
	s_load_b64 s[12:13], s[0:1], 0x50
	s_cselect_b32 s5, s11, s5
	s_cselect_b32 s4, s9, s4
	s_load_b32 s9, s[6:7], 0x0
	s_load_b32 s11, s[4:5], 0x0
	s_waitcnt lgkmcnt(0)
	s_cmp_ge_i32 s9, s11
	s_cbranch_scc1 .LBB345_12
; %bb.8:
	s_clause 0x1
	s_load_b128 s[4:7], s[0:1], 0x30
	s_load_b64 s[16:17], s[0:1], 0x40
	v_dual_mov_b32 v6, 0 :: v_dual_and_b32 v1, 0xffff, v1
	v_cmp_gt_u32_e64 s0, 0x2a4, v0
	v_and_b32_e32 v3, 0xffff, v7
	s_sub_i32 s9, s9, s14
	s_delay_alu instid0(VALU_DEP_3) | instskip(SKIP_2) | instid1(VALU_DEP_1)
	v_subrev_nc_u32_e32 v2, 26, v1
	s_sub_i32 s1, s11, s14
	s_mul_i32 s11, s9, 0x548
	v_cndmask_b32_e64 v1, v2, v1, s0
	v_lshlrev_b32_e32 v2, 1, v0
	s_mul_hi_i32 s0, s9, 0x548
	s_delay_alu instid0(VALU_DEP_2)
	v_cndmask_b32_e32 v1, v3, v1, vcc_lo
	v_cmp_lt_u32_e32 vcc_lo, 0x2a3, v0
	s_waitcnt lgkmcnt(0)
	s_add_u32 s6, s6, s11
	s_addc_u32 s0, s7, s0
	v_add_co_u32 v2, s6, s6, v2
	s_delay_alu instid0(VALU_DEP_1)
	v_add_co_ci_u32_e64 v3, null, s0, 0, s6
	v_cndmask_b32_e64 v8, 0, 1, vcc_lo
	s_set_inst_prefetch_distance 0x1
	s_branch .LBB345_10
	.p2align	6
.LBB345_9:                              ;   in Loop: Header=BB345_10 Depth=1
	s_or_b32 exec_lo, exec_lo, s0
	s_add_i32 s9, s9, 1
	s_delay_alu instid0(SALU_CYCLE_1)
	s_cmp_lt_i32 s9, s1
	s_cbranch_scc0 .LBB345_12
.LBB345_10:                             ; =>This Inner Loop Header: Depth=1
	s_delay_alu instid0(VALU_DEP_1) | instskip(SKIP_1) | instid1(VALU_DEP_1)
	v_add_nc_u32_e32 v4, s9, v8
	s_mov_b32 s0, exec_lo
	v_cmpx_gt_i32_e64 s1, v4
	s_cbranch_execz .LBB345_9
; %bb.11:                               ;   in Loop: Header=BB345_10 Depth=1
	v_ashrrev_i32_e32 v5, 31, v4
	s_delay_alu instid0(VALU_DEP_1) | instskip(NEXT) | instid1(VALU_DEP_1)
	v_lshlrev_b64 v[4:5], 2, v[4:5]
	v_add_co_u32 v4, vcc_lo, s4, v4
	s_delay_alu instid0(VALU_DEP_2) | instskip(SKIP_3) | instid1(VALU_DEP_1)
	v_add_co_ci_u32_e32 v5, vcc_lo, s5, v5, vcc_lo
	global_load_b32 v4, v[4:5], off
	s_waitcnt vmcnt(0)
	v_subrev_nc_u32_e32 v9, s14, v4
	v_mad_u64_u32 v[4:5], null, v9, 26, v[1:2]
	s_delay_alu instid0(VALU_DEP_1) | instskip(NEXT) | instid1(VALU_DEP_1)
	v_ashrrev_i32_e32 v5, 31, v4
	v_lshlrev_b64 v[4:5], 1, v[4:5]
	s_delay_alu instid0(VALU_DEP_1) | instskip(NEXT) | instid1(VALU_DEP_2)
	v_add_co_u32 v4, vcc_lo, s16, v4
	v_add_co_ci_u32_e32 v5, vcc_lo, s17, v5, vcc_lo
	global_load_u16 v9, v[2:3], off
	global_load_u16 v4, v[4:5], off
	v_add_co_u32 v2, vcc_lo, 0x548, v2
	v_add_co_ci_u32_e32 v3, vcc_lo, 0, v3, vcc_lo
	s_waitcnt vmcnt(1)
	v_lshlrev_b32_e32 v5, 16, v9
	s_waitcnt vmcnt(0)
	v_lshlrev_b32_e32 v4, 16, v4
	s_delay_alu instid0(VALU_DEP_1)
	v_fmac_f32_e32 v6, v5, v4
	s_branch .LBB345_9
.LBB345_12:
	s_set_inst_prefetch_distance 0x2
	v_lshlrev_b32_e32 v1, 2, v0
	s_and_b32 vcc_lo, exec_lo, s3
	ds_store_b32 v1, v6
	s_waitcnt lgkmcnt(0)
	s_barrier
	buffer_gl0_inv
	s_cbranch_vccz .LBB345_24
; %bb.13:
	s_mov_b32 s0, exec_lo
	v_cmpx_gt_u16_e32 10, v7
	s_cbranch_execz .LBB345_15
; %bb.14:
	ds_load_2addr_b32 v[2:3], v1 offset1:16
	s_waitcnt lgkmcnt(0)
	v_add_f32_e32 v2, v3, v2
	ds_store_b32 v1, v2
.LBB345_15:
	s_or_b32 exec_lo, exec_lo, s0
	s_delay_alu instid0(SALU_CYCLE_1)
	s_mov_b32 s0, exec_lo
	s_waitcnt lgkmcnt(0)
	s_barrier
	buffer_gl0_inv
	v_cmpx_gt_u16_e32 8, v7
	s_cbranch_execz .LBB345_17
; %bb.16:
	ds_load_2addr_b32 v[2:3], v1 offset1:8
	s_waitcnt lgkmcnt(0)
	v_add_f32_e32 v2, v3, v2
	ds_store_b32 v1, v2
.LBB345_17:
	s_or_b32 exec_lo, exec_lo, s0
	s_delay_alu instid0(SALU_CYCLE_1)
	s_mov_b32 s0, exec_lo
	s_waitcnt lgkmcnt(0)
	s_barrier
	buffer_gl0_inv
	;; [unrolled: 14-line block ×3, first 2 shown]
	v_cmpx_gt_u16_e32 2, v7
	s_cbranch_execz .LBB345_21
; %bb.20:
	ds_load_2addr_b32 v[2:3], v1 offset1:2
	s_waitcnt lgkmcnt(0)
	v_add_f32_e32 v2, v3, v2
	ds_store_b32 v1, v2
.LBB345_21:
	s_or_b32 exec_lo, exec_lo, s0
	s_mov_b32 s1, 0
	s_mov_b32 s0, 0
	s_mov_b32 s3, exec_lo
	s_waitcnt lgkmcnt(0)
	s_barrier
	buffer_gl0_inv
                                        ; implicit-def: $vgpr2
                                        ; implicit-def: $vgpr3
	v_cmpx_gt_u32_e32 26, v0
	s_xor_b32 s3, exec_lo, s3
; %bb.22:
	v_mul_u32_u24_e32 v2, 26, v0
	v_mad_u32_u24 v3, 0x64, v0, v1
	s_mov_b32 s0, exec_lo
	s_delay_alu instid0(VALU_DEP_2)
	v_or_b32_e32 v2, 1, v2
; %bb.23:
	s_or_b32 exec_lo, exec_lo, s3
	s_delay_alu instid0(SALU_CYCLE_1)
	s_and_b32 vcc_lo, exec_lo, s1
	s_cbranch_vccnz .LBB345_25
	s_branch .LBB345_36
.LBB345_24:
	s_mov_b32 s0, 0
                                        ; implicit-def: $vgpr2
                                        ; implicit-def: $vgpr3
	s_cbranch_execz .LBB345_36
.LBB345_25:
	s_mov_b32 s1, exec_lo
	v_cmpx_gt_u32_e32 0x104, v0
	s_cbranch_execz .LBB345_27
; %bb.26:
	ds_load_b32 v2, v1 offset:1664
	ds_load_b32 v3, v1
	s_waitcnt lgkmcnt(0)
	v_add_f32_e32 v2, v2, v3
	ds_store_b32 v1, v2
.LBB345_27:
	s_or_b32 exec_lo, exec_lo, s1
	s_delay_alu instid0(SALU_CYCLE_1)
	s_mov_b32 s1, exec_lo
	s_waitcnt lgkmcnt(0)
	s_barrier
	buffer_gl0_inv
	v_cmpx_gt_u32_e32 0xd0, v0
	s_cbranch_execz .LBB345_29
; %bb.28:
	ds_load_2addr_b32 v[2:3], v1 offset1:208
	s_waitcnt lgkmcnt(0)
	v_add_f32_e32 v2, v3, v2
	ds_store_b32 v1, v2
.LBB345_29:
	s_or_b32 exec_lo, exec_lo, s1
	s_delay_alu instid0(SALU_CYCLE_1)
	s_mov_b32 s1, exec_lo
	s_waitcnt lgkmcnt(0)
	s_barrier
	buffer_gl0_inv
	v_cmpx_gt_u32_e32 0x68, v0
	s_cbranch_execz .LBB345_31
; %bb.30:
	ds_load_2addr_b32 v[2:3], v1 offset1:104
	s_waitcnt lgkmcnt(0)
	v_add_f32_e32 v2, v3, v2
	ds_store_b32 v1, v2
.LBB345_31:
	;; [unrolled: 14-line block ×3, first 2 shown]
	s_or_b32 exec_lo, exec_lo, s1
	s_delay_alu instid0(SALU_CYCLE_1)
	s_mov_b32 s1, exec_lo
	s_waitcnt lgkmcnt(0)
	buffer_gl0_inv
                                        ; implicit-def: $vgpr2
	v_cmpx_gt_u32_e32 26, v0
; %bb.34:
	v_add_nc_u32_e32 v2, 26, v0
	s_or_b32 s0, s0, exec_lo
                                        ; implicit-def: $vgpr6
; %bb.35:
	s_or_b32 exec_lo, exec_lo, s1
	v_mov_b32_e32 v3, v1
.LBB345_36:
	s_and_saveexec_b32 s1, s0
	s_cbranch_execz .LBB345_38
; %bb.37:
	v_lshlrev_b32_e32 v1, 2, v2
	ds_load_b32 v2, v3
	ds_load_b32 v1, v1
	s_waitcnt lgkmcnt(0)
	v_add_f32_e32 v6, v2, v1
.LBB345_38:
	s_or_b32 exec_lo, exec_lo, s1
	s_delay_alu instid0(SALU_CYCLE_1)
	s_mov_b32 s0, exec_lo
	v_cmpx_gt_u32_e32 26, v0
	s_cbranch_execz .LBB345_42
; %bb.39:
	v_cmp_eq_f32_e64 s0, s2, 0
	v_mul_f32_e32 v1, s10, v6
	s_delay_alu instid0(VALU_DEP_2)
	s_and_b32 vcc_lo, exec_lo, s0
	s_mov_b32 s0, 0
	s_cbranch_vccz .LBB345_43
; %bb.40:
	s_delay_alu instid0(VALU_DEP_1) | instskip(SKIP_1) | instid1(VALU_DEP_1)
	v_mad_u64_u32 v[2:3], null, s8, 26, v[0:1]
	v_mov_b32_e32 v3, 0
	v_lshlrev_b64 v[2:3], 2, v[2:3]
	s_delay_alu instid0(VALU_DEP_1) | instskip(NEXT) | instid1(VALU_DEP_2)
	v_add_co_u32 v2, vcc_lo, s12, v2
	v_add_co_ci_u32_e32 v3, vcc_lo, s13, v3, vcc_lo
	global_store_b32 v[2:3], v1, off
	s_and_not1_b32 vcc_lo, exec_lo, s0
	s_cbranch_vccnz .LBB345_42
.LBB345_41:
	v_mad_u64_u32 v[2:3], null, s8, 26, v[0:1]
	v_mov_b32_e32 v3, 0
	s_delay_alu instid0(VALU_DEP_1) | instskip(NEXT) | instid1(VALU_DEP_1)
	v_lshlrev_b64 v[2:3], 2, v[2:3]
	v_add_co_u32 v2, vcc_lo, s12, v2
	s_delay_alu instid0(VALU_DEP_2)
	v_add_co_ci_u32_e32 v3, vcc_lo, s13, v3, vcc_lo
	global_load_b32 v0, v[2:3], off
	s_waitcnt vmcnt(0)
	v_fmac_f32_e32 v1, s2, v0
	global_store_b32 v[2:3], v1, off
.LBB345_42:
	s_nop 0
	s_sendmsg sendmsg(MSG_DEALLOC_VGPRS)
	s_endpgm
.LBB345_43:
	s_branch .LBB345_41
	.section	.rodata,"a",@progbits
	.p2align	6, 0x0
	.amdhsa_kernel _ZN9rocsparseL20bsrxmvn_17_32_kernelILj26Efii18rocsparse_bfloat16S1_fEEvT2_20rocsparse_direction_NS_24const_host_device_scalarIT0_EES2_PKS2_PKT1_SB_S8_PKT3_PKT4_S6_PT5_21rocsparse_index_base_b
		.amdhsa_group_segment_fixed_size 2704
		.amdhsa_private_segment_fixed_size 0
		.amdhsa_kernarg_size 96
		.amdhsa_user_sgpr_count 15
		.amdhsa_user_sgpr_dispatch_ptr 0
		.amdhsa_user_sgpr_queue_ptr 0
		.amdhsa_user_sgpr_kernarg_segment_ptr 1
		.amdhsa_user_sgpr_dispatch_id 0
		.amdhsa_user_sgpr_private_segment_size 0
		.amdhsa_wavefront_size32 1
		.amdhsa_uses_dynamic_stack 0
		.amdhsa_enable_private_segment 0
		.amdhsa_system_sgpr_workgroup_id_x 1
		.amdhsa_system_sgpr_workgroup_id_y 0
		.amdhsa_system_sgpr_workgroup_id_z 0
		.amdhsa_system_sgpr_workgroup_info 0
		.amdhsa_system_vgpr_workitem_id 0
		.amdhsa_next_free_vgpr 10
		.amdhsa_next_free_sgpr 18
		.amdhsa_reserve_vcc 1
		.amdhsa_float_round_mode_32 0
		.amdhsa_float_round_mode_16_64 0
		.amdhsa_float_denorm_mode_32 3
		.amdhsa_float_denorm_mode_16_64 3
		.amdhsa_dx10_clamp 1
		.amdhsa_ieee_mode 1
		.amdhsa_fp16_overflow 0
		.amdhsa_workgroup_processor_mode 1
		.amdhsa_memory_ordered 1
		.amdhsa_forward_progress 0
		.amdhsa_shared_vgpr_count 0
		.amdhsa_exception_fp_ieee_invalid_op 0
		.amdhsa_exception_fp_denorm_src 0
		.amdhsa_exception_fp_ieee_div_zero 0
		.amdhsa_exception_fp_ieee_overflow 0
		.amdhsa_exception_fp_ieee_underflow 0
		.amdhsa_exception_fp_ieee_inexact 0
		.amdhsa_exception_int_div_zero 0
	.end_amdhsa_kernel
	.section	.text._ZN9rocsparseL20bsrxmvn_17_32_kernelILj26Efii18rocsparse_bfloat16S1_fEEvT2_20rocsparse_direction_NS_24const_host_device_scalarIT0_EES2_PKS2_PKT1_SB_S8_PKT3_PKT4_S6_PT5_21rocsparse_index_base_b,"axG",@progbits,_ZN9rocsparseL20bsrxmvn_17_32_kernelILj26Efii18rocsparse_bfloat16S1_fEEvT2_20rocsparse_direction_NS_24const_host_device_scalarIT0_EES2_PKS2_PKT1_SB_S8_PKT3_PKT4_S6_PT5_21rocsparse_index_base_b,comdat
.Lfunc_end345:
	.size	_ZN9rocsparseL20bsrxmvn_17_32_kernelILj26Efii18rocsparse_bfloat16S1_fEEvT2_20rocsparse_direction_NS_24const_host_device_scalarIT0_EES2_PKS2_PKT1_SB_S8_PKT3_PKT4_S6_PT5_21rocsparse_index_base_b, .Lfunc_end345-_ZN9rocsparseL20bsrxmvn_17_32_kernelILj26Efii18rocsparse_bfloat16S1_fEEvT2_20rocsparse_direction_NS_24const_host_device_scalarIT0_EES2_PKS2_PKT1_SB_S8_PKT3_PKT4_S6_PT5_21rocsparse_index_base_b
                                        ; -- End function
	.section	.AMDGPU.csdata,"",@progbits
; Kernel info:
; codeLenInByte = 1544
; NumSgprs: 20
; NumVgprs: 10
; ScratchSize: 0
; MemoryBound: 0
; FloatMode: 240
; IeeeMode: 1
; LDSByteSize: 2704 bytes/workgroup (compile time only)
; SGPRBlocks: 2
; VGPRBlocks: 1
; NumSGPRsForWavesPerEU: 20
; NumVGPRsForWavesPerEU: 10
; Occupancy: 11
; WaveLimiterHint : 1
; COMPUTE_PGM_RSRC2:SCRATCH_EN: 0
; COMPUTE_PGM_RSRC2:USER_SGPR: 15
; COMPUTE_PGM_RSRC2:TRAP_HANDLER: 0
; COMPUTE_PGM_RSRC2:TGID_X_EN: 1
; COMPUTE_PGM_RSRC2:TGID_Y_EN: 0
; COMPUTE_PGM_RSRC2:TGID_Z_EN: 0
; COMPUTE_PGM_RSRC2:TIDIG_COMP_CNT: 0
	.section	.text._ZN9rocsparseL20bsrxmvn_17_32_kernelILj27Efii18rocsparse_bfloat16S1_fEEvT2_20rocsparse_direction_NS_24const_host_device_scalarIT0_EES2_PKS2_PKT1_SB_S8_PKT3_PKT4_S6_PT5_21rocsparse_index_base_b,"axG",@progbits,_ZN9rocsparseL20bsrxmvn_17_32_kernelILj27Efii18rocsparse_bfloat16S1_fEEvT2_20rocsparse_direction_NS_24const_host_device_scalarIT0_EES2_PKS2_PKT1_SB_S8_PKT3_PKT4_S6_PT5_21rocsparse_index_base_b,comdat
	.globl	_ZN9rocsparseL20bsrxmvn_17_32_kernelILj27Efii18rocsparse_bfloat16S1_fEEvT2_20rocsparse_direction_NS_24const_host_device_scalarIT0_EES2_PKS2_PKT1_SB_S8_PKT3_PKT4_S6_PT5_21rocsparse_index_base_b ; -- Begin function _ZN9rocsparseL20bsrxmvn_17_32_kernelILj27Efii18rocsparse_bfloat16S1_fEEvT2_20rocsparse_direction_NS_24const_host_device_scalarIT0_EES2_PKS2_PKT1_SB_S8_PKT3_PKT4_S6_PT5_21rocsparse_index_base_b
	.p2align	8
	.type	_ZN9rocsparseL20bsrxmvn_17_32_kernelILj27Efii18rocsparse_bfloat16S1_fEEvT2_20rocsparse_direction_NS_24const_host_device_scalarIT0_EES2_PKS2_PKT1_SB_S8_PKT3_PKT4_S6_PT5_21rocsparse_index_base_b,@function
_ZN9rocsparseL20bsrxmvn_17_32_kernelILj27Efii18rocsparse_bfloat16S1_fEEvT2_20rocsparse_direction_NS_24const_host_device_scalarIT0_EES2_PKS2_PKT1_SB_S8_PKT3_PKT4_S6_PT5_21rocsparse_index_base_b: ; @_ZN9rocsparseL20bsrxmvn_17_32_kernelILj27Efii18rocsparse_bfloat16S1_fEEvT2_20rocsparse_direction_NS_24const_host_device_scalarIT0_EES2_PKS2_PKT1_SB_S8_PKT3_PKT4_S6_PT5_21rocsparse_index_base_b
; %bb.0:
	s_mov_b32 s8, s15
	s_clause 0x2
	s_load_b64 s[14:15], s[0:1], 0x58
	s_load_b64 s[10:11], s[0:1], 0x8
	;; [unrolled: 1-line block ×3, first 2 shown]
	s_waitcnt lgkmcnt(0)
	s_bitcmp1_b32 s15, 0
	s_cselect_b32 s4, -1, 0
	s_delay_alu instid0(SALU_CYCLE_1)
	s_and_b32 vcc_lo, exec_lo, s4
	s_xor_b32 s4, s4, -1
	s_cbranch_vccnz .LBB346_2
; %bb.1:
	s_load_b32 s10, s[10:11], 0x0
.LBB346_2:
	s_and_not1_b32 vcc_lo, exec_lo, s4
	s_cbranch_vccnz .LBB346_4
; %bb.3:
	s_load_b32 s2, s[2:3], 0x0
.LBB346_4:
	s_waitcnt lgkmcnt(0)
	v_cmp_neq_f32_e64 s3, s10, 0
	v_cmp_neq_f32_e64 s4, s2, 1.0
	s_delay_alu instid0(VALU_DEP_1) | instskip(NEXT) | instid1(SALU_CYCLE_1)
	s_or_b32 s3, s3, s4
	s_and_not1_b32 vcc_lo, exec_lo, s3
	s_cbranch_vccnz .LBB346_42
; %bb.5:
	s_clause 0x1
	s_load_b128 s[4:7], s[0:1], 0x18
	s_load_b64 s[12:13], s[0:1], 0x28
	s_waitcnt lgkmcnt(0)
	s_cmp_eq_u64 s[4:5], 0
	s_cbranch_scc1 .LBB346_7
; %bb.6:
	s_ashr_i32 s9, s8, 31
	s_delay_alu instid0(SALU_CYCLE_1) | instskip(NEXT) | instid1(SALU_CYCLE_1)
	s_lshl_b64 s[8:9], s[8:9], 2
	s_add_u32 s4, s4, s8
	s_addc_u32 s5, s5, s9
	s_load_b32 s3, s[4:5], 0x0
	s_waitcnt lgkmcnt(0)
	s_sub_i32 s8, s3, s14
.LBB346_7:
	s_load_b32 s3, s[0:1], 0x4
	v_mul_u32_u24_e32 v1, 0x97c, v0
	v_mov_b32_e32 v6, 0
	s_delay_alu instid0(VALU_DEP_2) | instskip(NEXT) | instid1(VALU_DEP_1)
	v_lshrrev_b32_e32 v1, 16, v1
	v_mul_lo_u16 v2, v1, 27
	s_delay_alu instid0(VALU_DEP_1)
	v_sub_nc_u16 v7, v0, v2
	s_waitcnt lgkmcnt(0)
	s_cmp_eq_u32 s3, 1
	s_cselect_b32 vcc_lo, -1, 0
	s_cmp_lg_u32 s3, 1
	s_cselect_b32 s3, -1, 0
	s_ashr_i32 s9, s8, 31
	s_delay_alu instid0(SALU_CYCLE_1) | instskip(NEXT) | instid1(SALU_CYCLE_1)
	s_lshl_b64 s[4:5], s[8:9], 2
	s_add_u32 s6, s6, s4
	s_addc_u32 s7, s7, s5
	s_add_u32 s9, s6, 4
	s_addc_u32 s11, s7, 0
	;; [unrolled: 2-line block ×3, first 2 shown]
	s_cmp_eq_u64 s[12:13], 0
	s_load_b64 s[12:13], s[0:1], 0x50
	s_cselect_b32 s5, s11, s5
	s_cselect_b32 s4, s9, s4
	s_load_b32 s9, s[6:7], 0x0
	s_load_b32 s11, s[4:5], 0x0
	s_waitcnt lgkmcnt(0)
	s_cmp_ge_i32 s9, s11
	s_cbranch_scc1 .LBB346_12
; %bb.8:
	s_clause 0x1
	s_load_b128 s[4:7], s[0:1], 0x30
	s_load_b64 s[16:17], s[0:1], 0x40
	v_dual_mov_b32 v6, 0 :: v_dual_and_b32 v1, 0xffff, v1
	v_cmp_gt_u32_e64 s0, 0x2d9, v0
	v_and_b32_e32 v3, 0xffff, v7
	s_sub_i32 s9, s9, s14
	s_delay_alu instid0(VALU_DEP_3) | instskip(SKIP_2) | instid1(VALU_DEP_1)
	v_subrev_nc_u32_e32 v2, 27, v1
	s_sub_i32 s1, s11, s14
	s_mul_i32 s11, s9, 0x5b2
	v_cndmask_b32_e64 v1, v2, v1, s0
	v_lshlrev_b32_e32 v2, 1, v0
	s_mul_hi_i32 s0, s9, 0x5b2
	s_delay_alu instid0(VALU_DEP_2)
	v_cndmask_b32_e32 v1, v3, v1, vcc_lo
	v_cmp_lt_u32_e32 vcc_lo, 0x2d8, v0
	s_waitcnt lgkmcnt(0)
	s_add_u32 s6, s6, s11
	s_addc_u32 s0, s7, s0
	v_add_co_u32 v2, s6, s6, v2
	s_delay_alu instid0(VALU_DEP_1)
	v_add_co_ci_u32_e64 v3, null, s0, 0, s6
	v_cndmask_b32_e64 v8, 0, 1, vcc_lo
	s_set_inst_prefetch_distance 0x1
	s_branch .LBB346_10
	.p2align	6
.LBB346_9:                              ;   in Loop: Header=BB346_10 Depth=1
	s_or_b32 exec_lo, exec_lo, s0
	s_add_i32 s9, s9, 1
	s_delay_alu instid0(SALU_CYCLE_1)
	s_cmp_lt_i32 s9, s1
	s_cbranch_scc0 .LBB346_12
.LBB346_10:                             ; =>This Inner Loop Header: Depth=1
	s_delay_alu instid0(VALU_DEP_1) | instskip(SKIP_1) | instid1(VALU_DEP_1)
	v_add_nc_u32_e32 v4, s9, v8
	s_mov_b32 s0, exec_lo
	v_cmpx_gt_i32_e64 s1, v4
	s_cbranch_execz .LBB346_9
; %bb.11:                               ;   in Loop: Header=BB346_10 Depth=1
	v_ashrrev_i32_e32 v5, 31, v4
	s_delay_alu instid0(VALU_DEP_1) | instskip(NEXT) | instid1(VALU_DEP_1)
	v_lshlrev_b64 v[4:5], 2, v[4:5]
	v_add_co_u32 v4, vcc_lo, s4, v4
	s_delay_alu instid0(VALU_DEP_2) | instskip(SKIP_3) | instid1(VALU_DEP_1)
	v_add_co_ci_u32_e32 v5, vcc_lo, s5, v5, vcc_lo
	global_load_b32 v4, v[4:5], off
	s_waitcnt vmcnt(0)
	v_subrev_nc_u32_e32 v9, s14, v4
	v_mad_u64_u32 v[4:5], null, v9, 27, v[1:2]
	s_delay_alu instid0(VALU_DEP_1) | instskip(NEXT) | instid1(VALU_DEP_1)
	v_ashrrev_i32_e32 v5, 31, v4
	v_lshlrev_b64 v[4:5], 1, v[4:5]
	s_delay_alu instid0(VALU_DEP_1) | instskip(NEXT) | instid1(VALU_DEP_2)
	v_add_co_u32 v4, vcc_lo, s16, v4
	v_add_co_ci_u32_e32 v5, vcc_lo, s17, v5, vcc_lo
	global_load_u16 v9, v[2:3], off
	global_load_u16 v4, v[4:5], off
	v_add_co_u32 v2, vcc_lo, 0x5b2, v2
	v_add_co_ci_u32_e32 v3, vcc_lo, 0, v3, vcc_lo
	s_waitcnt vmcnt(1)
	v_lshlrev_b32_e32 v5, 16, v9
	s_waitcnt vmcnt(0)
	v_lshlrev_b32_e32 v4, 16, v4
	s_delay_alu instid0(VALU_DEP_1)
	v_fmac_f32_e32 v6, v5, v4
	s_branch .LBB346_9
.LBB346_12:
	s_set_inst_prefetch_distance 0x2
	v_lshlrev_b32_e32 v1, 2, v0
	s_and_b32 vcc_lo, exec_lo, s3
	ds_store_b32 v1, v6
	s_waitcnt lgkmcnt(0)
	s_barrier
	buffer_gl0_inv
	s_cbranch_vccz .LBB346_24
; %bb.13:
	s_mov_b32 s0, exec_lo
	v_cmpx_gt_u16_e32 11, v7
	s_cbranch_execz .LBB346_15
; %bb.14:
	ds_load_2addr_b32 v[2:3], v1 offset1:16
	s_waitcnt lgkmcnt(0)
	v_add_f32_e32 v2, v3, v2
	ds_store_b32 v1, v2
.LBB346_15:
	s_or_b32 exec_lo, exec_lo, s0
	s_delay_alu instid0(SALU_CYCLE_1)
	s_mov_b32 s0, exec_lo
	s_waitcnt lgkmcnt(0)
	s_barrier
	buffer_gl0_inv
	v_cmpx_gt_u16_e32 8, v7
	s_cbranch_execz .LBB346_17
; %bb.16:
	ds_load_2addr_b32 v[2:3], v1 offset1:8
	s_waitcnt lgkmcnt(0)
	v_add_f32_e32 v2, v3, v2
	ds_store_b32 v1, v2
.LBB346_17:
	s_or_b32 exec_lo, exec_lo, s0
	s_delay_alu instid0(SALU_CYCLE_1)
	s_mov_b32 s0, exec_lo
	s_waitcnt lgkmcnt(0)
	s_barrier
	buffer_gl0_inv
	;; [unrolled: 14-line block ×3, first 2 shown]
	v_cmpx_gt_u16_e32 2, v7
	s_cbranch_execz .LBB346_21
; %bb.20:
	ds_load_2addr_b32 v[2:3], v1 offset1:2
	s_waitcnt lgkmcnt(0)
	v_add_f32_e32 v2, v3, v2
	ds_store_b32 v1, v2
.LBB346_21:
	s_or_b32 exec_lo, exec_lo, s0
	s_mov_b32 s1, 0
	s_mov_b32 s0, 0
	s_mov_b32 s3, exec_lo
	s_waitcnt lgkmcnt(0)
	s_barrier
	buffer_gl0_inv
                                        ; implicit-def: $vgpr2
                                        ; implicit-def: $vgpr3
	v_cmpx_gt_u32_e32 27, v0
	s_xor_b32 s3, exec_lo, s3
; %bb.22:
	v_mad_u32_u24 v2, v0, 27, 1
	v_mad_u32_u24 v3, 0x68, v0, v1
	s_mov_b32 s0, exec_lo
; %bb.23:
	s_or_b32 exec_lo, exec_lo, s3
	s_delay_alu instid0(SALU_CYCLE_1)
	s_and_b32 vcc_lo, exec_lo, s1
	s_cbranch_vccnz .LBB346_25
	s_branch .LBB346_36
.LBB346_24:
	s_mov_b32 s0, 0
                                        ; implicit-def: $vgpr2
                                        ; implicit-def: $vgpr3
	s_cbranch_execz .LBB346_36
.LBB346_25:
	s_mov_b32 s1, exec_lo
	v_cmpx_gt_u32_e32 0x129, v0
	s_cbranch_execz .LBB346_27
; %bb.26:
	ds_load_b32 v2, v1 offset:1728
	ds_load_b32 v3, v1
	s_waitcnt lgkmcnt(0)
	v_add_f32_e32 v2, v2, v3
	ds_store_b32 v1, v2
.LBB346_27:
	s_or_b32 exec_lo, exec_lo, s1
	s_delay_alu instid0(SALU_CYCLE_1)
	s_mov_b32 s1, exec_lo
	s_waitcnt lgkmcnt(0)
	s_barrier
	buffer_gl0_inv
	v_cmpx_gt_u32_e32 0xd8, v0
	s_cbranch_execz .LBB346_29
; %bb.28:
	ds_load_2addr_b32 v[2:3], v1 offset1:216
	s_waitcnt lgkmcnt(0)
	v_add_f32_e32 v2, v3, v2
	ds_store_b32 v1, v2
.LBB346_29:
	s_or_b32 exec_lo, exec_lo, s1
	s_delay_alu instid0(SALU_CYCLE_1)
	s_mov_b32 s1, exec_lo
	s_waitcnt lgkmcnt(0)
	s_barrier
	buffer_gl0_inv
	v_cmpx_gt_u32_e32 0x6c, v0
	s_cbranch_execz .LBB346_31
; %bb.30:
	ds_load_2addr_b32 v[2:3], v1 offset1:108
	s_waitcnt lgkmcnt(0)
	v_add_f32_e32 v2, v3, v2
	ds_store_b32 v1, v2
.LBB346_31:
	;; [unrolled: 14-line block ×3, first 2 shown]
	s_or_b32 exec_lo, exec_lo, s1
	s_delay_alu instid0(SALU_CYCLE_1)
	s_mov_b32 s1, exec_lo
	s_waitcnt lgkmcnt(0)
	buffer_gl0_inv
                                        ; implicit-def: $vgpr2
	v_cmpx_gt_u32_e32 27, v0
; %bb.34:
	v_add_nc_u32_e32 v2, 27, v0
	s_or_b32 s0, s0, exec_lo
                                        ; implicit-def: $vgpr6
; %bb.35:
	s_or_b32 exec_lo, exec_lo, s1
	v_mov_b32_e32 v3, v1
.LBB346_36:
	s_and_saveexec_b32 s1, s0
	s_cbranch_execz .LBB346_38
; %bb.37:
	v_lshlrev_b32_e32 v1, 2, v2
	ds_load_b32 v2, v3
	ds_load_b32 v1, v1
	s_waitcnt lgkmcnt(0)
	v_add_f32_e32 v6, v2, v1
.LBB346_38:
	s_or_b32 exec_lo, exec_lo, s1
	s_delay_alu instid0(SALU_CYCLE_1)
	s_mov_b32 s0, exec_lo
	v_cmpx_gt_u32_e32 27, v0
	s_cbranch_execz .LBB346_42
; %bb.39:
	v_cmp_eq_f32_e64 s0, s2, 0
	v_mul_f32_e32 v1, s10, v6
	s_delay_alu instid0(VALU_DEP_2)
	s_and_b32 vcc_lo, exec_lo, s0
	s_mov_b32 s0, 0
	s_cbranch_vccz .LBB346_43
; %bb.40:
	s_delay_alu instid0(VALU_DEP_1) | instskip(SKIP_1) | instid1(VALU_DEP_1)
	v_mad_u64_u32 v[2:3], null, s8, 27, v[0:1]
	v_mov_b32_e32 v3, 0
	v_lshlrev_b64 v[2:3], 2, v[2:3]
	s_delay_alu instid0(VALU_DEP_1) | instskip(NEXT) | instid1(VALU_DEP_2)
	v_add_co_u32 v2, vcc_lo, s12, v2
	v_add_co_ci_u32_e32 v3, vcc_lo, s13, v3, vcc_lo
	global_store_b32 v[2:3], v1, off
	s_and_not1_b32 vcc_lo, exec_lo, s0
	s_cbranch_vccnz .LBB346_42
.LBB346_41:
	v_mad_u64_u32 v[2:3], null, s8, 27, v[0:1]
	v_mov_b32_e32 v3, 0
	s_delay_alu instid0(VALU_DEP_1) | instskip(NEXT) | instid1(VALU_DEP_1)
	v_lshlrev_b64 v[2:3], 2, v[2:3]
	v_add_co_u32 v2, vcc_lo, s12, v2
	s_delay_alu instid0(VALU_DEP_2)
	v_add_co_ci_u32_e32 v3, vcc_lo, s13, v3, vcc_lo
	global_load_b32 v0, v[2:3], off
	s_waitcnt vmcnt(0)
	v_fmac_f32_e32 v1, s2, v0
	global_store_b32 v[2:3], v1, off
.LBB346_42:
	s_nop 0
	s_sendmsg sendmsg(MSG_DEALLOC_VGPRS)
	s_endpgm
.LBB346_43:
	s_branch .LBB346_41
	.section	.rodata,"a",@progbits
	.p2align	6, 0x0
	.amdhsa_kernel _ZN9rocsparseL20bsrxmvn_17_32_kernelILj27Efii18rocsparse_bfloat16S1_fEEvT2_20rocsparse_direction_NS_24const_host_device_scalarIT0_EES2_PKS2_PKT1_SB_S8_PKT3_PKT4_S6_PT5_21rocsparse_index_base_b
		.amdhsa_group_segment_fixed_size 2916
		.amdhsa_private_segment_fixed_size 0
		.amdhsa_kernarg_size 96
		.amdhsa_user_sgpr_count 15
		.amdhsa_user_sgpr_dispatch_ptr 0
		.amdhsa_user_sgpr_queue_ptr 0
		.amdhsa_user_sgpr_kernarg_segment_ptr 1
		.amdhsa_user_sgpr_dispatch_id 0
		.amdhsa_user_sgpr_private_segment_size 0
		.amdhsa_wavefront_size32 1
		.amdhsa_uses_dynamic_stack 0
		.amdhsa_enable_private_segment 0
		.amdhsa_system_sgpr_workgroup_id_x 1
		.amdhsa_system_sgpr_workgroup_id_y 0
		.amdhsa_system_sgpr_workgroup_id_z 0
		.amdhsa_system_sgpr_workgroup_info 0
		.amdhsa_system_vgpr_workitem_id 0
		.amdhsa_next_free_vgpr 10
		.amdhsa_next_free_sgpr 18
		.amdhsa_reserve_vcc 1
		.amdhsa_float_round_mode_32 0
		.amdhsa_float_round_mode_16_64 0
		.amdhsa_float_denorm_mode_32 3
		.amdhsa_float_denorm_mode_16_64 3
		.amdhsa_dx10_clamp 1
		.amdhsa_ieee_mode 1
		.amdhsa_fp16_overflow 0
		.amdhsa_workgroup_processor_mode 1
		.amdhsa_memory_ordered 1
		.amdhsa_forward_progress 0
		.amdhsa_shared_vgpr_count 0
		.amdhsa_exception_fp_ieee_invalid_op 0
		.amdhsa_exception_fp_denorm_src 0
		.amdhsa_exception_fp_ieee_div_zero 0
		.amdhsa_exception_fp_ieee_overflow 0
		.amdhsa_exception_fp_ieee_underflow 0
		.amdhsa_exception_fp_ieee_inexact 0
		.amdhsa_exception_int_div_zero 0
	.end_amdhsa_kernel
	.section	.text._ZN9rocsparseL20bsrxmvn_17_32_kernelILj27Efii18rocsparse_bfloat16S1_fEEvT2_20rocsparse_direction_NS_24const_host_device_scalarIT0_EES2_PKS2_PKT1_SB_S8_PKT3_PKT4_S6_PT5_21rocsparse_index_base_b,"axG",@progbits,_ZN9rocsparseL20bsrxmvn_17_32_kernelILj27Efii18rocsparse_bfloat16S1_fEEvT2_20rocsparse_direction_NS_24const_host_device_scalarIT0_EES2_PKS2_PKT1_SB_S8_PKT3_PKT4_S6_PT5_21rocsparse_index_base_b,comdat
.Lfunc_end346:
	.size	_ZN9rocsparseL20bsrxmvn_17_32_kernelILj27Efii18rocsparse_bfloat16S1_fEEvT2_20rocsparse_direction_NS_24const_host_device_scalarIT0_EES2_PKS2_PKT1_SB_S8_PKT3_PKT4_S6_PT5_21rocsparse_index_base_b, .Lfunc_end346-_ZN9rocsparseL20bsrxmvn_17_32_kernelILj27Efii18rocsparse_bfloat16S1_fEEvT2_20rocsparse_direction_NS_24const_host_device_scalarIT0_EES2_PKS2_PKT1_SB_S8_PKT3_PKT4_S6_PT5_21rocsparse_index_base_b
                                        ; -- End function
	.section	.AMDGPU.csdata,"",@progbits
; Kernel info:
; codeLenInByte = 1540
; NumSgprs: 20
; NumVgprs: 10
; ScratchSize: 0
; MemoryBound: 0
; FloatMode: 240
; IeeeMode: 1
; LDSByteSize: 2916 bytes/workgroup (compile time only)
; SGPRBlocks: 2
; VGPRBlocks: 1
; NumSGPRsForWavesPerEU: 20
; NumVGPRsForWavesPerEU: 10
; Occupancy: 12
; WaveLimiterHint : 1
; COMPUTE_PGM_RSRC2:SCRATCH_EN: 0
; COMPUTE_PGM_RSRC2:USER_SGPR: 15
; COMPUTE_PGM_RSRC2:TRAP_HANDLER: 0
; COMPUTE_PGM_RSRC2:TGID_X_EN: 1
; COMPUTE_PGM_RSRC2:TGID_Y_EN: 0
; COMPUTE_PGM_RSRC2:TGID_Z_EN: 0
; COMPUTE_PGM_RSRC2:TIDIG_COMP_CNT: 0
	.section	.text._ZN9rocsparseL20bsrxmvn_17_32_kernelILj28Efii18rocsparse_bfloat16S1_fEEvT2_20rocsparse_direction_NS_24const_host_device_scalarIT0_EES2_PKS2_PKT1_SB_S8_PKT3_PKT4_S6_PT5_21rocsparse_index_base_b,"axG",@progbits,_ZN9rocsparseL20bsrxmvn_17_32_kernelILj28Efii18rocsparse_bfloat16S1_fEEvT2_20rocsparse_direction_NS_24const_host_device_scalarIT0_EES2_PKS2_PKT1_SB_S8_PKT3_PKT4_S6_PT5_21rocsparse_index_base_b,comdat
	.globl	_ZN9rocsparseL20bsrxmvn_17_32_kernelILj28Efii18rocsparse_bfloat16S1_fEEvT2_20rocsparse_direction_NS_24const_host_device_scalarIT0_EES2_PKS2_PKT1_SB_S8_PKT3_PKT4_S6_PT5_21rocsparse_index_base_b ; -- Begin function _ZN9rocsparseL20bsrxmvn_17_32_kernelILj28Efii18rocsparse_bfloat16S1_fEEvT2_20rocsparse_direction_NS_24const_host_device_scalarIT0_EES2_PKS2_PKT1_SB_S8_PKT3_PKT4_S6_PT5_21rocsparse_index_base_b
	.p2align	8
	.type	_ZN9rocsparseL20bsrxmvn_17_32_kernelILj28Efii18rocsparse_bfloat16S1_fEEvT2_20rocsparse_direction_NS_24const_host_device_scalarIT0_EES2_PKS2_PKT1_SB_S8_PKT3_PKT4_S6_PT5_21rocsparse_index_base_b,@function
_ZN9rocsparseL20bsrxmvn_17_32_kernelILj28Efii18rocsparse_bfloat16S1_fEEvT2_20rocsparse_direction_NS_24const_host_device_scalarIT0_EES2_PKS2_PKT1_SB_S8_PKT3_PKT4_S6_PT5_21rocsparse_index_base_b: ; @_ZN9rocsparseL20bsrxmvn_17_32_kernelILj28Efii18rocsparse_bfloat16S1_fEEvT2_20rocsparse_direction_NS_24const_host_device_scalarIT0_EES2_PKS2_PKT1_SB_S8_PKT3_PKT4_S6_PT5_21rocsparse_index_base_b
; %bb.0:
	s_mov_b32 s8, s15
	s_clause 0x2
	s_load_b64 s[14:15], s[0:1], 0x58
	s_load_b64 s[10:11], s[0:1], 0x8
	;; [unrolled: 1-line block ×3, first 2 shown]
	s_waitcnt lgkmcnt(0)
	s_bitcmp1_b32 s15, 0
	s_cselect_b32 s4, -1, 0
	s_delay_alu instid0(SALU_CYCLE_1)
	s_and_b32 vcc_lo, exec_lo, s4
	s_xor_b32 s4, s4, -1
	s_cbranch_vccnz .LBB347_2
; %bb.1:
	s_load_b32 s10, s[10:11], 0x0
.LBB347_2:
	s_and_not1_b32 vcc_lo, exec_lo, s4
	s_cbranch_vccnz .LBB347_4
; %bb.3:
	s_load_b32 s2, s[2:3], 0x0
.LBB347_4:
	s_waitcnt lgkmcnt(0)
	v_cmp_neq_f32_e64 s3, s10, 0
	v_cmp_neq_f32_e64 s4, s2, 1.0
	s_delay_alu instid0(VALU_DEP_1) | instskip(NEXT) | instid1(SALU_CYCLE_1)
	s_or_b32 s3, s3, s4
	s_and_not1_b32 vcc_lo, exec_lo, s3
	s_cbranch_vccnz .LBB347_42
; %bb.5:
	s_clause 0x1
	s_load_b128 s[4:7], s[0:1], 0x18
	s_load_b64 s[12:13], s[0:1], 0x28
	s_waitcnt lgkmcnt(0)
	s_cmp_eq_u64 s[4:5], 0
	s_cbranch_scc1 .LBB347_7
; %bb.6:
	s_ashr_i32 s9, s8, 31
	s_delay_alu instid0(SALU_CYCLE_1) | instskip(NEXT) | instid1(SALU_CYCLE_1)
	s_lshl_b64 s[8:9], s[8:9], 2
	s_add_u32 s4, s4, s8
	s_addc_u32 s5, s5, s9
	s_load_b32 s3, s[4:5], 0x0
	s_waitcnt lgkmcnt(0)
	s_sub_i32 s8, s3, s14
.LBB347_7:
	s_load_b32 s3, s[0:1], 0x4
	v_mul_u32_u24_e32 v1, 0x925, v0
	v_mov_b32_e32 v6, 0
	s_delay_alu instid0(VALU_DEP_2) | instskip(NEXT) | instid1(VALU_DEP_1)
	v_lshrrev_b32_e32 v1, 16, v1
	v_mul_lo_u16 v2, v1, 28
	s_delay_alu instid0(VALU_DEP_1)
	v_sub_nc_u16 v7, v0, v2
	s_waitcnt lgkmcnt(0)
	s_cmp_eq_u32 s3, 1
	s_cselect_b32 vcc_lo, -1, 0
	s_cmp_lg_u32 s3, 1
	s_cselect_b32 s3, -1, 0
	s_ashr_i32 s9, s8, 31
	s_delay_alu instid0(SALU_CYCLE_1) | instskip(NEXT) | instid1(SALU_CYCLE_1)
	s_lshl_b64 s[4:5], s[8:9], 2
	s_add_u32 s6, s6, s4
	s_addc_u32 s7, s7, s5
	s_add_u32 s9, s6, 4
	s_addc_u32 s11, s7, 0
	;; [unrolled: 2-line block ×3, first 2 shown]
	s_cmp_eq_u64 s[12:13], 0
	s_load_b64 s[12:13], s[0:1], 0x50
	s_cselect_b32 s5, s11, s5
	s_cselect_b32 s4, s9, s4
	s_load_b32 s9, s[6:7], 0x0
	s_load_b32 s11, s[4:5], 0x0
	s_waitcnt lgkmcnt(0)
	s_cmp_ge_i32 s9, s11
	s_cbranch_scc1 .LBB347_12
; %bb.8:
	s_clause 0x1
	s_load_b128 s[4:7], s[0:1], 0x30
	s_load_b64 s[16:17], s[0:1], 0x40
	v_dual_mov_b32 v6, 0 :: v_dual_and_b32 v1, 0xffff, v1
	v_cmp_gt_u32_e64 s0, 0x310, v0
	v_and_b32_e32 v3, 0xffff, v7
	s_sub_i32 s9, s9, s14
	s_delay_alu instid0(VALU_DEP_3) | instskip(SKIP_2) | instid1(VALU_DEP_1)
	v_subrev_nc_u32_e32 v2, 28, v1
	s_sub_i32 s1, s11, s14
	s_mul_i32 s11, s9, 0x620
	v_cndmask_b32_e64 v1, v2, v1, s0
	v_lshlrev_b32_e32 v2, 1, v0
	s_mul_hi_i32 s0, s9, 0x620
	s_delay_alu instid0(VALU_DEP_2)
	v_cndmask_b32_e32 v1, v3, v1, vcc_lo
	v_cmp_lt_u32_e32 vcc_lo, 0x30f, v0
	s_waitcnt lgkmcnt(0)
	s_add_u32 s6, s6, s11
	s_addc_u32 s0, s7, s0
	v_add_co_u32 v2, s6, s6, v2
	s_delay_alu instid0(VALU_DEP_1)
	v_add_co_ci_u32_e64 v3, null, s0, 0, s6
	v_cndmask_b32_e64 v8, 0, 1, vcc_lo
	s_set_inst_prefetch_distance 0x1
	s_branch .LBB347_10
	.p2align	6
.LBB347_9:                              ;   in Loop: Header=BB347_10 Depth=1
	s_or_b32 exec_lo, exec_lo, s0
	s_add_i32 s9, s9, 1
	s_delay_alu instid0(SALU_CYCLE_1)
	s_cmp_lt_i32 s9, s1
	s_cbranch_scc0 .LBB347_12
.LBB347_10:                             ; =>This Inner Loop Header: Depth=1
	s_delay_alu instid0(VALU_DEP_1) | instskip(SKIP_1) | instid1(VALU_DEP_1)
	v_add_nc_u32_e32 v4, s9, v8
	s_mov_b32 s0, exec_lo
	v_cmpx_gt_i32_e64 s1, v4
	s_cbranch_execz .LBB347_9
; %bb.11:                               ;   in Loop: Header=BB347_10 Depth=1
	v_ashrrev_i32_e32 v5, 31, v4
	s_delay_alu instid0(VALU_DEP_1) | instskip(NEXT) | instid1(VALU_DEP_1)
	v_lshlrev_b64 v[4:5], 2, v[4:5]
	v_add_co_u32 v4, vcc_lo, s4, v4
	s_delay_alu instid0(VALU_DEP_2) | instskip(SKIP_3) | instid1(VALU_DEP_1)
	v_add_co_ci_u32_e32 v5, vcc_lo, s5, v5, vcc_lo
	global_load_b32 v4, v[4:5], off
	s_waitcnt vmcnt(0)
	v_subrev_nc_u32_e32 v9, s14, v4
	v_mad_u64_u32 v[4:5], null, v9, 28, v[1:2]
	s_delay_alu instid0(VALU_DEP_1) | instskip(NEXT) | instid1(VALU_DEP_1)
	v_ashrrev_i32_e32 v5, 31, v4
	v_lshlrev_b64 v[4:5], 1, v[4:5]
	s_delay_alu instid0(VALU_DEP_1) | instskip(NEXT) | instid1(VALU_DEP_2)
	v_add_co_u32 v4, vcc_lo, s16, v4
	v_add_co_ci_u32_e32 v5, vcc_lo, s17, v5, vcc_lo
	global_load_u16 v9, v[2:3], off
	global_load_u16 v4, v[4:5], off
	v_add_co_u32 v2, vcc_lo, 0x620, v2
	v_add_co_ci_u32_e32 v3, vcc_lo, 0, v3, vcc_lo
	s_waitcnt vmcnt(1)
	v_lshlrev_b32_e32 v5, 16, v9
	s_waitcnt vmcnt(0)
	v_lshlrev_b32_e32 v4, 16, v4
	s_delay_alu instid0(VALU_DEP_1)
	v_fmac_f32_e32 v6, v5, v4
	s_branch .LBB347_9
.LBB347_12:
	s_set_inst_prefetch_distance 0x2
	v_lshlrev_b32_e32 v1, 2, v0
	s_and_b32 vcc_lo, exec_lo, s3
	ds_store_b32 v1, v6
	s_waitcnt lgkmcnt(0)
	s_barrier
	buffer_gl0_inv
	s_cbranch_vccz .LBB347_24
; %bb.13:
	s_mov_b32 s0, exec_lo
	v_cmpx_gt_u16_e32 12, v7
	s_cbranch_execz .LBB347_15
; %bb.14:
	ds_load_2addr_b32 v[2:3], v1 offset1:16
	s_waitcnt lgkmcnt(0)
	v_add_f32_e32 v2, v3, v2
	ds_store_b32 v1, v2
.LBB347_15:
	s_or_b32 exec_lo, exec_lo, s0
	s_delay_alu instid0(SALU_CYCLE_1)
	s_mov_b32 s0, exec_lo
	s_waitcnt lgkmcnt(0)
	s_barrier
	buffer_gl0_inv
	v_cmpx_gt_u16_e32 8, v7
	s_cbranch_execz .LBB347_17
; %bb.16:
	ds_load_2addr_b32 v[2:3], v1 offset1:8
	s_waitcnt lgkmcnt(0)
	v_add_f32_e32 v2, v3, v2
	ds_store_b32 v1, v2
.LBB347_17:
	s_or_b32 exec_lo, exec_lo, s0
	s_delay_alu instid0(SALU_CYCLE_1)
	s_mov_b32 s0, exec_lo
	s_waitcnt lgkmcnt(0)
	s_barrier
	buffer_gl0_inv
	v_cmpx_gt_u16_e32 4, v7
	s_cbranch_execz .LBB347_19
; %bb.18:
	ds_load_2addr_b32 v[2:3], v1 offset1:4
	s_waitcnt lgkmcnt(0)
	v_add_f32_e32 v2, v3, v2
	ds_store_b32 v1, v2
.LBB347_19:
	s_or_b32 exec_lo, exec_lo, s0
	s_delay_alu instid0(SALU_CYCLE_1)
	s_mov_b32 s0, exec_lo
	s_waitcnt lgkmcnt(0)
	s_barrier
	buffer_gl0_inv
	v_cmpx_gt_u16_e32 2, v7
	s_cbranch_execz .LBB347_21
; %bb.20:
	ds_load_2addr_b32 v[2:3], v1 offset1:2
	s_waitcnt lgkmcnt(0)
	v_add_f32_e32 v2, v3, v2
	ds_store_b32 v1, v2
.LBB347_21:
	s_or_b32 exec_lo, exec_lo, s0
	s_mov_b32 s1, 0
	s_mov_b32 s0, 0
	s_mov_b32 s3, exec_lo
	s_waitcnt lgkmcnt(0)
	s_barrier
	buffer_gl0_inv
                                        ; implicit-def: $vgpr2
                                        ; implicit-def: $vgpr3
	v_cmpx_gt_u32_e32 28, v0
	s_xor_b32 s3, exec_lo, s3
; %bb.22:
	v_mul_u32_u24_e32 v2, 28, v0
	v_mad_u32_u24 v3, 0x6c, v0, v1
	s_mov_b32 s0, exec_lo
	s_delay_alu instid0(VALU_DEP_2)
	v_or_b32_e32 v2, 1, v2
; %bb.23:
	s_or_b32 exec_lo, exec_lo, s3
	s_delay_alu instid0(SALU_CYCLE_1)
	s_and_b32 vcc_lo, exec_lo, s1
	s_cbranch_vccnz .LBB347_25
	s_branch .LBB347_36
.LBB347_24:
	s_mov_b32 s0, 0
                                        ; implicit-def: $vgpr2
                                        ; implicit-def: $vgpr3
	s_cbranch_execz .LBB347_36
.LBB347_25:
	s_mov_b32 s1, exec_lo
	v_cmpx_gt_u32_e32 0x150, v0
	s_cbranch_execz .LBB347_27
; %bb.26:
	ds_load_2addr_stride64_b32 v[2:3], v1 offset1:7
	s_waitcnt lgkmcnt(0)
	v_add_f32_e32 v2, v3, v2
	ds_store_b32 v1, v2
.LBB347_27:
	s_or_b32 exec_lo, exec_lo, s1
	s_delay_alu instid0(SALU_CYCLE_1)
	s_mov_b32 s1, exec_lo
	s_waitcnt lgkmcnt(0)
	s_barrier
	buffer_gl0_inv
	v_cmpx_gt_u32_e32 0xe0, v0
	s_cbranch_execz .LBB347_29
; %bb.28:
	ds_load_2addr_b32 v[2:3], v1 offset1:224
	s_waitcnt lgkmcnt(0)
	v_add_f32_e32 v2, v3, v2
	ds_store_b32 v1, v2
.LBB347_29:
	s_or_b32 exec_lo, exec_lo, s1
	s_delay_alu instid0(SALU_CYCLE_1)
	s_mov_b32 s1, exec_lo
	s_waitcnt lgkmcnt(0)
	s_barrier
	buffer_gl0_inv
	v_cmpx_gt_u32_e32 0x70, v0
	s_cbranch_execz .LBB347_31
; %bb.30:
	ds_load_2addr_b32 v[2:3], v1 offset1:112
	s_waitcnt lgkmcnt(0)
	v_add_f32_e32 v2, v3, v2
	ds_store_b32 v1, v2
.LBB347_31:
	;; [unrolled: 14-line block ×3, first 2 shown]
	s_or_b32 exec_lo, exec_lo, s1
	s_delay_alu instid0(SALU_CYCLE_1)
	s_mov_b32 s1, exec_lo
	s_waitcnt lgkmcnt(0)
	buffer_gl0_inv
                                        ; implicit-def: $vgpr2
	v_cmpx_gt_u32_e32 28, v0
; %bb.34:
	v_add_nc_u32_e32 v2, 28, v0
	s_or_b32 s0, s0, exec_lo
                                        ; implicit-def: $vgpr6
; %bb.35:
	s_or_b32 exec_lo, exec_lo, s1
	v_mov_b32_e32 v3, v1
.LBB347_36:
	s_and_saveexec_b32 s1, s0
	s_cbranch_execz .LBB347_38
; %bb.37:
	v_lshlrev_b32_e32 v1, 2, v2
	ds_load_b32 v2, v3
	ds_load_b32 v1, v1
	s_waitcnt lgkmcnt(0)
	v_add_f32_e32 v6, v2, v1
.LBB347_38:
	s_or_b32 exec_lo, exec_lo, s1
	s_delay_alu instid0(SALU_CYCLE_1)
	s_mov_b32 s0, exec_lo
	v_cmpx_gt_u32_e32 28, v0
	s_cbranch_execz .LBB347_42
; %bb.39:
	v_cmp_eq_f32_e64 s0, s2, 0
	v_mul_f32_e32 v1, s10, v6
	s_delay_alu instid0(VALU_DEP_2)
	s_and_b32 vcc_lo, exec_lo, s0
	s_mov_b32 s0, 0
	s_cbranch_vccz .LBB347_43
; %bb.40:
	s_delay_alu instid0(VALU_DEP_1) | instskip(SKIP_1) | instid1(VALU_DEP_1)
	v_mad_u64_u32 v[2:3], null, s8, 28, v[0:1]
	v_mov_b32_e32 v3, 0
	v_lshlrev_b64 v[2:3], 2, v[2:3]
	s_delay_alu instid0(VALU_DEP_1) | instskip(NEXT) | instid1(VALU_DEP_2)
	v_add_co_u32 v2, vcc_lo, s12, v2
	v_add_co_ci_u32_e32 v3, vcc_lo, s13, v3, vcc_lo
	global_store_b32 v[2:3], v1, off
	s_and_not1_b32 vcc_lo, exec_lo, s0
	s_cbranch_vccnz .LBB347_42
.LBB347_41:
	v_mad_u64_u32 v[2:3], null, s8, 28, v[0:1]
	v_mov_b32_e32 v3, 0
	s_delay_alu instid0(VALU_DEP_1) | instskip(NEXT) | instid1(VALU_DEP_1)
	v_lshlrev_b64 v[2:3], 2, v[2:3]
	v_add_co_u32 v2, vcc_lo, s12, v2
	s_delay_alu instid0(VALU_DEP_2)
	v_add_co_ci_u32_e32 v3, vcc_lo, s13, v3, vcc_lo
	global_load_b32 v0, v[2:3], off
	s_waitcnt vmcnt(0)
	v_fmac_f32_e32 v1, s2, v0
	global_store_b32 v[2:3], v1, off
.LBB347_42:
	s_nop 0
	s_sendmsg sendmsg(MSG_DEALLOC_VGPRS)
	s_endpgm
.LBB347_43:
	s_branch .LBB347_41
	.section	.rodata,"a",@progbits
	.p2align	6, 0x0
	.amdhsa_kernel _ZN9rocsparseL20bsrxmvn_17_32_kernelILj28Efii18rocsparse_bfloat16S1_fEEvT2_20rocsparse_direction_NS_24const_host_device_scalarIT0_EES2_PKS2_PKT1_SB_S8_PKT3_PKT4_S6_PT5_21rocsparse_index_base_b
		.amdhsa_group_segment_fixed_size 3136
		.amdhsa_private_segment_fixed_size 0
		.amdhsa_kernarg_size 96
		.amdhsa_user_sgpr_count 15
		.amdhsa_user_sgpr_dispatch_ptr 0
		.amdhsa_user_sgpr_queue_ptr 0
		.amdhsa_user_sgpr_kernarg_segment_ptr 1
		.amdhsa_user_sgpr_dispatch_id 0
		.amdhsa_user_sgpr_private_segment_size 0
		.amdhsa_wavefront_size32 1
		.amdhsa_uses_dynamic_stack 0
		.amdhsa_enable_private_segment 0
		.amdhsa_system_sgpr_workgroup_id_x 1
		.amdhsa_system_sgpr_workgroup_id_y 0
		.amdhsa_system_sgpr_workgroup_id_z 0
		.amdhsa_system_sgpr_workgroup_info 0
		.amdhsa_system_vgpr_workitem_id 0
		.amdhsa_next_free_vgpr 10
		.amdhsa_next_free_sgpr 18
		.amdhsa_reserve_vcc 1
		.amdhsa_float_round_mode_32 0
		.amdhsa_float_round_mode_16_64 0
		.amdhsa_float_denorm_mode_32 3
		.amdhsa_float_denorm_mode_16_64 3
		.amdhsa_dx10_clamp 1
		.amdhsa_ieee_mode 1
		.amdhsa_fp16_overflow 0
		.amdhsa_workgroup_processor_mode 1
		.amdhsa_memory_ordered 1
		.amdhsa_forward_progress 0
		.amdhsa_shared_vgpr_count 0
		.amdhsa_exception_fp_ieee_invalid_op 0
		.amdhsa_exception_fp_denorm_src 0
		.amdhsa_exception_fp_ieee_div_zero 0
		.amdhsa_exception_fp_ieee_overflow 0
		.amdhsa_exception_fp_ieee_underflow 0
		.amdhsa_exception_fp_ieee_inexact 0
		.amdhsa_exception_int_div_zero 0
	.end_amdhsa_kernel
	.section	.text._ZN9rocsparseL20bsrxmvn_17_32_kernelILj28Efii18rocsparse_bfloat16S1_fEEvT2_20rocsparse_direction_NS_24const_host_device_scalarIT0_EES2_PKS2_PKT1_SB_S8_PKT3_PKT4_S6_PT5_21rocsparse_index_base_b,"axG",@progbits,_ZN9rocsparseL20bsrxmvn_17_32_kernelILj28Efii18rocsparse_bfloat16S1_fEEvT2_20rocsparse_direction_NS_24const_host_device_scalarIT0_EES2_PKS2_PKT1_SB_S8_PKT3_PKT4_S6_PT5_21rocsparse_index_base_b,comdat
.Lfunc_end347:
	.size	_ZN9rocsparseL20bsrxmvn_17_32_kernelILj28Efii18rocsparse_bfloat16S1_fEEvT2_20rocsparse_direction_NS_24const_host_device_scalarIT0_EES2_PKS2_PKT1_SB_S8_PKT3_PKT4_S6_PT5_21rocsparse_index_base_b, .Lfunc_end347-_ZN9rocsparseL20bsrxmvn_17_32_kernelILj28Efii18rocsparse_bfloat16S1_fEEvT2_20rocsparse_direction_NS_24const_host_device_scalarIT0_EES2_PKS2_PKT1_SB_S8_PKT3_PKT4_S6_PT5_21rocsparse_index_base_b
                                        ; -- End function
	.section	.AMDGPU.csdata,"",@progbits
; Kernel info:
; codeLenInByte = 1536
; NumSgprs: 20
; NumVgprs: 10
; ScratchSize: 0
; MemoryBound: 0
; FloatMode: 240
; IeeeMode: 1
; LDSByteSize: 3136 bytes/workgroup (compile time only)
; SGPRBlocks: 2
; VGPRBlocks: 1
; NumSGPRsForWavesPerEU: 20
; NumVGPRsForWavesPerEU: 10
; Occupancy: 13
; WaveLimiterHint : 1
; COMPUTE_PGM_RSRC2:SCRATCH_EN: 0
; COMPUTE_PGM_RSRC2:USER_SGPR: 15
; COMPUTE_PGM_RSRC2:TRAP_HANDLER: 0
; COMPUTE_PGM_RSRC2:TGID_X_EN: 1
; COMPUTE_PGM_RSRC2:TGID_Y_EN: 0
; COMPUTE_PGM_RSRC2:TGID_Z_EN: 0
; COMPUTE_PGM_RSRC2:TIDIG_COMP_CNT: 0
	.section	.text._ZN9rocsparseL20bsrxmvn_17_32_kernelILj29Efii18rocsparse_bfloat16S1_fEEvT2_20rocsparse_direction_NS_24const_host_device_scalarIT0_EES2_PKS2_PKT1_SB_S8_PKT3_PKT4_S6_PT5_21rocsparse_index_base_b,"axG",@progbits,_ZN9rocsparseL20bsrxmvn_17_32_kernelILj29Efii18rocsparse_bfloat16S1_fEEvT2_20rocsparse_direction_NS_24const_host_device_scalarIT0_EES2_PKS2_PKT1_SB_S8_PKT3_PKT4_S6_PT5_21rocsparse_index_base_b,comdat
	.globl	_ZN9rocsparseL20bsrxmvn_17_32_kernelILj29Efii18rocsparse_bfloat16S1_fEEvT2_20rocsparse_direction_NS_24const_host_device_scalarIT0_EES2_PKS2_PKT1_SB_S8_PKT3_PKT4_S6_PT5_21rocsparse_index_base_b ; -- Begin function _ZN9rocsparseL20bsrxmvn_17_32_kernelILj29Efii18rocsparse_bfloat16S1_fEEvT2_20rocsparse_direction_NS_24const_host_device_scalarIT0_EES2_PKS2_PKT1_SB_S8_PKT3_PKT4_S6_PT5_21rocsparse_index_base_b
	.p2align	8
	.type	_ZN9rocsparseL20bsrxmvn_17_32_kernelILj29Efii18rocsparse_bfloat16S1_fEEvT2_20rocsparse_direction_NS_24const_host_device_scalarIT0_EES2_PKS2_PKT1_SB_S8_PKT3_PKT4_S6_PT5_21rocsparse_index_base_b,@function
_ZN9rocsparseL20bsrxmvn_17_32_kernelILj29Efii18rocsparse_bfloat16S1_fEEvT2_20rocsparse_direction_NS_24const_host_device_scalarIT0_EES2_PKS2_PKT1_SB_S8_PKT3_PKT4_S6_PT5_21rocsparse_index_base_b: ; @_ZN9rocsparseL20bsrxmvn_17_32_kernelILj29Efii18rocsparse_bfloat16S1_fEEvT2_20rocsparse_direction_NS_24const_host_device_scalarIT0_EES2_PKS2_PKT1_SB_S8_PKT3_PKT4_S6_PT5_21rocsparse_index_base_b
; %bb.0:
	s_mov_b32 s8, s15
	s_clause 0x2
	s_load_b64 s[14:15], s[0:1], 0x58
	s_load_b64 s[10:11], s[0:1], 0x8
	s_load_b64 s[2:3], s[0:1], 0x48
	s_waitcnt lgkmcnt(0)
	s_bitcmp1_b32 s15, 0
	s_cselect_b32 s4, -1, 0
	s_delay_alu instid0(SALU_CYCLE_1)
	s_and_b32 vcc_lo, exec_lo, s4
	s_xor_b32 s4, s4, -1
	s_cbranch_vccnz .LBB348_2
; %bb.1:
	s_load_b32 s10, s[10:11], 0x0
.LBB348_2:
	s_and_not1_b32 vcc_lo, exec_lo, s4
	s_cbranch_vccnz .LBB348_4
; %bb.3:
	s_load_b32 s2, s[2:3], 0x0
.LBB348_4:
	s_waitcnt lgkmcnt(0)
	v_cmp_neq_f32_e64 s3, s10, 0
	v_cmp_neq_f32_e64 s4, s2, 1.0
	s_delay_alu instid0(VALU_DEP_1) | instskip(NEXT) | instid1(SALU_CYCLE_1)
	s_or_b32 s3, s3, s4
	s_and_not1_b32 vcc_lo, exec_lo, s3
	s_cbranch_vccnz .LBB348_42
; %bb.5:
	s_clause 0x1
	s_load_b128 s[4:7], s[0:1], 0x18
	s_load_b64 s[12:13], s[0:1], 0x28
	s_waitcnt lgkmcnt(0)
	s_cmp_eq_u64 s[4:5], 0
	s_cbranch_scc1 .LBB348_7
; %bb.6:
	s_ashr_i32 s9, s8, 31
	s_delay_alu instid0(SALU_CYCLE_1) | instskip(NEXT) | instid1(SALU_CYCLE_1)
	s_lshl_b64 s[8:9], s[8:9], 2
	s_add_u32 s4, s4, s8
	s_addc_u32 s5, s5, s9
	s_load_b32 s3, s[4:5], 0x0
	s_waitcnt lgkmcnt(0)
	s_sub_i32 s8, s3, s14
.LBB348_7:
	s_load_b32 s3, s[0:1], 0x4
	v_mul_u32_u24_e32 v1, 0x8d4, v0
	v_mov_b32_e32 v6, 0
	s_delay_alu instid0(VALU_DEP_2) | instskip(NEXT) | instid1(VALU_DEP_1)
	v_lshrrev_b32_e32 v1, 16, v1
	v_mul_lo_u16 v2, v1, 29
	s_delay_alu instid0(VALU_DEP_1)
	v_sub_nc_u16 v7, v0, v2
	s_waitcnt lgkmcnt(0)
	s_cmp_eq_u32 s3, 1
	s_cselect_b32 vcc_lo, -1, 0
	s_cmp_lg_u32 s3, 1
	s_cselect_b32 s3, -1, 0
	s_ashr_i32 s9, s8, 31
	s_delay_alu instid0(SALU_CYCLE_1) | instskip(NEXT) | instid1(SALU_CYCLE_1)
	s_lshl_b64 s[4:5], s[8:9], 2
	s_add_u32 s6, s6, s4
	s_addc_u32 s7, s7, s5
	s_add_u32 s9, s6, 4
	s_addc_u32 s11, s7, 0
	;; [unrolled: 2-line block ×3, first 2 shown]
	s_cmp_eq_u64 s[12:13], 0
	s_load_b64 s[12:13], s[0:1], 0x50
	s_cselect_b32 s5, s11, s5
	s_cselect_b32 s4, s9, s4
	s_load_b32 s9, s[6:7], 0x0
	s_load_b32 s11, s[4:5], 0x0
	s_waitcnt lgkmcnt(0)
	s_cmp_ge_i32 s9, s11
	s_cbranch_scc1 .LBB348_12
; %bb.8:
	s_clause 0x1
	s_load_b128 s[4:7], s[0:1], 0x30
	s_load_b64 s[16:17], s[0:1], 0x40
	v_dual_mov_b32 v6, 0 :: v_dual_and_b32 v1, 0xffff, v1
	v_cmp_gt_u32_e64 s0, 0x349, v0
	v_and_b32_e32 v3, 0xffff, v7
	s_sub_i32 s9, s9, s14
	s_delay_alu instid0(VALU_DEP_3) | instskip(SKIP_2) | instid1(VALU_DEP_1)
	v_subrev_nc_u32_e32 v2, 29, v1
	s_sub_i32 s1, s11, s14
	s_mul_i32 s11, s9, 0x692
	v_cndmask_b32_e64 v1, v2, v1, s0
	v_lshlrev_b32_e32 v2, 1, v0
	s_mul_hi_i32 s0, s9, 0x692
	s_delay_alu instid0(VALU_DEP_2)
	v_cndmask_b32_e32 v1, v3, v1, vcc_lo
	v_cmp_lt_u32_e32 vcc_lo, 0x348, v0
	s_waitcnt lgkmcnt(0)
	s_add_u32 s6, s6, s11
	s_addc_u32 s0, s7, s0
	v_add_co_u32 v2, s6, s6, v2
	s_delay_alu instid0(VALU_DEP_1)
	v_add_co_ci_u32_e64 v3, null, s0, 0, s6
	v_cndmask_b32_e64 v8, 0, 1, vcc_lo
	s_set_inst_prefetch_distance 0x1
	s_branch .LBB348_10
	.p2align	6
.LBB348_9:                              ;   in Loop: Header=BB348_10 Depth=1
	s_or_b32 exec_lo, exec_lo, s0
	s_add_i32 s9, s9, 1
	s_delay_alu instid0(SALU_CYCLE_1)
	s_cmp_lt_i32 s9, s1
	s_cbranch_scc0 .LBB348_12
.LBB348_10:                             ; =>This Inner Loop Header: Depth=1
	s_delay_alu instid0(VALU_DEP_1) | instskip(SKIP_1) | instid1(VALU_DEP_1)
	v_add_nc_u32_e32 v4, s9, v8
	s_mov_b32 s0, exec_lo
	v_cmpx_gt_i32_e64 s1, v4
	s_cbranch_execz .LBB348_9
; %bb.11:                               ;   in Loop: Header=BB348_10 Depth=1
	v_ashrrev_i32_e32 v5, 31, v4
	s_delay_alu instid0(VALU_DEP_1) | instskip(NEXT) | instid1(VALU_DEP_1)
	v_lshlrev_b64 v[4:5], 2, v[4:5]
	v_add_co_u32 v4, vcc_lo, s4, v4
	s_delay_alu instid0(VALU_DEP_2) | instskip(SKIP_3) | instid1(VALU_DEP_1)
	v_add_co_ci_u32_e32 v5, vcc_lo, s5, v5, vcc_lo
	global_load_b32 v4, v[4:5], off
	s_waitcnt vmcnt(0)
	v_subrev_nc_u32_e32 v9, s14, v4
	v_mad_u64_u32 v[4:5], null, v9, 29, v[1:2]
	s_delay_alu instid0(VALU_DEP_1) | instskip(NEXT) | instid1(VALU_DEP_1)
	v_ashrrev_i32_e32 v5, 31, v4
	v_lshlrev_b64 v[4:5], 1, v[4:5]
	s_delay_alu instid0(VALU_DEP_1) | instskip(NEXT) | instid1(VALU_DEP_2)
	v_add_co_u32 v4, vcc_lo, s16, v4
	v_add_co_ci_u32_e32 v5, vcc_lo, s17, v5, vcc_lo
	global_load_u16 v9, v[2:3], off
	global_load_u16 v4, v[4:5], off
	v_add_co_u32 v2, vcc_lo, 0x692, v2
	v_add_co_ci_u32_e32 v3, vcc_lo, 0, v3, vcc_lo
	s_waitcnt vmcnt(1)
	v_lshlrev_b32_e32 v5, 16, v9
	s_waitcnt vmcnt(0)
	v_lshlrev_b32_e32 v4, 16, v4
	s_delay_alu instid0(VALU_DEP_1)
	v_fmac_f32_e32 v6, v5, v4
	s_branch .LBB348_9
.LBB348_12:
	s_set_inst_prefetch_distance 0x2
	v_lshlrev_b32_e32 v1, 2, v0
	s_and_b32 vcc_lo, exec_lo, s3
	ds_store_b32 v1, v6
	s_waitcnt lgkmcnt(0)
	s_barrier
	buffer_gl0_inv
	s_cbranch_vccz .LBB348_24
; %bb.13:
	s_mov_b32 s0, exec_lo
	v_cmpx_gt_u16_e32 13, v7
	s_cbranch_execz .LBB348_15
; %bb.14:
	ds_load_2addr_b32 v[2:3], v1 offset1:16
	s_waitcnt lgkmcnt(0)
	v_add_f32_e32 v2, v3, v2
	ds_store_b32 v1, v2
.LBB348_15:
	s_or_b32 exec_lo, exec_lo, s0
	s_delay_alu instid0(SALU_CYCLE_1)
	s_mov_b32 s0, exec_lo
	s_waitcnt lgkmcnt(0)
	s_barrier
	buffer_gl0_inv
	v_cmpx_gt_u16_e32 8, v7
	s_cbranch_execz .LBB348_17
; %bb.16:
	ds_load_2addr_b32 v[2:3], v1 offset1:8
	s_waitcnt lgkmcnt(0)
	v_add_f32_e32 v2, v3, v2
	ds_store_b32 v1, v2
.LBB348_17:
	s_or_b32 exec_lo, exec_lo, s0
	s_delay_alu instid0(SALU_CYCLE_1)
	s_mov_b32 s0, exec_lo
	s_waitcnt lgkmcnt(0)
	s_barrier
	buffer_gl0_inv
	;; [unrolled: 14-line block ×3, first 2 shown]
	v_cmpx_gt_u16_e32 2, v7
	s_cbranch_execz .LBB348_21
; %bb.20:
	ds_load_2addr_b32 v[2:3], v1 offset1:2
	s_waitcnt lgkmcnt(0)
	v_add_f32_e32 v2, v3, v2
	ds_store_b32 v1, v2
.LBB348_21:
	s_or_b32 exec_lo, exec_lo, s0
	s_mov_b32 s1, 0
	s_mov_b32 s0, 0
	s_mov_b32 s3, exec_lo
	s_waitcnt lgkmcnt(0)
	s_barrier
	buffer_gl0_inv
                                        ; implicit-def: $vgpr2
                                        ; implicit-def: $vgpr3
	v_cmpx_gt_u32_e32 29, v0
	s_xor_b32 s3, exec_lo, s3
; %bb.22:
	v_mad_u32_u24 v2, v0, 29, 1
	v_mad_u32_u24 v3, 0x70, v0, v1
	s_mov_b32 s0, exec_lo
; %bb.23:
	s_or_b32 exec_lo, exec_lo, s3
	s_delay_alu instid0(SALU_CYCLE_1)
	s_and_b32 vcc_lo, exec_lo, s1
	s_cbranch_vccnz .LBB348_25
	s_branch .LBB348_36
.LBB348_24:
	s_mov_b32 s0, 0
                                        ; implicit-def: $vgpr2
                                        ; implicit-def: $vgpr3
	s_cbranch_execz .LBB348_36
.LBB348_25:
	s_mov_b32 s1, exec_lo
	v_cmpx_gt_u32_e32 0x179, v0
	s_cbranch_execz .LBB348_27
; %bb.26:
	ds_load_b32 v2, v1 offset:1856
	ds_load_b32 v3, v1
	s_waitcnt lgkmcnt(0)
	v_add_f32_e32 v2, v2, v3
	ds_store_b32 v1, v2
.LBB348_27:
	s_or_b32 exec_lo, exec_lo, s1
	s_delay_alu instid0(SALU_CYCLE_1)
	s_mov_b32 s1, exec_lo
	s_waitcnt lgkmcnt(0)
	s_barrier
	buffer_gl0_inv
	v_cmpx_gt_u32_e32 0xe8, v0
	s_cbranch_execz .LBB348_29
; %bb.28:
	ds_load_2addr_b32 v[2:3], v1 offset1:232
	s_waitcnt lgkmcnt(0)
	v_add_f32_e32 v2, v3, v2
	ds_store_b32 v1, v2
.LBB348_29:
	s_or_b32 exec_lo, exec_lo, s1
	s_delay_alu instid0(SALU_CYCLE_1)
	s_mov_b32 s1, exec_lo
	s_waitcnt lgkmcnt(0)
	s_barrier
	buffer_gl0_inv
	v_cmpx_gt_u32_e32 0x74, v0
	s_cbranch_execz .LBB348_31
; %bb.30:
	ds_load_2addr_b32 v[2:3], v1 offset1:116
	s_waitcnt lgkmcnt(0)
	v_add_f32_e32 v2, v3, v2
	ds_store_b32 v1, v2
.LBB348_31:
	;; [unrolled: 14-line block ×3, first 2 shown]
	s_or_b32 exec_lo, exec_lo, s1
	s_delay_alu instid0(SALU_CYCLE_1)
	s_mov_b32 s1, exec_lo
	s_waitcnt lgkmcnt(0)
	buffer_gl0_inv
                                        ; implicit-def: $vgpr2
	v_cmpx_gt_u32_e32 29, v0
; %bb.34:
	v_add_nc_u32_e32 v2, 29, v0
	s_or_b32 s0, s0, exec_lo
                                        ; implicit-def: $vgpr6
; %bb.35:
	s_or_b32 exec_lo, exec_lo, s1
	v_mov_b32_e32 v3, v1
.LBB348_36:
	s_and_saveexec_b32 s1, s0
	s_cbranch_execz .LBB348_38
; %bb.37:
	v_lshlrev_b32_e32 v1, 2, v2
	ds_load_b32 v2, v3
	ds_load_b32 v1, v1
	s_waitcnt lgkmcnt(0)
	v_add_f32_e32 v6, v2, v1
.LBB348_38:
	s_or_b32 exec_lo, exec_lo, s1
	s_delay_alu instid0(SALU_CYCLE_1)
	s_mov_b32 s0, exec_lo
	v_cmpx_gt_u32_e32 29, v0
	s_cbranch_execz .LBB348_42
; %bb.39:
	v_cmp_eq_f32_e64 s0, s2, 0
	v_mul_f32_e32 v1, s10, v6
	s_delay_alu instid0(VALU_DEP_2)
	s_and_b32 vcc_lo, exec_lo, s0
	s_mov_b32 s0, 0
	s_cbranch_vccz .LBB348_43
; %bb.40:
	s_delay_alu instid0(VALU_DEP_1) | instskip(SKIP_1) | instid1(VALU_DEP_1)
	v_mad_u64_u32 v[2:3], null, s8, 29, v[0:1]
	v_mov_b32_e32 v3, 0
	v_lshlrev_b64 v[2:3], 2, v[2:3]
	s_delay_alu instid0(VALU_DEP_1) | instskip(NEXT) | instid1(VALU_DEP_2)
	v_add_co_u32 v2, vcc_lo, s12, v2
	v_add_co_ci_u32_e32 v3, vcc_lo, s13, v3, vcc_lo
	global_store_b32 v[2:3], v1, off
	s_and_not1_b32 vcc_lo, exec_lo, s0
	s_cbranch_vccnz .LBB348_42
.LBB348_41:
	v_mad_u64_u32 v[2:3], null, s8, 29, v[0:1]
	v_mov_b32_e32 v3, 0
	s_delay_alu instid0(VALU_DEP_1) | instskip(NEXT) | instid1(VALU_DEP_1)
	v_lshlrev_b64 v[2:3], 2, v[2:3]
	v_add_co_u32 v2, vcc_lo, s12, v2
	s_delay_alu instid0(VALU_DEP_2)
	v_add_co_ci_u32_e32 v3, vcc_lo, s13, v3, vcc_lo
	global_load_b32 v0, v[2:3], off
	s_waitcnt vmcnt(0)
	v_fmac_f32_e32 v1, s2, v0
	global_store_b32 v[2:3], v1, off
.LBB348_42:
	s_nop 0
	s_sendmsg sendmsg(MSG_DEALLOC_VGPRS)
	s_endpgm
.LBB348_43:
	s_branch .LBB348_41
	.section	.rodata,"a",@progbits
	.p2align	6, 0x0
	.amdhsa_kernel _ZN9rocsparseL20bsrxmvn_17_32_kernelILj29Efii18rocsparse_bfloat16S1_fEEvT2_20rocsparse_direction_NS_24const_host_device_scalarIT0_EES2_PKS2_PKT1_SB_S8_PKT3_PKT4_S6_PT5_21rocsparse_index_base_b
		.amdhsa_group_segment_fixed_size 3364
		.amdhsa_private_segment_fixed_size 0
		.amdhsa_kernarg_size 96
		.amdhsa_user_sgpr_count 15
		.amdhsa_user_sgpr_dispatch_ptr 0
		.amdhsa_user_sgpr_queue_ptr 0
		.amdhsa_user_sgpr_kernarg_segment_ptr 1
		.amdhsa_user_sgpr_dispatch_id 0
		.amdhsa_user_sgpr_private_segment_size 0
		.amdhsa_wavefront_size32 1
		.amdhsa_uses_dynamic_stack 0
		.amdhsa_enable_private_segment 0
		.amdhsa_system_sgpr_workgroup_id_x 1
		.amdhsa_system_sgpr_workgroup_id_y 0
		.amdhsa_system_sgpr_workgroup_id_z 0
		.amdhsa_system_sgpr_workgroup_info 0
		.amdhsa_system_vgpr_workitem_id 0
		.amdhsa_next_free_vgpr 10
		.amdhsa_next_free_sgpr 18
		.amdhsa_reserve_vcc 1
		.amdhsa_float_round_mode_32 0
		.amdhsa_float_round_mode_16_64 0
		.amdhsa_float_denorm_mode_32 3
		.amdhsa_float_denorm_mode_16_64 3
		.amdhsa_dx10_clamp 1
		.amdhsa_ieee_mode 1
		.amdhsa_fp16_overflow 0
		.amdhsa_workgroup_processor_mode 1
		.amdhsa_memory_ordered 1
		.amdhsa_forward_progress 0
		.amdhsa_shared_vgpr_count 0
		.amdhsa_exception_fp_ieee_invalid_op 0
		.amdhsa_exception_fp_denorm_src 0
		.amdhsa_exception_fp_ieee_div_zero 0
		.amdhsa_exception_fp_ieee_overflow 0
		.amdhsa_exception_fp_ieee_underflow 0
		.amdhsa_exception_fp_ieee_inexact 0
		.amdhsa_exception_int_div_zero 0
	.end_amdhsa_kernel
	.section	.text._ZN9rocsparseL20bsrxmvn_17_32_kernelILj29Efii18rocsparse_bfloat16S1_fEEvT2_20rocsparse_direction_NS_24const_host_device_scalarIT0_EES2_PKS2_PKT1_SB_S8_PKT3_PKT4_S6_PT5_21rocsparse_index_base_b,"axG",@progbits,_ZN9rocsparseL20bsrxmvn_17_32_kernelILj29Efii18rocsparse_bfloat16S1_fEEvT2_20rocsparse_direction_NS_24const_host_device_scalarIT0_EES2_PKS2_PKT1_SB_S8_PKT3_PKT4_S6_PT5_21rocsparse_index_base_b,comdat
.Lfunc_end348:
	.size	_ZN9rocsparseL20bsrxmvn_17_32_kernelILj29Efii18rocsparse_bfloat16S1_fEEvT2_20rocsparse_direction_NS_24const_host_device_scalarIT0_EES2_PKS2_PKT1_SB_S8_PKT3_PKT4_S6_PT5_21rocsparse_index_base_b, .Lfunc_end348-_ZN9rocsparseL20bsrxmvn_17_32_kernelILj29Efii18rocsparse_bfloat16S1_fEEvT2_20rocsparse_direction_NS_24const_host_device_scalarIT0_EES2_PKS2_PKT1_SB_S8_PKT3_PKT4_S6_PT5_21rocsparse_index_base_b
                                        ; -- End function
	.section	.AMDGPU.csdata,"",@progbits
; Kernel info:
; codeLenInByte = 1540
; NumSgprs: 20
; NumVgprs: 10
; ScratchSize: 0
; MemoryBound: 0
; FloatMode: 240
; IeeeMode: 1
; LDSByteSize: 3364 bytes/workgroup (compile time only)
; SGPRBlocks: 2
; VGPRBlocks: 1
; NumSGPRsForWavesPerEU: 20
; NumVGPRsForWavesPerEU: 10
; Occupancy: 14
; WaveLimiterHint : 1
; COMPUTE_PGM_RSRC2:SCRATCH_EN: 0
; COMPUTE_PGM_RSRC2:USER_SGPR: 15
; COMPUTE_PGM_RSRC2:TRAP_HANDLER: 0
; COMPUTE_PGM_RSRC2:TGID_X_EN: 1
; COMPUTE_PGM_RSRC2:TGID_Y_EN: 0
; COMPUTE_PGM_RSRC2:TGID_Z_EN: 0
; COMPUTE_PGM_RSRC2:TIDIG_COMP_CNT: 0
	.section	.text._ZN9rocsparseL20bsrxmvn_17_32_kernelILj30Efii18rocsparse_bfloat16S1_fEEvT2_20rocsparse_direction_NS_24const_host_device_scalarIT0_EES2_PKS2_PKT1_SB_S8_PKT3_PKT4_S6_PT5_21rocsparse_index_base_b,"axG",@progbits,_ZN9rocsparseL20bsrxmvn_17_32_kernelILj30Efii18rocsparse_bfloat16S1_fEEvT2_20rocsparse_direction_NS_24const_host_device_scalarIT0_EES2_PKS2_PKT1_SB_S8_PKT3_PKT4_S6_PT5_21rocsparse_index_base_b,comdat
	.globl	_ZN9rocsparseL20bsrxmvn_17_32_kernelILj30Efii18rocsparse_bfloat16S1_fEEvT2_20rocsparse_direction_NS_24const_host_device_scalarIT0_EES2_PKS2_PKT1_SB_S8_PKT3_PKT4_S6_PT5_21rocsparse_index_base_b ; -- Begin function _ZN9rocsparseL20bsrxmvn_17_32_kernelILj30Efii18rocsparse_bfloat16S1_fEEvT2_20rocsparse_direction_NS_24const_host_device_scalarIT0_EES2_PKS2_PKT1_SB_S8_PKT3_PKT4_S6_PT5_21rocsparse_index_base_b
	.p2align	8
	.type	_ZN9rocsparseL20bsrxmvn_17_32_kernelILj30Efii18rocsparse_bfloat16S1_fEEvT2_20rocsparse_direction_NS_24const_host_device_scalarIT0_EES2_PKS2_PKT1_SB_S8_PKT3_PKT4_S6_PT5_21rocsparse_index_base_b,@function
_ZN9rocsparseL20bsrxmvn_17_32_kernelILj30Efii18rocsparse_bfloat16S1_fEEvT2_20rocsparse_direction_NS_24const_host_device_scalarIT0_EES2_PKS2_PKT1_SB_S8_PKT3_PKT4_S6_PT5_21rocsparse_index_base_b: ; @_ZN9rocsparseL20bsrxmvn_17_32_kernelILj30Efii18rocsparse_bfloat16S1_fEEvT2_20rocsparse_direction_NS_24const_host_device_scalarIT0_EES2_PKS2_PKT1_SB_S8_PKT3_PKT4_S6_PT5_21rocsparse_index_base_b
; %bb.0:
	s_mov_b32 s8, s15
	s_clause 0x2
	s_load_b64 s[14:15], s[0:1], 0x58
	s_load_b64 s[10:11], s[0:1], 0x8
	;; [unrolled: 1-line block ×3, first 2 shown]
	s_waitcnt lgkmcnt(0)
	s_bitcmp1_b32 s15, 0
	s_cselect_b32 s4, -1, 0
	s_delay_alu instid0(SALU_CYCLE_1)
	s_and_b32 vcc_lo, exec_lo, s4
	s_xor_b32 s4, s4, -1
	s_cbranch_vccnz .LBB349_2
; %bb.1:
	s_load_b32 s10, s[10:11], 0x0
.LBB349_2:
	s_and_not1_b32 vcc_lo, exec_lo, s4
	s_cbranch_vccnz .LBB349_4
; %bb.3:
	s_load_b32 s2, s[2:3], 0x0
.LBB349_4:
	s_waitcnt lgkmcnt(0)
	v_cmp_neq_f32_e64 s3, s10, 0
	v_cmp_neq_f32_e64 s4, s2, 1.0
	s_delay_alu instid0(VALU_DEP_1) | instskip(NEXT) | instid1(SALU_CYCLE_1)
	s_or_b32 s3, s3, s4
	s_and_not1_b32 vcc_lo, exec_lo, s3
	s_cbranch_vccnz .LBB349_42
; %bb.5:
	s_clause 0x1
	s_load_b128 s[4:7], s[0:1], 0x18
	s_load_b64 s[12:13], s[0:1], 0x28
	s_waitcnt lgkmcnt(0)
	s_cmp_eq_u64 s[4:5], 0
	s_cbranch_scc1 .LBB349_7
; %bb.6:
	s_ashr_i32 s9, s8, 31
	s_delay_alu instid0(SALU_CYCLE_1) | instskip(NEXT) | instid1(SALU_CYCLE_1)
	s_lshl_b64 s[8:9], s[8:9], 2
	s_add_u32 s4, s4, s8
	s_addc_u32 s5, s5, s9
	s_load_b32 s3, s[4:5], 0x0
	s_waitcnt lgkmcnt(0)
	s_sub_i32 s8, s3, s14
.LBB349_7:
	s_load_b32 s3, s[0:1], 0x4
	v_mul_u32_u24_e32 v1, 0x889, v0
	v_mov_b32_e32 v6, 0
	s_delay_alu instid0(VALU_DEP_2) | instskip(NEXT) | instid1(VALU_DEP_1)
	v_lshrrev_b32_e32 v1, 16, v1
	v_mul_lo_u16 v2, v1, 30
	s_delay_alu instid0(VALU_DEP_1)
	v_sub_nc_u16 v7, v0, v2
	s_waitcnt lgkmcnt(0)
	s_cmp_eq_u32 s3, 1
	s_cselect_b32 vcc_lo, -1, 0
	s_cmp_lg_u32 s3, 1
	s_cselect_b32 s3, -1, 0
	s_ashr_i32 s9, s8, 31
	s_delay_alu instid0(SALU_CYCLE_1) | instskip(NEXT) | instid1(SALU_CYCLE_1)
	s_lshl_b64 s[4:5], s[8:9], 2
	s_add_u32 s6, s6, s4
	s_addc_u32 s7, s7, s5
	s_add_u32 s9, s6, 4
	s_addc_u32 s11, s7, 0
	;; [unrolled: 2-line block ×3, first 2 shown]
	s_cmp_eq_u64 s[12:13], 0
	s_load_b64 s[12:13], s[0:1], 0x50
	s_cselect_b32 s5, s11, s5
	s_cselect_b32 s4, s9, s4
	s_load_b32 s9, s[6:7], 0x0
	s_load_b32 s11, s[4:5], 0x0
	s_waitcnt lgkmcnt(0)
	s_cmp_ge_i32 s9, s11
	s_cbranch_scc1 .LBB349_12
; %bb.8:
	s_clause 0x1
	s_load_b128 s[4:7], s[0:1], 0x30
	s_load_b64 s[16:17], s[0:1], 0x40
	v_dual_mov_b32 v6, 0 :: v_dual_and_b32 v1, 0xffff, v1
	v_cmp_gt_u32_e64 s0, 0x384, v0
	v_and_b32_e32 v3, 0xffff, v7
	s_sub_i32 s9, s9, s14
	s_delay_alu instid0(VALU_DEP_3) | instskip(SKIP_2) | instid1(VALU_DEP_1)
	v_subrev_nc_u32_e32 v2, 30, v1
	s_sub_i32 s1, s11, s14
	s_mul_i32 s11, s9, 0x708
	v_cndmask_b32_e64 v1, v2, v1, s0
	v_lshlrev_b32_e32 v2, 1, v0
	s_mul_hi_i32 s0, s9, 0x708
	s_delay_alu instid0(VALU_DEP_2)
	v_cndmask_b32_e32 v1, v3, v1, vcc_lo
	v_cmp_lt_u32_e32 vcc_lo, 0x383, v0
	s_waitcnt lgkmcnt(0)
	s_add_u32 s6, s6, s11
	s_addc_u32 s0, s7, s0
	v_add_co_u32 v2, s6, s6, v2
	s_delay_alu instid0(VALU_DEP_1)
	v_add_co_ci_u32_e64 v3, null, s0, 0, s6
	v_cndmask_b32_e64 v8, 0, 1, vcc_lo
	s_set_inst_prefetch_distance 0x1
	s_branch .LBB349_10
	.p2align	6
.LBB349_9:                              ;   in Loop: Header=BB349_10 Depth=1
	s_or_b32 exec_lo, exec_lo, s0
	s_add_i32 s9, s9, 1
	s_delay_alu instid0(SALU_CYCLE_1)
	s_cmp_lt_i32 s9, s1
	s_cbranch_scc0 .LBB349_12
.LBB349_10:                             ; =>This Inner Loop Header: Depth=1
	s_delay_alu instid0(VALU_DEP_1) | instskip(SKIP_1) | instid1(VALU_DEP_1)
	v_add_nc_u32_e32 v4, s9, v8
	s_mov_b32 s0, exec_lo
	v_cmpx_gt_i32_e64 s1, v4
	s_cbranch_execz .LBB349_9
; %bb.11:                               ;   in Loop: Header=BB349_10 Depth=1
	v_ashrrev_i32_e32 v5, 31, v4
	s_delay_alu instid0(VALU_DEP_1) | instskip(NEXT) | instid1(VALU_DEP_1)
	v_lshlrev_b64 v[4:5], 2, v[4:5]
	v_add_co_u32 v4, vcc_lo, s4, v4
	s_delay_alu instid0(VALU_DEP_2) | instskip(SKIP_3) | instid1(VALU_DEP_1)
	v_add_co_ci_u32_e32 v5, vcc_lo, s5, v5, vcc_lo
	global_load_b32 v4, v[4:5], off
	s_waitcnt vmcnt(0)
	v_subrev_nc_u32_e32 v9, s14, v4
	v_mad_u64_u32 v[4:5], null, v9, 30, v[1:2]
	s_delay_alu instid0(VALU_DEP_1) | instskip(NEXT) | instid1(VALU_DEP_1)
	v_ashrrev_i32_e32 v5, 31, v4
	v_lshlrev_b64 v[4:5], 1, v[4:5]
	s_delay_alu instid0(VALU_DEP_1) | instskip(NEXT) | instid1(VALU_DEP_2)
	v_add_co_u32 v4, vcc_lo, s16, v4
	v_add_co_ci_u32_e32 v5, vcc_lo, s17, v5, vcc_lo
	global_load_u16 v9, v[2:3], off
	global_load_u16 v4, v[4:5], off
	v_add_co_u32 v2, vcc_lo, 0x708, v2
	v_add_co_ci_u32_e32 v3, vcc_lo, 0, v3, vcc_lo
	s_waitcnt vmcnt(1)
	v_lshlrev_b32_e32 v5, 16, v9
	s_waitcnt vmcnt(0)
	v_lshlrev_b32_e32 v4, 16, v4
	s_delay_alu instid0(VALU_DEP_1)
	v_fmac_f32_e32 v6, v5, v4
	s_branch .LBB349_9
.LBB349_12:
	s_set_inst_prefetch_distance 0x2
	v_lshlrev_b32_e32 v1, 2, v0
	s_and_b32 vcc_lo, exec_lo, s3
	ds_store_b32 v1, v6
	s_waitcnt lgkmcnt(0)
	s_barrier
	buffer_gl0_inv
	s_cbranch_vccz .LBB349_24
; %bb.13:
	s_mov_b32 s0, exec_lo
	v_cmpx_gt_u16_e32 14, v7
	s_cbranch_execz .LBB349_15
; %bb.14:
	ds_load_2addr_b32 v[2:3], v1 offset1:16
	s_waitcnt lgkmcnt(0)
	v_add_f32_e32 v2, v3, v2
	ds_store_b32 v1, v2
.LBB349_15:
	s_or_b32 exec_lo, exec_lo, s0
	s_delay_alu instid0(SALU_CYCLE_1)
	s_mov_b32 s0, exec_lo
	s_waitcnt lgkmcnt(0)
	s_barrier
	buffer_gl0_inv
	v_cmpx_gt_u16_e32 8, v7
	s_cbranch_execz .LBB349_17
; %bb.16:
	ds_load_2addr_b32 v[2:3], v1 offset1:8
	s_waitcnt lgkmcnt(0)
	v_add_f32_e32 v2, v3, v2
	ds_store_b32 v1, v2
.LBB349_17:
	s_or_b32 exec_lo, exec_lo, s0
	s_delay_alu instid0(SALU_CYCLE_1)
	s_mov_b32 s0, exec_lo
	s_waitcnt lgkmcnt(0)
	s_barrier
	buffer_gl0_inv
	;; [unrolled: 14-line block ×3, first 2 shown]
	v_cmpx_gt_u16_e32 2, v7
	s_cbranch_execz .LBB349_21
; %bb.20:
	ds_load_2addr_b32 v[2:3], v1 offset1:2
	s_waitcnt lgkmcnt(0)
	v_add_f32_e32 v2, v3, v2
	ds_store_b32 v1, v2
.LBB349_21:
	s_or_b32 exec_lo, exec_lo, s0
	s_mov_b32 s1, 0
	s_mov_b32 s0, 0
	s_mov_b32 s3, exec_lo
	s_waitcnt lgkmcnt(0)
	s_barrier
	buffer_gl0_inv
                                        ; implicit-def: $vgpr2
                                        ; implicit-def: $vgpr3
	v_cmpx_gt_u32_e32 30, v0
	s_xor_b32 s3, exec_lo, s3
; %bb.22:
	v_mul_u32_u24_e32 v2, 30, v0
	v_mad_u32_u24 v3, 0x74, v0, v1
	s_mov_b32 s0, exec_lo
	s_delay_alu instid0(VALU_DEP_2)
	v_or_b32_e32 v2, 1, v2
; %bb.23:
	s_or_b32 exec_lo, exec_lo, s3
	s_delay_alu instid0(SALU_CYCLE_1)
	s_and_b32 vcc_lo, exec_lo, s1
	s_cbranch_vccnz .LBB349_25
	s_branch .LBB349_36
.LBB349_24:
	s_mov_b32 s0, 0
                                        ; implicit-def: $vgpr2
                                        ; implicit-def: $vgpr3
	s_cbranch_execz .LBB349_36
.LBB349_25:
	s_mov_b32 s1, exec_lo
	v_cmpx_gt_u32_e32 0x1a4, v0
	s_cbranch_execz .LBB349_27
; %bb.26:
	ds_load_b32 v2, v1 offset:1920
	ds_load_b32 v3, v1
	s_waitcnt lgkmcnt(0)
	v_add_f32_e32 v2, v2, v3
	ds_store_b32 v1, v2
.LBB349_27:
	s_or_b32 exec_lo, exec_lo, s1
	s_delay_alu instid0(SALU_CYCLE_1)
	s_mov_b32 s1, exec_lo
	s_waitcnt lgkmcnt(0)
	s_barrier
	buffer_gl0_inv
	v_cmpx_gt_u32_e32 0xf0, v0
	s_cbranch_execz .LBB349_29
; %bb.28:
	ds_load_2addr_b32 v[2:3], v1 offset1:240
	s_waitcnt lgkmcnt(0)
	v_add_f32_e32 v2, v3, v2
	ds_store_b32 v1, v2
.LBB349_29:
	s_or_b32 exec_lo, exec_lo, s1
	s_delay_alu instid0(SALU_CYCLE_1)
	s_mov_b32 s1, exec_lo
	s_waitcnt lgkmcnt(0)
	s_barrier
	buffer_gl0_inv
	v_cmpx_gt_u32_e32 0x78, v0
	s_cbranch_execz .LBB349_31
; %bb.30:
	ds_load_2addr_b32 v[2:3], v1 offset1:120
	s_waitcnt lgkmcnt(0)
	v_add_f32_e32 v2, v3, v2
	ds_store_b32 v1, v2
.LBB349_31:
	;; [unrolled: 14-line block ×3, first 2 shown]
	s_or_b32 exec_lo, exec_lo, s1
	s_delay_alu instid0(SALU_CYCLE_1)
	s_mov_b32 s1, exec_lo
	s_waitcnt lgkmcnt(0)
	buffer_gl0_inv
                                        ; implicit-def: $vgpr2
	v_cmpx_gt_u32_e32 30, v0
; %bb.34:
	v_add_nc_u32_e32 v2, 30, v0
	s_or_b32 s0, s0, exec_lo
                                        ; implicit-def: $vgpr6
; %bb.35:
	s_or_b32 exec_lo, exec_lo, s1
	v_mov_b32_e32 v3, v1
.LBB349_36:
	s_and_saveexec_b32 s1, s0
	s_cbranch_execz .LBB349_38
; %bb.37:
	v_lshlrev_b32_e32 v1, 2, v2
	ds_load_b32 v2, v3
	ds_load_b32 v1, v1
	s_waitcnt lgkmcnt(0)
	v_add_f32_e32 v6, v2, v1
.LBB349_38:
	s_or_b32 exec_lo, exec_lo, s1
	s_delay_alu instid0(SALU_CYCLE_1)
	s_mov_b32 s0, exec_lo
	v_cmpx_gt_u32_e32 30, v0
	s_cbranch_execz .LBB349_42
; %bb.39:
	v_cmp_eq_f32_e64 s0, s2, 0
	v_mul_f32_e32 v1, s10, v6
	s_delay_alu instid0(VALU_DEP_2)
	s_and_b32 vcc_lo, exec_lo, s0
	s_mov_b32 s0, 0
	s_cbranch_vccz .LBB349_43
; %bb.40:
	s_delay_alu instid0(VALU_DEP_1) | instskip(SKIP_1) | instid1(VALU_DEP_1)
	v_mad_u64_u32 v[2:3], null, s8, 30, v[0:1]
	v_mov_b32_e32 v3, 0
	v_lshlrev_b64 v[2:3], 2, v[2:3]
	s_delay_alu instid0(VALU_DEP_1) | instskip(NEXT) | instid1(VALU_DEP_2)
	v_add_co_u32 v2, vcc_lo, s12, v2
	v_add_co_ci_u32_e32 v3, vcc_lo, s13, v3, vcc_lo
	global_store_b32 v[2:3], v1, off
	s_and_not1_b32 vcc_lo, exec_lo, s0
	s_cbranch_vccnz .LBB349_42
.LBB349_41:
	v_mad_u64_u32 v[2:3], null, s8, 30, v[0:1]
	v_mov_b32_e32 v3, 0
	s_delay_alu instid0(VALU_DEP_1) | instskip(NEXT) | instid1(VALU_DEP_1)
	v_lshlrev_b64 v[2:3], 2, v[2:3]
	v_add_co_u32 v2, vcc_lo, s12, v2
	s_delay_alu instid0(VALU_DEP_2)
	v_add_co_ci_u32_e32 v3, vcc_lo, s13, v3, vcc_lo
	global_load_b32 v0, v[2:3], off
	s_waitcnt vmcnt(0)
	v_fmac_f32_e32 v1, s2, v0
	global_store_b32 v[2:3], v1, off
.LBB349_42:
	s_nop 0
	s_sendmsg sendmsg(MSG_DEALLOC_VGPRS)
	s_endpgm
.LBB349_43:
	s_branch .LBB349_41
	.section	.rodata,"a",@progbits
	.p2align	6, 0x0
	.amdhsa_kernel _ZN9rocsparseL20bsrxmvn_17_32_kernelILj30Efii18rocsparse_bfloat16S1_fEEvT2_20rocsparse_direction_NS_24const_host_device_scalarIT0_EES2_PKS2_PKT1_SB_S8_PKT3_PKT4_S6_PT5_21rocsparse_index_base_b
		.amdhsa_group_segment_fixed_size 3600
		.amdhsa_private_segment_fixed_size 0
		.amdhsa_kernarg_size 96
		.amdhsa_user_sgpr_count 15
		.amdhsa_user_sgpr_dispatch_ptr 0
		.amdhsa_user_sgpr_queue_ptr 0
		.amdhsa_user_sgpr_kernarg_segment_ptr 1
		.amdhsa_user_sgpr_dispatch_id 0
		.amdhsa_user_sgpr_private_segment_size 0
		.amdhsa_wavefront_size32 1
		.amdhsa_uses_dynamic_stack 0
		.amdhsa_enable_private_segment 0
		.amdhsa_system_sgpr_workgroup_id_x 1
		.amdhsa_system_sgpr_workgroup_id_y 0
		.amdhsa_system_sgpr_workgroup_id_z 0
		.amdhsa_system_sgpr_workgroup_info 0
		.amdhsa_system_vgpr_workitem_id 0
		.amdhsa_next_free_vgpr 10
		.amdhsa_next_free_sgpr 18
		.amdhsa_reserve_vcc 1
		.amdhsa_float_round_mode_32 0
		.amdhsa_float_round_mode_16_64 0
		.amdhsa_float_denorm_mode_32 3
		.amdhsa_float_denorm_mode_16_64 3
		.amdhsa_dx10_clamp 1
		.amdhsa_ieee_mode 1
		.amdhsa_fp16_overflow 0
		.amdhsa_workgroup_processor_mode 1
		.amdhsa_memory_ordered 1
		.amdhsa_forward_progress 0
		.amdhsa_shared_vgpr_count 0
		.amdhsa_exception_fp_ieee_invalid_op 0
		.amdhsa_exception_fp_denorm_src 0
		.amdhsa_exception_fp_ieee_div_zero 0
		.amdhsa_exception_fp_ieee_overflow 0
		.amdhsa_exception_fp_ieee_underflow 0
		.amdhsa_exception_fp_ieee_inexact 0
		.amdhsa_exception_int_div_zero 0
	.end_amdhsa_kernel
	.section	.text._ZN9rocsparseL20bsrxmvn_17_32_kernelILj30Efii18rocsparse_bfloat16S1_fEEvT2_20rocsparse_direction_NS_24const_host_device_scalarIT0_EES2_PKS2_PKT1_SB_S8_PKT3_PKT4_S6_PT5_21rocsparse_index_base_b,"axG",@progbits,_ZN9rocsparseL20bsrxmvn_17_32_kernelILj30Efii18rocsparse_bfloat16S1_fEEvT2_20rocsparse_direction_NS_24const_host_device_scalarIT0_EES2_PKS2_PKT1_SB_S8_PKT3_PKT4_S6_PT5_21rocsparse_index_base_b,comdat
.Lfunc_end349:
	.size	_ZN9rocsparseL20bsrxmvn_17_32_kernelILj30Efii18rocsparse_bfloat16S1_fEEvT2_20rocsparse_direction_NS_24const_host_device_scalarIT0_EES2_PKS2_PKT1_SB_S8_PKT3_PKT4_S6_PT5_21rocsparse_index_base_b, .Lfunc_end349-_ZN9rocsparseL20bsrxmvn_17_32_kernelILj30Efii18rocsparse_bfloat16S1_fEEvT2_20rocsparse_direction_NS_24const_host_device_scalarIT0_EES2_PKS2_PKT1_SB_S8_PKT3_PKT4_S6_PT5_21rocsparse_index_base_b
                                        ; -- End function
	.section	.AMDGPU.csdata,"",@progbits
; Kernel info:
; codeLenInByte = 1544
; NumSgprs: 20
; NumVgprs: 10
; ScratchSize: 0
; MemoryBound: 0
; FloatMode: 240
; IeeeMode: 1
; LDSByteSize: 3600 bytes/workgroup (compile time only)
; SGPRBlocks: 2
; VGPRBlocks: 1
; NumSGPRsForWavesPerEU: 20
; NumVGPRsForWavesPerEU: 10
; Occupancy: 15
; WaveLimiterHint : 1
; COMPUTE_PGM_RSRC2:SCRATCH_EN: 0
; COMPUTE_PGM_RSRC2:USER_SGPR: 15
; COMPUTE_PGM_RSRC2:TRAP_HANDLER: 0
; COMPUTE_PGM_RSRC2:TGID_X_EN: 1
; COMPUTE_PGM_RSRC2:TGID_Y_EN: 0
; COMPUTE_PGM_RSRC2:TGID_Z_EN: 0
; COMPUTE_PGM_RSRC2:TIDIG_COMP_CNT: 0
	.section	.text._ZN9rocsparseL20bsrxmvn_17_32_kernelILj31Efii18rocsparse_bfloat16S1_fEEvT2_20rocsparse_direction_NS_24const_host_device_scalarIT0_EES2_PKS2_PKT1_SB_S8_PKT3_PKT4_S6_PT5_21rocsparse_index_base_b,"axG",@progbits,_ZN9rocsparseL20bsrxmvn_17_32_kernelILj31Efii18rocsparse_bfloat16S1_fEEvT2_20rocsparse_direction_NS_24const_host_device_scalarIT0_EES2_PKS2_PKT1_SB_S8_PKT3_PKT4_S6_PT5_21rocsparse_index_base_b,comdat
	.globl	_ZN9rocsparseL20bsrxmvn_17_32_kernelILj31Efii18rocsparse_bfloat16S1_fEEvT2_20rocsparse_direction_NS_24const_host_device_scalarIT0_EES2_PKS2_PKT1_SB_S8_PKT3_PKT4_S6_PT5_21rocsparse_index_base_b ; -- Begin function _ZN9rocsparseL20bsrxmvn_17_32_kernelILj31Efii18rocsparse_bfloat16S1_fEEvT2_20rocsparse_direction_NS_24const_host_device_scalarIT0_EES2_PKS2_PKT1_SB_S8_PKT3_PKT4_S6_PT5_21rocsparse_index_base_b
	.p2align	8
	.type	_ZN9rocsparseL20bsrxmvn_17_32_kernelILj31Efii18rocsparse_bfloat16S1_fEEvT2_20rocsparse_direction_NS_24const_host_device_scalarIT0_EES2_PKS2_PKT1_SB_S8_PKT3_PKT4_S6_PT5_21rocsparse_index_base_b,@function
_ZN9rocsparseL20bsrxmvn_17_32_kernelILj31Efii18rocsparse_bfloat16S1_fEEvT2_20rocsparse_direction_NS_24const_host_device_scalarIT0_EES2_PKS2_PKT1_SB_S8_PKT3_PKT4_S6_PT5_21rocsparse_index_base_b: ; @_ZN9rocsparseL20bsrxmvn_17_32_kernelILj31Efii18rocsparse_bfloat16S1_fEEvT2_20rocsparse_direction_NS_24const_host_device_scalarIT0_EES2_PKS2_PKT1_SB_S8_PKT3_PKT4_S6_PT5_21rocsparse_index_base_b
; %bb.0:
	s_mov_b32 s8, s15
	s_clause 0x2
	s_load_b64 s[14:15], s[0:1], 0x58
	s_load_b64 s[10:11], s[0:1], 0x8
	;; [unrolled: 1-line block ×3, first 2 shown]
	s_waitcnt lgkmcnt(0)
	s_bitcmp1_b32 s15, 0
	s_cselect_b32 s4, -1, 0
	s_delay_alu instid0(SALU_CYCLE_1)
	s_and_b32 vcc_lo, exec_lo, s4
	s_xor_b32 s4, s4, -1
	s_cbranch_vccnz .LBB350_2
; %bb.1:
	s_load_b32 s10, s[10:11], 0x0
.LBB350_2:
	s_and_not1_b32 vcc_lo, exec_lo, s4
	s_cbranch_vccnz .LBB350_4
; %bb.3:
	s_load_b32 s2, s[2:3], 0x0
.LBB350_4:
	s_waitcnt lgkmcnt(0)
	v_cmp_neq_f32_e64 s3, s10, 0
	v_cmp_neq_f32_e64 s4, s2, 1.0
	s_delay_alu instid0(VALU_DEP_1) | instskip(NEXT) | instid1(SALU_CYCLE_1)
	s_or_b32 s3, s3, s4
	s_and_not1_b32 vcc_lo, exec_lo, s3
	s_cbranch_vccnz .LBB350_42
; %bb.5:
	s_clause 0x1
	s_load_b128 s[4:7], s[0:1], 0x18
	s_load_b64 s[12:13], s[0:1], 0x28
	s_waitcnt lgkmcnt(0)
	s_cmp_eq_u64 s[4:5], 0
	s_cbranch_scc1 .LBB350_7
; %bb.6:
	s_ashr_i32 s9, s8, 31
	s_delay_alu instid0(SALU_CYCLE_1) | instskip(NEXT) | instid1(SALU_CYCLE_1)
	s_lshl_b64 s[8:9], s[8:9], 2
	s_add_u32 s4, s4, s8
	s_addc_u32 s5, s5, s9
	s_load_b32 s3, s[4:5], 0x0
	s_waitcnt lgkmcnt(0)
	s_sub_i32 s8, s3, s14
.LBB350_7:
	s_load_b32 s3, s[0:1], 0x4
	v_mul_u32_u24_e32 v1, 0x843, v0
	v_mov_b32_e32 v6, 0
	s_delay_alu instid0(VALU_DEP_2) | instskip(NEXT) | instid1(VALU_DEP_1)
	v_lshrrev_b32_e32 v1, 16, v1
	v_mul_lo_u16 v2, v1, 31
	s_delay_alu instid0(VALU_DEP_1)
	v_sub_nc_u16 v7, v0, v2
	s_waitcnt lgkmcnt(0)
	s_cmp_eq_u32 s3, 1
	s_cselect_b32 vcc_lo, -1, 0
	s_cmp_lg_u32 s3, 1
	s_cselect_b32 s3, -1, 0
	s_ashr_i32 s9, s8, 31
	s_delay_alu instid0(SALU_CYCLE_1) | instskip(NEXT) | instid1(SALU_CYCLE_1)
	s_lshl_b64 s[4:5], s[8:9], 2
	s_add_u32 s6, s6, s4
	s_addc_u32 s7, s7, s5
	s_add_u32 s9, s6, 4
	s_addc_u32 s11, s7, 0
	;; [unrolled: 2-line block ×3, first 2 shown]
	s_cmp_eq_u64 s[12:13], 0
	s_load_b64 s[12:13], s[0:1], 0x50
	s_cselect_b32 s5, s11, s5
	s_cselect_b32 s4, s9, s4
	s_load_b32 s9, s[6:7], 0x0
	s_load_b32 s11, s[4:5], 0x0
	s_waitcnt lgkmcnt(0)
	s_cmp_ge_i32 s9, s11
	s_cbranch_scc1 .LBB350_12
; %bb.8:
	s_clause 0x1
	s_load_b128 s[4:7], s[0:1], 0x30
	s_load_b64 s[16:17], s[0:1], 0x40
	v_dual_mov_b32 v6, 0 :: v_dual_and_b32 v1, 0xffff, v1
	v_cmp_gt_u32_e64 s0, 0x3c1, v0
	v_and_b32_e32 v3, 0xffff, v7
	s_sub_i32 s9, s9, s14
	s_delay_alu instid0(VALU_DEP_3) | instskip(SKIP_2) | instid1(VALU_DEP_1)
	v_subrev_nc_u32_e32 v2, 31, v1
	s_sub_i32 s1, s11, s14
	s_mul_i32 s11, s9, 0x782
	v_cndmask_b32_e64 v1, v2, v1, s0
	v_lshlrev_b32_e32 v2, 1, v0
	s_mul_hi_i32 s0, s9, 0x782
	s_delay_alu instid0(VALU_DEP_2)
	v_cndmask_b32_e32 v1, v3, v1, vcc_lo
	v_cmp_lt_u32_e32 vcc_lo, 0x3c0, v0
	s_waitcnt lgkmcnt(0)
	s_add_u32 s6, s6, s11
	s_addc_u32 s0, s7, s0
	v_add_co_u32 v2, s6, s6, v2
	s_delay_alu instid0(VALU_DEP_1)
	v_add_co_ci_u32_e64 v3, null, s0, 0, s6
	v_cndmask_b32_e64 v8, 0, 1, vcc_lo
	s_set_inst_prefetch_distance 0x1
	s_branch .LBB350_10
	.p2align	6
.LBB350_9:                              ;   in Loop: Header=BB350_10 Depth=1
	s_or_b32 exec_lo, exec_lo, s0
	s_add_i32 s9, s9, 1
	s_delay_alu instid0(SALU_CYCLE_1)
	s_cmp_lt_i32 s9, s1
	s_cbranch_scc0 .LBB350_12
.LBB350_10:                             ; =>This Inner Loop Header: Depth=1
	s_delay_alu instid0(VALU_DEP_1) | instskip(SKIP_1) | instid1(VALU_DEP_1)
	v_add_nc_u32_e32 v4, s9, v8
	s_mov_b32 s0, exec_lo
	v_cmpx_gt_i32_e64 s1, v4
	s_cbranch_execz .LBB350_9
; %bb.11:                               ;   in Loop: Header=BB350_10 Depth=1
	v_ashrrev_i32_e32 v5, 31, v4
	s_delay_alu instid0(VALU_DEP_1) | instskip(NEXT) | instid1(VALU_DEP_1)
	v_lshlrev_b64 v[4:5], 2, v[4:5]
	v_add_co_u32 v4, vcc_lo, s4, v4
	s_delay_alu instid0(VALU_DEP_2) | instskip(SKIP_3) | instid1(VALU_DEP_1)
	v_add_co_ci_u32_e32 v5, vcc_lo, s5, v5, vcc_lo
	global_load_b32 v4, v[4:5], off
	s_waitcnt vmcnt(0)
	v_subrev_nc_u32_e32 v9, s14, v4
	v_mad_u64_u32 v[4:5], null, v9, 31, v[1:2]
	s_delay_alu instid0(VALU_DEP_1) | instskip(NEXT) | instid1(VALU_DEP_1)
	v_ashrrev_i32_e32 v5, 31, v4
	v_lshlrev_b64 v[4:5], 1, v[4:5]
	s_delay_alu instid0(VALU_DEP_1) | instskip(NEXT) | instid1(VALU_DEP_2)
	v_add_co_u32 v4, vcc_lo, s16, v4
	v_add_co_ci_u32_e32 v5, vcc_lo, s17, v5, vcc_lo
	global_load_u16 v9, v[2:3], off
	global_load_u16 v4, v[4:5], off
	v_add_co_u32 v2, vcc_lo, 0x782, v2
	v_add_co_ci_u32_e32 v3, vcc_lo, 0, v3, vcc_lo
	s_waitcnt vmcnt(1)
	v_lshlrev_b32_e32 v5, 16, v9
	s_waitcnt vmcnt(0)
	v_lshlrev_b32_e32 v4, 16, v4
	s_delay_alu instid0(VALU_DEP_1)
	v_fmac_f32_e32 v6, v5, v4
	s_branch .LBB350_9
.LBB350_12:
	s_set_inst_prefetch_distance 0x2
	v_lshlrev_b32_e32 v1, 2, v0
	s_and_b32 vcc_lo, exec_lo, s3
	ds_store_b32 v1, v6
	s_waitcnt lgkmcnt(0)
	s_barrier
	buffer_gl0_inv
	s_cbranch_vccz .LBB350_24
; %bb.13:
	s_mov_b32 s0, exec_lo
	v_cmpx_gt_u16_e32 15, v7
	s_cbranch_execz .LBB350_15
; %bb.14:
	ds_load_2addr_b32 v[2:3], v1 offset1:16
	s_waitcnt lgkmcnt(0)
	v_add_f32_e32 v2, v3, v2
	ds_store_b32 v1, v2
.LBB350_15:
	s_or_b32 exec_lo, exec_lo, s0
	s_delay_alu instid0(SALU_CYCLE_1)
	s_mov_b32 s0, exec_lo
	s_waitcnt lgkmcnt(0)
	s_barrier
	buffer_gl0_inv
	v_cmpx_gt_u16_e32 8, v7
	s_cbranch_execz .LBB350_17
; %bb.16:
	ds_load_2addr_b32 v[2:3], v1 offset1:8
	s_waitcnt lgkmcnt(0)
	v_add_f32_e32 v2, v3, v2
	ds_store_b32 v1, v2
.LBB350_17:
	s_or_b32 exec_lo, exec_lo, s0
	s_delay_alu instid0(SALU_CYCLE_1)
	s_mov_b32 s0, exec_lo
	s_waitcnt lgkmcnt(0)
	s_barrier
	buffer_gl0_inv
	;; [unrolled: 14-line block ×3, first 2 shown]
	v_cmpx_gt_u16_e32 2, v7
	s_cbranch_execz .LBB350_21
; %bb.20:
	ds_load_2addr_b32 v[2:3], v1 offset1:2
	s_waitcnt lgkmcnt(0)
	v_add_f32_e32 v2, v3, v2
	ds_store_b32 v1, v2
.LBB350_21:
	s_or_b32 exec_lo, exec_lo, s0
	s_mov_b32 s1, 0
	s_mov_b32 s0, 0
	s_mov_b32 s3, exec_lo
	s_waitcnt lgkmcnt(0)
	s_barrier
	buffer_gl0_inv
                                        ; implicit-def: $vgpr2
                                        ; implicit-def: $vgpr3
	v_cmpx_gt_u32_e32 31, v0
	s_xor_b32 s3, exec_lo, s3
; %bb.22:
	v_mad_u32_u24 v2, v0, 31, 1
	v_mad_u32_u24 v3, 0x78, v0, v1
	s_mov_b32 s0, exec_lo
; %bb.23:
	s_or_b32 exec_lo, exec_lo, s3
	s_delay_alu instid0(SALU_CYCLE_1)
	s_and_b32 vcc_lo, exec_lo, s1
	s_cbranch_vccnz .LBB350_25
	s_branch .LBB350_36
.LBB350_24:
	s_mov_b32 s0, 0
                                        ; implicit-def: $vgpr2
                                        ; implicit-def: $vgpr3
	s_cbranch_execz .LBB350_36
.LBB350_25:
	s_mov_b32 s1, exec_lo
	v_cmpx_gt_u32_e32 0x1d1, v0
	s_cbranch_execz .LBB350_27
; %bb.26:
	ds_load_b32 v2, v1 offset:1984
	ds_load_b32 v3, v1
	s_waitcnt lgkmcnt(0)
	v_add_f32_e32 v2, v2, v3
	ds_store_b32 v1, v2
.LBB350_27:
	s_or_b32 exec_lo, exec_lo, s1
	s_delay_alu instid0(SALU_CYCLE_1)
	s_mov_b32 s1, exec_lo
	s_waitcnt lgkmcnt(0)
	s_barrier
	buffer_gl0_inv
	v_cmpx_gt_u32_e32 0xf8, v0
	s_cbranch_execz .LBB350_29
; %bb.28:
	ds_load_2addr_b32 v[2:3], v1 offset1:248
	s_waitcnt lgkmcnt(0)
	v_add_f32_e32 v2, v3, v2
	ds_store_b32 v1, v2
.LBB350_29:
	s_or_b32 exec_lo, exec_lo, s1
	s_delay_alu instid0(SALU_CYCLE_1)
	s_mov_b32 s1, exec_lo
	s_waitcnt lgkmcnt(0)
	s_barrier
	buffer_gl0_inv
	v_cmpx_gt_u32_e32 0x7c, v0
	s_cbranch_execz .LBB350_31
; %bb.30:
	ds_load_2addr_b32 v[2:3], v1 offset1:124
	s_waitcnt lgkmcnt(0)
	v_add_f32_e32 v2, v3, v2
	ds_store_b32 v1, v2
.LBB350_31:
	;; [unrolled: 14-line block ×3, first 2 shown]
	s_or_b32 exec_lo, exec_lo, s1
	s_delay_alu instid0(SALU_CYCLE_1)
	s_mov_b32 s1, exec_lo
	s_waitcnt lgkmcnt(0)
	buffer_gl0_inv
                                        ; implicit-def: $vgpr2
	v_cmpx_gt_u32_e32 31, v0
; %bb.34:
	v_add_nc_u32_e32 v2, 31, v0
	s_or_b32 s0, s0, exec_lo
                                        ; implicit-def: $vgpr6
; %bb.35:
	s_or_b32 exec_lo, exec_lo, s1
	v_mov_b32_e32 v3, v1
.LBB350_36:
	s_and_saveexec_b32 s1, s0
	s_cbranch_execz .LBB350_38
; %bb.37:
	v_lshlrev_b32_e32 v1, 2, v2
	ds_load_b32 v2, v3
	ds_load_b32 v1, v1
	s_waitcnt lgkmcnt(0)
	v_add_f32_e32 v6, v2, v1
.LBB350_38:
	s_or_b32 exec_lo, exec_lo, s1
	s_delay_alu instid0(SALU_CYCLE_1)
	s_mov_b32 s0, exec_lo
	v_cmpx_gt_u32_e32 31, v0
	s_cbranch_execz .LBB350_42
; %bb.39:
	v_cmp_eq_f32_e64 s0, s2, 0
	v_mul_f32_e32 v1, s10, v6
	s_delay_alu instid0(VALU_DEP_2)
	s_and_b32 vcc_lo, exec_lo, s0
	s_mov_b32 s0, 0
	s_cbranch_vccz .LBB350_43
; %bb.40:
	s_delay_alu instid0(VALU_DEP_1) | instskip(SKIP_1) | instid1(VALU_DEP_1)
	v_mad_u64_u32 v[2:3], null, s8, 31, v[0:1]
	v_mov_b32_e32 v3, 0
	v_lshlrev_b64 v[2:3], 2, v[2:3]
	s_delay_alu instid0(VALU_DEP_1) | instskip(NEXT) | instid1(VALU_DEP_2)
	v_add_co_u32 v2, vcc_lo, s12, v2
	v_add_co_ci_u32_e32 v3, vcc_lo, s13, v3, vcc_lo
	global_store_b32 v[2:3], v1, off
	s_and_not1_b32 vcc_lo, exec_lo, s0
	s_cbranch_vccnz .LBB350_42
.LBB350_41:
	v_mad_u64_u32 v[2:3], null, s8, 31, v[0:1]
	v_mov_b32_e32 v3, 0
	s_delay_alu instid0(VALU_DEP_1) | instskip(NEXT) | instid1(VALU_DEP_1)
	v_lshlrev_b64 v[2:3], 2, v[2:3]
	v_add_co_u32 v2, vcc_lo, s12, v2
	s_delay_alu instid0(VALU_DEP_2)
	v_add_co_ci_u32_e32 v3, vcc_lo, s13, v3, vcc_lo
	global_load_b32 v0, v[2:3], off
	s_waitcnt vmcnt(0)
	v_fmac_f32_e32 v1, s2, v0
	global_store_b32 v[2:3], v1, off
.LBB350_42:
	s_nop 0
	s_sendmsg sendmsg(MSG_DEALLOC_VGPRS)
	s_endpgm
.LBB350_43:
	s_branch .LBB350_41
	.section	.rodata,"a",@progbits
	.p2align	6, 0x0
	.amdhsa_kernel _ZN9rocsparseL20bsrxmvn_17_32_kernelILj31Efii18rocsparse_bfloat16S1_fEEvT2_20rocsparse_direction_NS_24const_host_device_scalarIT0_EES2_PKS2_PKT1_SB_S8_PKT3_PKT4_S6_PT5_21rocsparse_index_base_b
		.amdhsa_group_segment_fixed_size 3844
		.amdhsa_private_segment_fixed_size 0
		.amdhsa_kernarg_size 96
		.amdhsa_user_sgpr_count 15
		.amdhsa_user_sgpr_dispatch_ptr 0
		.amdhsa_user_sgpr_queue_ptr 0
		.amdhsa_user_sgpr_kernarg_segment_ptr 1
		.amdhsa_user_sgpr_dispatch_id 0
		.amdhsa_user_sgpr_private_segment_size 0
		.amdhsa_wavefront_size32 1
		.amdhsa_uses_dynamic_stack 0
		.amdhsa_enable_private_segment 0
		.amdhsa_system_sgpr_workgroup_id_x 1
		.amdhsa_system_sgpr_workgroup_id_y 0
		.amdhsa_system_sgpr_workgroup_id_z 0
		.amdhsa_system_sgpr_workgroup_info 0
		.amdhsa_system_vgpr_workitem_id 0
		.amdhsa_next_free_vgpr 10
		.amdhsa_next_free_sgpr 18
		.amdhsa_reserve_vcc 1
		.amdhsa_float_round_mode_32 0
		.amdhsa_float_round_mode_16_64 0
		.amdhsa_float_denorm_mode_32 3
		.amdhsa_float_denorm_mode_16_64 3
		.amdhsa_dx10_clamp 1
		.amdhsa_ieee_mode 1
		.amdhsa_fp16_overflow 0
		.amdhsa_workgroup_processor_mode 1
		.amdhsa_memory_ordered 1
		.amdhsa_forward_progress 0
		.amdhsa_shared_vgpr_count 0
		.amdhsa_exception_fp_ieee_invalid_op 0
		.amdhsa_exception_fp_denorm_src 0
		.amdhsa_exception_fp_ieee_div_zero 0
		.amdhsa_exception_fp_ieee_overflow 0
		.amdhsa_exception_fp_ieee_underflow 0
		.amdhsa_exception_fp_ieee_inexact 0
		.amdhsa_exception_int_div_zero 0
	.end_amdhsa_kernel
	.section	.text._ZN9rocsparseL20bsrxmvn_17_32_kernelILj31Efii18rocsparse_bfloat16S1_fEEvT2_20rocsparse_direction_NS_24const_host_device_scalarIT0_EES2_PKS2_PKT1_SB_S8_PKT3_PKT4_S6_PT5_21rocsparse_index_base_b,"axG",@progbits,_ZN9rocsparseL20bsrxmvn_17_32_kernelILj31Efii18rocsparse_bfloat16S1_fEEvT2_20rocsparse_direction_NS_24const_host_device_scalarIT0_EES2_PKS2_PKT1_SB_S8_PKT3_PKT4_S6_PT5_21rocsparse_index_base_b,comdat
.Lfunc_end350:
	.size	_ZN9rocsparseL20bsrxmvn_17_32_kernelILj31Efii18rocsparse_bfloat16S1_fEEvT2_20rocsparse_direction_NS_24const_host_device_scalarIT0_EES2_PKS2_PKT1_SB_S8_PKT3_PKT4_S6_PT5_21rocsparse_index_base_b, .Lfunc_end350-_ZN9rocsparseL20bsrxmvn_17_32_kernelILj31Efii18rocsparse_bfloat16S1_fEEvT2_20rocsparse_direction_NS_24const_host_device_scalarIT0_EES2_PKS2_PKT1_SB_S8_PKT3_PKT4_S6_PT5_21rocsparse_index_base_b
                                        ; -- End function
	.section	.AMDGPU.csdata,"",@progbits
; Kernel info:
; codeLenInByte = 1540
; NumSgprs: 20
; NumVgprs: 10
; ScratchSize: 0
; MemoryBound: 0
; FloatMode: 240
; IeeeMode: 1
; LDSByteSize: 3844 bytes/workgroup (compile time only)
; SGPRBlocks: 2
; VGPRBlocks: 1
; NumSGPRsForWavesPerEU: 20
; NumVGPRsForWavesPerEU: 10
; Occupancy: 16
; WaveLimiterHint : 1
; COMPUTE_PGM_RSRC2:SCRATCH_EN: 0
; COMPUTE_PGM_RSRC2:USER_SGPR: 15
; COMPUTE_PGM_RSRC2:TRAP_HANDLER: 0
; COMPUTE_PGM_RSRC2:TGID_X_EN: 1
; COMPUTE_PGM_RSRC2:TGID_Y_EN: 0
; COMPUTE_PGM_RSRC2:TGID_Z_EN: 0
; COMPUTE_PGM_RSRC2:TIDIG_COMP_CNT: 0
	.section	.text._ZN9rocsparseL20bsrxmvn_17_32_kernelILj32Efii18rocsparse_bfloat16S1_fEEvT2_20rocsparse_direction_NS_24const_host_device_scalarIT0_EES2_PKS2_PKT1_SB_S8_PKT3_PKT4_S6_PT5_21rocsparse_index_base_b,"axG",@progbits,_ZN9rocsparseL20bsrxmvn_17_32_kernelILj32Efii18rocsparse_bfloat16S1_fEEvT2_20rocsparse_direction_NS_24const_host_device_scalarIT0_EES2_PKS2_PKT1_SB_S8_PKT3_PKT4_S6_PT5_21rocsparse_index_base_b,comdat
	.globl	_ZN9rocsparseL20bsrxmvn_17_32_kernelILj32Efii18rocsparse_bfloat16S1_fEEvT2_20rocsparse_direction_NS_24const_host_device_scalarIT0_EES2_PKS2_PKT1_SB_S8_PKT3_PKT4_S6_PT5_21rocsparse_index_base_b ; -- Begin function _ZN9rocsparseL20bsrxmvn_17_32_kernelILj32Efii18rocsparse_bfloat16S1_fEEvT2_20rocsparse_direction_NS_24const_host_device_scalarIT0_EES2_PKS2_PKT1_SB_S8_PKT3_PKT4_S6_PT5_21rocsparse_index_base_b
	.p2align	8
	.type	_ZN9rocsparseL20bsrxmvn_17_32_kernelILj32Efii18rocsparse_bfloat16S1_fEEvT2_20rocsparse_direction_NS_24const_host_device_scalarIT0_EES2_PKS2_PKT1_SB_S8_PKT3_PKT4_S6_PT5_21rocsparse_index_base_b,@function
_ZN9rocsparseL20bsrxmvn_17_32_kernelILj32Efii18rocsparse_bfloat16S1_fEEvT2_20rocsparse_direction_NS_24const_host_device_scalarIT0_EES2_PKS2_PKT1_SB_S8_PKT3_PKT4_S6_PT5_21rocsparse_index_base_b: ; @_ZN9rocsparseL20bsrxmvn_17_32_kernelILj32Efii18rocsparse_bfloat16S1_fEEvT2_20rocsparse_direction_NS_24const_host_device_scalarIT0_EES2_PKS2_PKT1_SB_S8_PKT3_PKT4_S6_PT5_21rocsparse_index_base_b
; %bb.0:
	s_clause 0x2
	s_load_b64 s[12:13], s[0:1], 0x58
	s_load_b64 s[10:11], s[0:1], 0x8
	;; [unrolled: 1-line block ×3, first 2 shown]
	s_mov_b32 s8, s15
	s_waitcnt lgkmcnt(0)
	s_bitcmp1_b32 s13, 0
	s_cselect_b32 s4, -1, 0
	s_delay_alu instid0(SALU_CYCLE_1)
	s_and_b32 vcc_lo, exec_lo, s4
	s_xor_b32 s4, s4, -1
	s_cbranch_vccnz .LBB351_2
; %bb.1:
	s_load_b32 s10, s[10:11], 0x0
.LBB351_2:
	s_and_not1_b32 vcc_lo, exec_lo, s4
	s_cbranch_vccnz .LBB351_4
; %bb.3:
	s_load_b32 s2, s[2:3], 0x0
.LBB351_4:
	s_waitcnt lgkmcnt(0)
	v_cmp_neq_f32_e64 s3, s10, 0
	v_cmp_neq_f32_e64 s4, s2, 1.0
	s_delay_alu instid0(VALU_DEP_1) | instskip(NEXT) | instid1(SALU_CYCLE_1)
	s_or_b32 s3, s3, s4
	s_and_not1_b32 vcc_lo, exec_lo, s3
	s_cbranch_vccnz .LBB351_40
; %bb.5:
	s_clause 0x1
	s_load_b128 s[4:7], s[0:1], 0x18
	s_load_b64 s[14:15], s[0:1], 0x28
	s_waitcnt lgkmcnt(0)
	s_cmp_eq_u64 s[4:5], 0
	s_cbranch_scc1 .LBB351_7
; %bb.6:
	s_ashr_i32 s9, s8, 31
	s_delay_alu instid0(SALU_CYCLE_1) | instskip(NEXT) | instid1(SALU_CYCLE_1)
	s_lshl_b64 s[8:9], s[8:9], 2
	s_add_u32 s4, s4, s8
	s_addc_u32 s5, s5, s9
	s_load_b32 s3, s[4:5], 0x0
	s_waitcnt lgkmcnt(0)
	s_sub_i32 s8, s3, s12
.LBB351_7:
	s_load_b32 s3, s[0:1], 0x4
	v_dual_mov_b32 v3, 0 :: v_dual_and_b32 v4, 31, v0
	s_waitcnt lgkmcnt(0)
	s_cmp_eq_u32 s3, 1
	s_cselect_b32 vcc_lo, -1, 0
	s_cmp_lg_u32 s3, 1
	s_cselect_b32 s3, -1, 0
	s_ashr_i32 s9, s8, 31
	s_delay_alu instid0(SALU_CYCLE_1) | instskip(NEXT) | instid1(SALU_CYCLE_1)
	s_lshl_b64 s[4:5], s[8:9], 2
	s_add_u32 s6, s6, s4
	s_addc_u32 s7, s7, s5
	s_add_u32 s9, s6, 4
	s_addc_u32 s11, s7, 0
	;; [unrolled: 2-line block ×3, first 2 shown]
	s_cmp_eq_u64 s[14:15], 0
	s_cselect_b32 s5, s11, s5
	s_cselect_b32 s4, s9, s4
	s_load_b32 s6, s[6:7], 0x0
	s_load_b32 s9, s[4:5], 0x0
	s_load_b64 s[4:5], s[0:1], 0x50
	s_waitcnt lgkmcnt(0)
	s_cmp_ge_i32 s6, s9
	s_cbranch_scc1 .LBB351_10
; %bb.8:
	s_clause 0x1
	s_load_b128 s[16:19], s[0:1], 0x30
	s_load_b64 s[0:1], s[0:1], 0x40
	s_sub_i32 s6, s6, s12
	v_lshrrev_b32_e32 v1, 5, v0
	s_ashr_i32 s7, s6, 31
	s_delay_alu instid0(SALU_CYCLE_1)
	s_lshl_b64 s[14:15], s[6:7], 11
	s_lshl_b64 s[20:21], s[6:7], 2
	v_lshl_or_b32 v2, v0, 1, s14
	v_mov_b32_e32 v3, s15
	v_cndmask_b32_e32 v5, v4, v1, vcc_lo
	s_sub_i32 s7, s9, s12
	s_waitcnt lgkmcnt(0)
	v_add_co_u32 v1, vcc_lo, s18, v2
	v_add_co_ci_u32_e32 v2, vcc_lo, s19, v3, vcc_lo
	v_mov_b32_e32 v3, 0
	s_add_u32 s14, s16, s20
	s_addc_u32 s15, s17, s21
	.p2align	6
.LBB351_9:                              ; =>This Inner Loop Header: Depth=1
	s_load_b32 s9, s[14:15], 0x0
	s_add_i32 s6, s6, 1
	s_waitcnt lgkmcnt(0)
	s_sub_i32 s9, s9, s12
	s_add_u32 s14, s14, 4
	v_lshl_or_b32 v6, s9, 5, v5
	s_addc_u32 s15, s15, 0
	s_cmp_lt_i32 s6, s7
	s_delay_alu instid0(VALU_DEP_1) | instskip(NEXT) | instid1(VALU_DEP_1)
	v_ashrrev_i32_e32 v7, 31, v6
	v_lshlrev_b64 v[6:7], 1, v[6:7]
	s_delay_alu instid0(VALU_DEP_1) | instskip(NEXT) | instid1(VALU_DEP_2)
	v_add_co_u32 v6, vcc_lo, s0, v6
	v_add_co_ci_u32_e32 v7, vcc_lo, s1, v7, vcc_lo
	global_load_u16 v8, v[1:2], off
	global_load_u16 v6, v[6:7], off
	v_add_co_u32 v1, vcc_lo, 0x800, v1
	v_add_co_ci_u32_e32 v2, vcc_lo, 0, v2, vcc_lo
	s_waitcnt vmcnt(1)
	v_lshlrev_b32_e32 v7, 16, v8
	s_waitcnt vmcnt(0)
	v_lshlrev_b32_e32 v6, 16, v6
	s_delay_alu instid0(VALU_DEP_1)
	v_fmac_f32_e32 v3, v7, v6
	s_cbranch_scc1 .LBB351_9
.LBB351_10:
	v_lshlrev_b32_e32 v1, 2, v0
	s_and_b32 vcc_lo, exec_lo, s3
	ds_store_b32 v1, v3
	s_waitcnt lgkmcnt(0)
	s_barrier
	buffer_gl0_inv
	s_cbranch_vccz .LBB351_22
; %bb.11:
	s_mov_b32 s0, exec_lo
	v_cmpx_gt_u32_e32 16, v4
	s_cbranch_execz .LBB351_13
; %bb.12:
	ds_load_2addr_b32 v[5:6], v1 offset1:16
	s_waitcnt lgkmcnt(0)
	v_add_f32_e32 v2, v6, v5
	ds_store_b32 v1, v2
.LBB351_13:
	s_or_b32 exec_lo, exec_lo, s0
	s_delay_alu instid0(SALU_CYCLE_1)
	s_mov_b32 s0, exec_lo
	s_waitcnt lgkmcnt(0)
	s_barrier
	buffer_gl0_inv
	v_cmpx_gt_u32_e32 8, v4
	s_cbranch_execz .LBB351_15
; %bb.14:
	ds_load_2addr_b32 v[5:6], v1 offset1:8
	s_waitcnt lgkmcnt(0)
	v_add_f32_e32 v2, v6, v5
	ds_store_b32 v1, v2
.LBB351_15:
	s_or_b32 exec_lo, exec_lo, s0
	s_delay_alu instid0(SALU_CYCLE_1)
	s_mov_b32 s0, exec_lo
	s_waitcnt lgkmcnt(0)
	s_barrier
	buffer_gl0_inv
	;; [unrolled: 14-line block ×3, first 2 shown]
	v_cmpx_gt_u32_e32 2, v4
	s_cbranch_execz .LBB351_19
; %bb.18:
	ds_load_2addr_b32 v[4:5], v1 offset1:2
	s_waitcnt lgkmcnt(0)
	v_add_f32_e32 v2, v5, v4
	ds_store_b32 v1, v2
.LBB351_19:
	s_or_b32 exec_lo, exec_lo, s0
	s_mov_b32 s1, 0
	s_mov_b32 s0, 0
	s_mov_b32 s3, exec_lo
	s_waitcnt lgkmcnt(0)
	s_barrier
	buffer_gl0_inv
                                        ; implicit-def: $vgpr2
                                        ; implicit-def: $vgpr4
	v_cmpx_gt_u32_e32 32, v0
	s_xor_b32 s3, exec_lo, s3
; %bb.20:
	v_lshl_or_b32 v2, v0, 5, 1
	v_mad_u32_u24 v4, 0x7c, v0, v1
	s_mov_b32 s0, exec_lo
; %bb.21:
	s_or_b32 exec_lo, exec_lo, s3
	s_delay_alu instid0(SALU_CYCLE_1)
	s_and_b32 vcc_lo, exec_lo, s1
	s_cbranch_vccnz .LBB351_23
	s_branch .LBB351_34
.LBB351_22:
	s_mov_b32 s0, 0
                                        ; implicit-def: $vgpr2
                                        ; implicit-def: $vgpr4
	s_cbranch_execz .LBB351_34
.LBB351_23:
	s_mov_b32 s1, exec_lo
	v_cmpx_gt_u32_e32 0x200, v0
	s_cbranch_execz .LBB351_25
; %bb.24:
	ds_load_2addr_stride64_b32 v[4:5], v1 offset1:8
	s_waitcnt lgkmcnt(0)
	v_add_f32_e32 v2, v5, v4
	ds_store_b32 v1, v2
.LBB351_25:
	s_or_b32 exec_lo, exec_lo, s1
	s_delay_alu instid0(SALU_CYCLE_1)
	s_mov_b32 s1, exec_lo
	s_waitcnt lgkmcnt(0)
	s_barrier
	buffer_gl0_inv
	v_cmpx_gt_u32_e32 0x100, v0
	s_cbranch_execz .LBB351_27
; %bb.26:
	ds_load_2addr_stride64_b32 v[4:5], v1 offset1:4
	s_waitcnt lgkmcnt(0)
	v_add_f32_e32 v2, v5, v4
	ds_store_b32 v1, v2
.LBB351_27:
	s_or_b32 exec_lo, exec_lo, s1
	s_delay_alu instid0(SALU_CYCLE_1)
	s_mov_b32 s1, exec_lo
	s_waitcnt lgkmcnt(0)
	s_barrier
	buffer_gl0_inv
	v_cmpx_gt_u32_e32 0x80, v0
	s_cbranch_execz .LBB351_29
; %bb.28:
	ds_load_2addr_stride64_b32 v[4:5], v1 offset1:2
	s_waitcnt lgkmcnt(0)
	v_add_f32_e32 v2, v5, v4
	ds_store_b32 v1, v2
.LBB351_29:
	s_or_b32 exec_lo, exec_lo, s1
	s_delay_alu instid0(SALU_CYCLE_1)
	s_mov_b32 s1, exec_lo
	s_waitcnt lgkmcnt(0)
	s_barrier
	buffer_gl0_inv
	v_cmpx_gt_u32_e32 64, v0
	s_cbranch_execz .LBB351_31
; %bb.30:
	ds_load_2addr_stride64_b32 v[4:5], v1 offset1:1
	s_waitcnt lgkmcnt(0)
	v_add_f32_e32 v2, v5, v4
	ds_store_b32 v1, v2
.LBB351_31:
	s_or_b32 exec_lo, exec_lo, s1
	s_delay_alu instid0(SALU_CYCLE_1)
	s_mov_b32 s1, exec_lo
	s_waitcnt lgkmcnt(0)
	buffer_gl0_inv
                                        ; implicit-def: $vgpr2
	v_cmpx_gt_u32_e32 32, v0
; %bb.32:
	v_or_b32_e32 v2, 32, v0
	s_or_b32 s0, s0, exec_lo
                                        ; implicit-def: $vgpr3
; %bb.33:
	s_or_b32 exec_lo, exec_lo, s1
	v_mov_b32_e32 v4, v1
.LBB351_34:
	s_and_saveexec_b32 s1, s0
	s_cbranch_execz .LBB351_36
; %bb.35:
	v_lshlrev_b32_e32 v1, 2, v2
	ds_load_b32 v2, v4
	ds_load_b32 v1, v1
	s_waitcnt lgkmcnt(0)
	v_add_f32_e32 v3, v2, v1
.LBB351_36:
	s_or_b32 exec_lo, exec_lo, s1
	s_delay_alu instid0(SALU_CYCLE_1)
	s_mov_b32 s0, exec_lo
	v_cmpx_gt_u32_e32 32, v0
	s_cbranch_execz .LBB351_40
; %bb.37:
	v_cmp_eq_f32_e64 s0, s2, 0
	v_mul_f32_e32 v2, s10, v3
	v_lshl_or_b32 v0, s8, 5, v0
	s_delay_alu instid0(VALU_DEP_3)
	s_and_b32 vcc_lo, exec_lo, s0
	s_mov_b32 s0, 0
	s_cbranch_vccz .LBB351_41
; %bb.38:
	v_mov_b32_e32 v1, 0
	s_delay_alu instid0(VALU_DEP_1) | instskip(NEXT) | instid1(VALU_DEP_1)
	v_lshlrev_b64 v[3:4], 2, v[0:1]
	v_add_co_u32 v3, vcc_lo, s4, v3
	s_delay_alu instid0(VALU_DEP_2)
	v_add_co_ci_u32_e32 v4, vcc_lo, s5, v4, vcc_lo
	global_store_b32 v[3:4], v2, off
	s_and_not1_b32 vcc_lo, exec_lo, s0
	s_cbranch_vccnz .LBB351_40
.LBB351_39:
	v_mov_b32_e32 v1, 0
	s_delay_alu instid0(VALU_DEP_1) | instskip(NEXT) | instid1(VALU_DEP_1)
	v_lshlrev_b64 v[0:1], 2, v[0:1]
	v_add_co_u32 v0, vcc_lo, s4, v0
	s_delay_alu instid0(VALU_DEP_2)
	v_add_co_ci_u32_e32 v1, vcc_lo, s5, v1, vcc_lo
	global_load_b32 v3, v[0:1], off
	s_waitcnt vmcnt(0)
	v_fmac_f32_e32 v2, s2, v3
	global_store_b32 v[0:1], v2, off
.LBB351_40:
	s_nop 0
	s_sendmsg sendmsg(MSG_DEALLOC_VGPRS)
	s_endpgm
.LBB351_41:
	s_branch .LBB351_39
	.section	.rodata,"a",@progbits
	.p2align	6, 0x0
	.amdhsa_kernel _ZN9rocsparseL20bsrxmvn_17_32_kernelILj32Efii18rocsparse_bfloat16S1_fEEvT2_20rocsparse_direction_NS_24const_host_device_scalarIT0_EES2_PKS2_PKT1_SB_S8_PKT3_PKT4_S6_PT5_21rocsparse_index_base_b
		.amdhsa_group_segment_fixed_size 4096
		.amdhsa_private_segment_fixed_size 0
		.amdhsa_kernarg_size 96
		.amdhsa_user_sgpr_count 15
		.amdhsa_user_sgpr_dispatch_ptr 0
		.amdhsa_user_sgpr_queue_ptr 0
		.amdhsa_user_sgpr_kernarg_segment_ptr 1
		.amdhsa_user_sgpr_dispatch_id 0
		.amdhsa_user_sgpr_private_segment_size 0
		.amdhsa_wavefront_size32 1
		.amdhsa_uses_dynamic_stack 0
		.amdhsa_enable_private_segment 0
		.amdhsa_system_sgpr_workgroup_id_x 1
		.amdhsa_system_sgpr_workgroup_id_y 0
		.amdhsa_system_sgpr_workgroup_id_z 0
		.amdhsa_system_sgpr_workgroup_info 0
		.amdhsa_system_vgpr_workitem_id 0
		.amdhsa_next_free_vgpr 9
		.amdhsa_next_free_sgpr 22
		.amdhsa_reserve_vcc 1
		.amdhsa_float_round_mode_32 0
		.amdhsa_float_round_mode_16_64 0
		.amdhsa_float_denorm_mode_32 3
		.amdhsa_float_denorm_mode_16_64 3
		.amdhsa_dx10_clamp 1
		.amdhsa_ieee_mode 1
		.amdhsa_fp16_overflow 0
		.amdhsa_workgroup_processor_mode 1
		.amdhsa_memory_ordered 1
		.amdhsa_forward_progress 0
		.amdhsa_shared_vgpr_count 0
		.amdhsa_exception_fp_ieee_invalid_op 0
		.amdhsa_exception_fp_denorm_src 0
		.amdhsa_exception_fp_ieee_div_zero 0
		.amdhsa_exception_fp_ieee_overflow 0
		.amdhsa_exception_fp_ieee_underflow 0
		.amdhsa_exception_fp_ieee_inexact 0
		.amdhsa_exception_int_div_zero 0
	.end_amdhsa_kernel
	.section	.text._ZN9rocsparseL20bsrxmvn_17_32_kernelILj32Efii18rocsparse_bfloat16S1_fEEvT2_20rocsparse_direction_NS_24const_host_device_scalarIT0_EES2_PKS2_PKT1_SB_S8_PKT3_PKT4_S6_PT5_21rocsparse_index_base_b,"axG",@progbits,_ZN9rocsparseL20bsrxmvn_17_32_kernelILj32Efii18rocsparse_bfloat16S1_fEEvT2_20rocsparse_direction_NS_24const_host_device_scalarIT0_EES2_PKS2_PKT1_SB_S8_PKT3_PKT4_S6_PT5_21rocsparse_index_base_b,comdat
.Lfunc_end351:
	.size	_ZN9rocsparseL20bsrxmvn_17_32_kernelILj32Efii18rocsparse_bfloat16S1_fEEvT2_20rocsparse_direction_NS_24const_host_device_scalarIT0_EES2_PKS2_PKT1_SB_S8_PKT3_PKT4_S6_PT5_21rocsparse_index_base_b, .Lfunc_end351-_ZN9rocsparseL20bsrxmvn_17_32_kernelILj32Efii18rocsparse_bfloat16S1_fEEvT2_20rocsparse_direction_NS_24const_host_device_scalarIT0_EES2_PKS2_PKT1_SB_S8_PKT3_PKT4_S6_PT5_21rocsparse_index_base_b
                                        ; -- End function
	.section	.AMDGPU.csdata,"",@progbits
; Kernel info:
; codeLenInByte = 1360
; NumSgprs: 24
; NumVgprs: 9
; ScratchSize: 0
; MemoryBound: 0
; FloatMode: 240
; IeeeMode: 1
; LDSByteSize: 4096 bytes/workgroup (compile time only)
; SGPRBlocks: 2
; VGPRBlocks: 1
; NumSGPRsForWavesPerEU: 24
; NumVGPRsForWavesPerEU: 9
; Occupancy: 16
; WaveLimiterHint : 1
; COMPUTE_PGM_RSRC2:SCRATCH_EN: 0
; COMPUTE_PGM_RSRC2:USER_SGPR: 15
; COMPUTE_PGM_RSRC2:TRAP_HANDLER: 0
; COMPUTE_PGM_RSRC2:TGID_X_EN: 1
; COMPUTE_PGM_RSRC2:TGID_Y_EN: 0
; COMPUTE_PGM_RSRC2:TGID_Z_EN: 0
; COMPUTE_PGM_RSRC2:TIDIG_COMP_CNT: 0
	.section	.text._ZN9rocsparseL20bsrxmvn_17_32_kernelILj17Efli18rocsparse_bfloat16S1_fEEvT2_20rocsparse_direction_NS_24const_host_device_scalarIT0_EES2_PKS2_PKT1_SB_S8_PKT3_PKT4_S6_PT5_21rocsparse_index_base_b,"axG",@progbits,_ZN9rocsparseL20bsrxmvn_17_32_kernelILj17Efli18rocsparse_bfloat16S1_fEEvT2_20rocsparse_direction_NS_24const_host_device_scalarIT0_EES2_PKS2_PKT1_SB_S8_PKT3_PKT4_S6_PT5_21rocsparse_index_base_b,comdat
	.globl	_ZN9rocsparseL20bsrxmvn_17_32_kernelILj17Efli18rocsparse_bfloat16S1_fEEvT2_20rocsparse_direction_NS_24const_host_device_scalarIT0_EES2_PKS2_PKT1_SB_S8_PKT3_PKT4_S6_PT5_21rocsparse_index_base_b ; -- Begin function _ZN9rocsparseL20bsrxmvn_17_32_kernelILj17Efli18rocsparse_bfloat16S1_fEEvT2_20rocsparse_direction_NS_24const_host_device_scalarIT0_EES2_PKS2_PKT1_SB_S8_PKT3_PKT4_S6_PT5_21rocsparse_index_base_b
	.p2align	8
	.type	_ZN9rocsparseL20bsrxmvn_17_32_kernelILj17Efli18rocsparse_bfloat16S1_fEEvT2_20rocsparse_direction_NS_24const_host_device_scalarIT0_EES2_PKS2_PKT1_SB_S8_PKT3_PKT4_S6_PT5_21rocsparse_index_base_b,@function
_ZN9rocsparseL20bsrxmvn_17_32_kernelILj17Efli18rocsparse_bfloat16S1_fEEvT2_20rocsparse_direction_NS_24const_host_device_scalarIT0_EES2_PKS2_PKT1_SB_S8_PKT3_PKT4_S6_PT5_21rocsparse_index_base_b: ; @_ZN9rocsparseL20bsrxmvn_17_32_kernelILj17Efli18rocsparse_bfloat16S1_fEEvT2_20rocsparse_direction_NS_24const_host_device_scalarIT0_EES2_PKS2_PKT1_SB_S8_PKT3_PKT4_S6_PT5_21rocsparse_index_base_b
; %bb.0:
	s_clause 0x2
	s_load_b64 s[16:17], s[0:1], 0x58
	s_load_b64 s[12:13], s[0:1], 0x8
	;; [unrolled: 1-line block ×3, first 2 shown]
	s_mov_b32 s10, s15
	s_waitcnt lgkmcnt(0)
	s_bitcmp1_b32 s17, 0
	s_cselect_b32 s2, -1, 0
	s_delay_alu instid0(SALU_CYCLE_1)
	s_and_b32 vcc_lo, exec_lo, s2
	s_xor_b32 s2, s2, -1
	s_cbranch_vccnz .LBB352_2
; %bb.1:
	s_load_b32 s12, s[12:13], 0x0
.LBB352_2:
	s_and_not1_b32 vcc_lo, exec_lo, s2
	s_cbranch_vccnz .LBB352_4
; %bb.3:
	s_load_b32 s8, s[8:9], 0x0
.LBB352_4:
	s_waitcnt lgkmcnt(0)
	v_cmp_neq_f32_e64 s2, s12, 0
	v_cmp_neq_f32_e64 s3, s8, 1.0
	s_delay_alu instid0(VALU_DEP_1) | instskip(NEXT) | instid1(SALU_CYCLE_1)
	s_or_b32 s2, s2, s3
	s_and_not1_b32 vcc_lo, exec_lo, s2
	s_cbranch_vccnz .LBB352_42
; %bb.5:
	s_clause 0x1
	s_load_b128 s[4:7], s[0:1], 0x18
	s_load_b64 s[14:15], s[0:1], 0x28
	s_waitcnt lgkmcnt(0)
	s_cmp_eq_u64 s[4:5], 0
	s_cbranch_scc1 .LBB352_7
; %bb.6:
	s_ashr_i32 s11, s10, 31
	s_delay_alu instid0(SALU_CYCLE_1) | instskip(NEXT) | instid1(SALU_CYCLE_1)
	s_lshl_b64 s[2:3], s[10:11], 2
	s_add_u32 s2, s4, s2
	s_addc_u32 s3, s5, s3
	s_load_b32 s2, s[2:3], 0x0
	s_waitcnt lgkmcnt(0)
	s_sub_i32 s10, s2, s16
.LBB352_7:
	s_load_b32 s3, s[0:1], 0x4
	v_mul_u32_u24_e32 v1, 0xf10, v0
	v_mov_b32_e32 v6, 0
	s_delay_alu instid0(VALU_DEP_2) | instskip(NEXT) | instid1(VALU_DEP_1)
	v_lshrrev_b32_e32 v1, 16, v1
	v_mul_lo_u16 v2, v1, 17
	s_delay_alu instid0(VALU_DEP_1)
	v_sub_nc_u16 v7, v0, v2
	s_waitcnt lgkmcnt(0)
	s_cmp_eq_u32 s3, 1
	s_cselect_b32 s2, -1, 0
	s_cmp_lg_u32 s3, 1
	s_cselect_b32 s3, -1, 0
	s_ashr_i32 s11, s10, 31
	s_delay_alu instid0(SALU_CYCLE_1) | instskip(NEXT) | instid1(SALU_CYCLE_1)
	s_lshl_b64 s[4:5], s[10:11], 3
	s_add_u32 s6, s6, s4
	s_addc_u32 s7, s7, s5
	s_add_u32 s9, s6, 8
	s_addc_u32 s11, s7, 0
	;; [unrolled: 2-line block ×3, first 2 shown]
	s_cmp_eq_u64 s[14:15], 0
	s_load_b64 s[14:15], s[0:1], 0x50
	s_cselect_b32 s5, s11, s5
	s_cselect_b32 s4, s9, s4
	s_load_b64 s[22:23], s[6:7], 0x0
	s_load_b64 s[18:19], s[4:5], 0x0
	s_waitcnt lgkmcnt(0)
	v_cmp_ge_i64_e64 s4, s[22:23], s[18:19]
	s_delay_alu instid0(VALU_DEP_1)
	s_and_b32 vcc_lo, exec_lo, s4
	s_cbranch_vccnz .LBB352_12
; %bb.8:
	v_mul_lo_u16 v2, v1, 31
	v_dual_mov_b32 v6, 0 :: v_dual_and_b32 v3, 0xffff, v0
	s_sub_u32 s18, s18, s16
	s_subb_u32 s19, s19, 0
	s_delay_alu instid0(VALU_DEP_2) | instskip(NEXT) | instid1(VALU_DEP_2)
	v_lshrrev_b16 v2, 9, v2
	v_mul_u32_u24_e32 v3, 0xe3, v3
	s_sub_u32 s20, s22, s16
	s_subb_u32 s21, s23, 0
	s_clause 0x1
	s_load_b128 s[4:7], s[0:1], 0x30
	s_load_b64 s[0:1], s[0:1], 0x40
	v_mul_lo_u16 v2, v2, 17
	v_lshrrev_b32_e32 v8, 16, v3
	s_mul_hi_u32 s9, s20, 0x242
	s_mul_i32 s11, s21, 0x242
	v_and_b32_e32 v4, 0xffff, v7
	v_sub_nc_u16 v1, v1, v2
	s_add_i32 s9, s9, s11
	v_add_co_u32 v2, s11, s22, v8
	s_delay_alu instid0(VALU_DEP_1) | instskip(NEXT) | instid1(VALU_DEP_3)
	v_add_co_ci_u32_e64 v3, null, s23, 0, s11
	v_and_b32_e32 v1, 0xff, v1
	s_delay_alu instid0(VALU_DEP_3) | instskip(NEXT) | instid1(VALU_DEP_3)
	v_sub_co_u32 v2, vcc_lo, v2, s16
	v_subrev_co_ci_u32_e32 v3, vcc_lo, 0, v3, vcc_lo
	s_delay_alu instid0(VALU_DEP_3) | instskip(SKIP_2) | instid1(VALU_DEP_3)
	v_cndmask_b32_e64 v1, v4, v1, s2
	v_lshlrev_b32_e32 v9, 1, v0
	s_mul_i32 s13, s20, 0x242
	v_lshlrev_b64 v[4:5], 2, v[2:3]
	s_waitcnt lgkmcnt(0)
	s_add_u32 s2, s6, s13
	s_addc_u32 s6, s7, s9
	v_add_co_u32 v2, s2, s2, v9
	s_delay_alu instid0(VALU_DEP_1)
	v_add_co_ci_u32_e64 v3, null, s6, 0, s2
	v_add_co_u32 v4, vcc_lo, s4, v4
	v_add_co_ci_u32_e32 v5, vcc_lo, s5, v5, vcc_lo
	s_set_inst_prefetch_distance 0x1
	s_branch .LBB352_10
	.p2align	6
.LBB352_9:                              ;   in Loop: Header=BB352_10 Depth=1
	s_or_b32 exec_lo, exec_lo, s2
	s_add_u32 s20, s20, 1
	s_addc_u32 s21, s21, 0
	v_add_co_u32 v4, vcc_lo, v4, 4
	v_cmp_lt_i64_e64 s2, s[20:21], s[18:19]
	v_add_co_ci_u32_e32 v5, vcc_lo, 0, v5, vcc_lo
	s_delay_alu instid0(VALU_DEP_2)
	s_and_b32 vcc_lo, exec_lo, s2
	s_cbranch_vccz .LBB352_12
.LBB352_10:                             ; =>This Inner Loop Header: Depth=1
	v_add_co_u32 v9, s2, v8, s20
	s_delay_alu instid0(VALU_DEP_1) | instskip(SKIP_1) | instid1(VALU_DEP_1)
	v_add_co_ci_u32_e64 v10, null, 0, s21, s2
	s_mov_b32 s2, exec_lo
	v_cmpx_gt_i64_e64 s[18:19], v[9:10]
	s_cbranch_execz .LBB352_9
; %bb.11:                               ;   in Loop: Header=BB352_10 Depth=1
	global_load_b32 v9, v[4:5], off
	s_waitcnt vmcnt(0)
	v_subrev_nc_u32_e32 v11, s16, v9
	s_delay_alu instid0(VALU_DEP_1) | instskip(NEXT) | instid1(VALU_DEP_1)
	v_mad_u64_u32 v[9:10], null, v11, 17, v[1:2]
	v_ashrrev_i32_e32 v10, 31, v9
	s_delay_alu instid0(VALU_DEP_1) | instskip(NEXT) | instid1(VALU_DEP_1)
	v_lshlrev_b64 v[9:10], 1, v[9:10]
	v_add_co_u32 v9, vcc_lo, s0, v9
	s_delay_alu instid0(VALU_DEP_2)
	v_add_co_ci_u32_e32 v10, vcc_lo, s1, v10, vcc_lo
	global_load_u16 v11, v[2:3], off
	global_load_u16 v9, v[9:10], off
	v_add_co_u32 v2, vcc_lo, 0x242, v2
	v_add_co_ci_u32_e32 v3, vcc_lo, 0, v3, vcc_lo
	s_waitcnt vmcnt(1)
	v_lshlrev_b32_e32 v10, 16, v11
	s_waitcnt vmcnt(0)
	v_lshlrev_b32_e32 v9, 16, v9
	s_delay_alu instid0(VALU_DEP_1)
	v_fmac_f32_e32 v6, v10, v9
	s_branch .LBB352_9
.LBB352_12:
	s_set_inst_prefetch_distance 0x2
	v_lshlrev_b32_e32 v1, 2, v0
	s_and_b32 vcc_lo, exec_lo, s3
	ds_store_b32 v1, v6
	s_waitcnt lgkmcnt(0)
	s_barrier
	buffer_gl0_inv
	s_cbranch_vccz .LBB352_24
; %bb.13:
	s_mov_b32 s0, exec_lo
	v_cmpx_eq_u16_e32 0, v7
	s_cbranch_execz .LBB352_15
; %bb.14:
	ds_load_2addr_b32 v[2:3], v1 offset1:16
	s_waitcnt lgkmcnt(0)
	v_add_f32_e32 v2, v3, v2
	ds_store_b32 v1, v2
.LBB352_15:
	s_or_b32 exec_lo, exec_lo, s0
	s_delay_alu instid0(SALU_CYCLE_1)
	s_mov_b32 s0, exec_lo
	s_waitcnt lgkmcnt(0)
	s_barrier
	buffer_gl0_inv
	v_cmpx_gt_u16_e32 8, v7
	s_cbranch_execz .LBB352_17
; %bb.16:
	ds_load_2addr_b32 v[2:3], v1 offset1:8
	s_waitcnt lgkmcnt(0)
	v_add_f32_e32 v2, v3, v2
	ds_store_b32 v1, v2
.LBB352_17:
	s_or_b32 exec_lo, exec_lo, s0
	s_delay_alu instid0(SALU_CYCLE_1)
	s_mov_b32 s0, exec_lo
	s_waitcnt lgkmcnt(0)
	s_barrier
	buffer_gl0_inv
	v_cmpx_gt_u16_e32 4, v7
	;; [unrolled: 14-line block ×3, first 2 shown]
	s_cbranch_execz .LBB352_21
; %bb.20:
	ds_load_2addr_b32 v[2:3], v1 offset1:2
	s_waitcnt lgkmcnt(0)
	v_add_f32_e32 v2, v3, v2
	ds_store_b32 v1, v2
.LBB352_21:
	s_or_b32 exec_lo, exec_lo, s0
	s_mov_b32 s0, 0
	s_mov_b32 s1, 0
	s_mov_b32 s2, exec_lo
	s_waitcnt lgkmcnt(0)
	s_barrier
	buffer_gl0_inv
                                        ; implicit-def: $vgpr2
                                        ; implicit-def: $vgpr3
	v_cmpx_gt_u32_e32 17, v0
	s_xor_b32 s2, exec_lo, s2
; %bb.22:
	v_mad_u32_u24 v2, v0, 17, 1
	v_lshl_add_u32 v3, v0, 6, v1
	s_mov_b32 s1, exec_lo
; %bb.23:
	s_or_b32 exec_lo, exec_lo, s2
	s_delay_alu instid0(SALU_CYCLE_1)
	s_and_b32 vcc_lo, exec_lo, s0
	v_cmp_gt_u32_e64 s0, 17, v0
	s_cbranch_vccnz .LBB352_25
	s_branch .LBB352_36
.LBB352_24:
	s_mov_b32 s1, 0
                                        ; implicit-def: $vgpr2
                                        ; implicit-def: $vgpr3
	v_cmp_gt_u32_e64 s0, 17, v0
	s_cbranch_execz .LBB352_36
.LBB352_25:
	s_delay_alu instid0(VALU_DEP_1)
	s_and_saveexec_b32 s2, s0
	s_cbranch_execz .LBB352_27
; %bb.26:
	ds_load_b32 v2, v1 offset:1088
	ds_load_b32 v3, v1
	s_waitcnt lgkmcnt(0)
	v_add_f32_e32 v2, v2, v3
	ds_store_b32 v1, v2
.LBB352_27:
	s_or_b32 exec_lo, exec_lo, s2
	s_delay_alu instid0(SALU_CYCLE_1)
	s_mov_b32 s2, exec_lo
	s_waitcnt lgkmcnt(0)
	s_barrier
	buffer_gl0_inv
	v_cmpx_gt_u32_e32 0x88, v0
	s_cbranch_execz .LBB352_29
; %bb.28:
	ds_load_2addr_b32 v[2:3], v1 offset1:136
	s_waitcnt lgkmcnt(0)
	v_add_f32_e32 v2, v3, v2
	ds_store_b32 v1, v2
.LBB352_29:
	s_or_b32 exec_lo, exec_lo, s2
	s_delay_alu instid0(SALU_CYCLE_1)
	s_mov_b32 s2, exec_lo
	s_waitcnt lgkmcnt(0)
	s_barrier
	buffer_gl0_inv
	v_cmpx_gt_u32_e32 0x44, v0
	s_cbranch_execz .LBB352_31
; %bb.30:
	ds_load_2addr_b32 v[2:3], v1 offset1:68
	s_waitcnt lgkmcnt(0)
	v_add_f32_e32 v2, v3, v2
	ds_store_b32 v1, v2
.LBB352_31:
	;; [unrolled: 14-line block ×3, first 2 shown]
	s_or_b32 exec_lo, exec_lo, s2
	s_waitcnt lgkmcnt(0)
	buffer_gl0_inv
                                        ; implicit-def: $vgpr2
	s_and_saveexec_b32 s2, s0
; %bb.34:
	v_add_nc_u32_e32 v2, 17, v0
	s_or_b32 s1, s1, exec_lo
                                        ; implicit-def: $vgpr6
; %bb.35:
	s_or_b32 exec_lo, exec_lo, s2
	v_mov_b32_e32 v3, v1
.LBB352_36:
	s_and_saveexec_b32 s0, s1
	s_cbranch_execz .LBB352_38
; %bb.37:
	v_lshlrev_b32_e32 v1, 2, v2
	ds_load_b32 v2, v3
	ds_load_b32 v1, v1
	s_waitcnt lgkmcnt(0)
	v_add_f32_e32 v6, v2, v1
.LBB352_38:
	s_or_b32 exec_lo, exec_lo, s0
	s_delay_alu instid0(SALU_CYCLE_1)
	s_mov_b32 s0, exec_lo
	v_cmpx_gt_u32_e32 17, v0
	s_cbranch_execz .LBB352_42
; %bb.39:
	v_cmp_eq_f32_e64 s0, s8, 0
	v_mul_f32_e32 v1, s12, v6
	s_delay_alu instid0(VALU_DEP_2)
	s_and_b32 vcc_lo, exec_lo, s0
	s_mov_b32 s0, 0
	s_cbranch_vccz .LBB352_43
; %bb.40:
	s_delay_alu instid0(VALU_DEP_1) | instskip(SKIP_1) | instid1(VALU_DEP_1)
	v_mad_u64_u32 v[2:3], null, s10, 17, v[0:1]
	v_mov_b32_e32 v3, 0
	v_lshlrev_b64 v[2:3], 2, v[2:3]
	s_delay_alu instid0(VALU_DEP_1) | instskip(NEXT) | instid1(VALU_DEP_2)
	v_add_co_u32 v2, vcc_lo, s14, v2
	v_add_co_ci_u32_e32 v3, vcc_lo, s15, v3, vcc_lo
	global_store_b32 v[2:3], v1, off
	s_and_not1_b32 vcc_lo, exec_lo, s0
	s_cbranch_vccnz .LBB352_42
.LBB352_41:
	v_mad_u64_u32 v[2:3], null, s10, 17, v[0:1]
	v_mov_b32_e32 v3, 0
	s_delay_alu instid0(VALU_DEP_1) | instskip(NEXT) | instid1(VALU_DEP_1)
	v_lshlrev_b64 v[2:3], 2, v[2:3]
	v_add_co_u32 v2, vcc_lo, s14, v2
	s_delay_alu instid0(VALU_DEP_2)
	v_add_co_ci_u32_e32 v3, vcc_lo, s15, v3, vcc_lo
	global_load_b32 v0, v[2:3], off
	s_waitcnt vmcnt(0)
	v_fmac_f32_e32 v1, s8, v0
	global_store_b32 v[2:3], v1, off
.LBB352_42:
	s_nop 0
	s_sendmsg sendmsg(MSG_DEALLOC_VGPRS)
	s_endpgm
.LBB352_43:
	s_branch .LBB352_41
	.section	.rodata,"a",@progbits
	.p2align	6, 0x0
	.amdhsa_kernel _ZN9rocsparseL20bsrxmvn_17_32_kernelILj17Efli18rocsparse_bfloat16S1_fEEvT2_20rocsparse_direction_NS_24const_host_device_scalarIT0_EES2_PKS2_PKT1_SB_S8_PKT3_PKT4_S6_PT5_21rocsparse_index_base_b
		.amdhsa_group_segment_fixed_size 1156
		.amdhsa_private_segment_fixed_size 0
		.amdhsa_kernarg_size 96
		.amdhsa_user_sgpr_count 15
		.amdhsa_user_sgpr_dispatch_ptr 0
		.amdhsa_user_sgpr_queue_ptr 0
		.amdhsa_user_sgpr_kernarg_segment_ptr 1
		.amdhsa_user_sgpr_dispatch_id 0
		.amdhsa_user_sgpr_private_segment_size 0
		.amdhsa_wavefront_size32 1
		.amdhsa_uses_dynamic_stack 0
		.amdhsa_enable_private_segment 0
		.amdhsa_system_sgpr_workgroup_id_x 1
		.amdhsa_system_sgpr_workgroup_id_y 0
		.amdhsa_system_sgpr_workgroup_id_z 0
		.amdhsa_system_sgpr_workgroup_info 0
		.amdhsa_system_vgpr_workitem_id 0
		.amdhsa_next_free_vgpr 12
		.amdhsa_next_free_sgpr 24
		.amdhsa_reserve_vcc 1
		.amdhsa_float_round_mode_32 0
		.amdhsa_float_round_mode_16_64 0
		.amdhsa_float_denorm_mode_32 3
		.amdhsa_float_denorm_mode_16_64 3
		.amdhsa_dx10_clamp 1
		.amdhsa_ieee_mode 1
		.amdhsa_fp16_overflow 0
		.amdhsa_workgroup_processor_mode 1
		.amdhsa_memory_ordered 1
		.amdhsa_forward_progress 0
		.amdhsa_shared_vgpr_count 0
		.amdhsa_exception_fp_ieee_invalid_op 0
		.amdhsa_exception_fp_denorm_src 0
		.amdhsa_exception_fp_ieee_div_zero 0
		.amdhsa_exception_fp_ieee_overflow 0
		.amdhsa_exception_fp_ieee_underflow 0
		.amdhsa_exception_fp_ieee_inexact 0
		.amdhsa_exception_int_div_zero 0
	.end_amdhsa_kernel
	.section	.text._ZN9rocsparseL20bsrxmvn_17_32_kernelILj17Efli18rocsparse_bfloat16S1_fEEvT2_20rocsparse_direction_NS_24const_host_device_scalarIT0_EES2_PKS2_PKT1_SB_S8_PKT3_PKT4_S6_PT5_21rocsparse_index_base_b,"axG",@progbits,_ZN9rocsparseL20bsrxmvn_17_32_kernelILj17Efli18rocsparse_bfloat16S1_fEEvT2_20rocsparse_direction_NS_24const_host_device_scalarIT0_EES2_PKS2_PKT1_SB_S8_PKT3_PKT4_S6_PT5_21rocsparse_index_base_b,comdat
.Lfunc_end352:
	.size	_ZN9rocsparseL20bsrxmvn_17_32_kernelILj17Efli18rocsparse_bfloat16S1_fEEvT2_20rocsparse_direction_NS_24const_host_device_scalarIT0_EES2_PKS2_PKT1_SB_S8_PKT3_PKT4_S6_PT5_21rocsparse_index_base_b, .Lfunc_end352-_ZN9rocsparseL20bsrxmvn_17_32_kernelILj17Efli18rocsparse_bfloat16S1_fEEvT2_20rocsparse_direction_NS_24const_host_device_scalarIT0_EES2_PKS2_PKT1_SB_S8_PKT3_PKT4_S6_PT5_21rocsparse_index_base_b
                                        ; -- End function
	.section	.AMDGPU.csdata,"",@progbits
; Kernel info:
; codeLenInByte = 1652
; NumSgprs: 26
; NumVgprs: 12
; ScratchSize: 0
; MemoryBound: 0
; FloatMode: 240
; IeeeMode: 1
; LDSByteSize: 1156 bytes/workgroup (compile time only)
; SGPRBlocks: 3
; VGPRBlocks: 1
; NumSGPRsForWavesPerEU: 26
; NumVGPRsForWavesPerEU: 12
; Occupancy: 15
; WaveLimiterHint : 1
; COMPUTE_PGM_RSRC2:SCRATCH_EN: 0
; COMPUTE_PGM_RSRC2:USER_SGPR: 15
; COMPUTE_PGM_RSRC2:TRAP_HANDLER: 0
; COMPUTE_PGM_RSRC2:TGID_X_EN: 1
; COMPUTE_PGM_RSRC2:TGID_Y_EN: 0
; COMPUTE_PGM_RSRC2:TGID_Z_EN: 0
; COMPUTE_PGM_RSRC2:TIDIG_COMP_CNT: 0
	.section	.text._ZN9rocsparseL20bsrxmvn_17_32_kernelILj18Efli18rocsparse_bfloat16S1_fEEvT2_20rocsparse_direction_NS_24const_host_device_scalarIT0_EES2_PKS2_PKT1_SB_S8_PKT3_PKT4_S6_PT5_21rocsparse_index_base_b,"axG",@progbits,_ZN9rocsparseL20bsrxmvn_17_32_kernelILj18Efli18rocsparse_bfloat16S1_fEEvT2_20rocsparse_direction_NS_24const_host_device_scalarIT0_EES2_PKS2_PKT1_SB_S8_PKT3_PKT4_S6_PT5_21rocsparse_index_base_b,comdat
	.globl	_ZN9rocsparseL20bsrxmvn_17_32_kernelILj18Efli18rocsparse_bfloat16S1_fEEvT2_20rocsparse_direction_NS_24const_host_device_scalarIT0_EES2_PKS2_PKT1_SB_S8_PKT3_PKT4_S6_PT5_21rocsparse_index_base_b ; -- Begin function _ZN9rocsparseL20bsrxmvn_17_32_kernelILj18Efli18rocsparse_bfloat16S1_fEEvT2_20rocsparse_direction_NS_24const_host_device_scalarIT0_EES2_PKS2_PKT1_SB_S8_PKT3_PKT4_S6_PT5_21rocsparse_index_base_b
	.p2align	8
	.type	_ZN9rocsparseL20bsrxmvn_17_32_kernelILj18Efli18rocsparse_bfloat16S1_fEEvT2_20rocsparse_direction_NS_24const_host_device_scalarIT0_EES2_PKS2_PKT1_SB_S8_PKT3_PKT4_S6_PT5_21rocsparse_index_base_b,@function
_ZN9rocsparseL20bsrxmvn_17_32_kernelILj18Efli18rocsparse_bfloat16S1_fEEvT2_20rocsparse_direction_NS_24const_host_device_scalarIT0_EES2_PKS2_PKT1_SB_S8_PKT3_PKT4_S6_PT5_21rocsparse_index_base_b: ; @_ZN9rocsparseL20bsrxmvn_17_32_kernelILj18Efli18rocsparse_bfloat16S1_fEEvT2_20rocsparse_direction_NS_24const_host_device_scalarIT0_EES2_PKS2_PKT1_SB_S8_PKT3_PKT4_S6_PT5_21rocsparse_index_base_b
; %bb.0:
	s_clause 0x2
	s_load_b64 s[16:17], s[0:1], 0x58
	s_load_b64 s[12:13], s[0:1], 0x8
	;; [unrolled: 1-line block ×3, first 2 shown]
	s_mov_b32 s10, s15
	s_waitcnt lgkmcnt(0)
	s_bitcmp1_b32 s17, 0
	s_cselect_b32 s2, -1, 0
	s_delay_alu instid0(SALU_CYCLE_1)
	s_and_b32 vcc_lo, exec_lo, s2
	s_xor_b32 s2, s2, -1
	s_cbranch_vccnz .LBB353_2
; %bb.1:
	s_load_b32 s12, s[12:13], 0x0
.LBB353_2:
	s_and_not1_b32 vcc_lo, exec_lo, s2
	s_cbranch_vccnz .LBB353_4
; %bb.3:
	s_load_b32 s8, s[8:9], 0x0
.LBB353_4:
	s_waitcnt lgkmcnt(0)
	v_cmp_neq_f32_e64 s2, s12, 0
	v_cmp_neq_f32_e64 s3, s8, 1.0
	s_delay_alu instid0(VALU_DEP_1) | instskip(NEXT) | instid1(SALU_CYCLE_1)
	s_or_b32 s2, s2, s3
	s_and_not1_b32 vcc_lo, exec_lo, s2
	s_cbranch_vccnz .LBB353_42
; %bb.5:
	s_clause 0x1
	s_load_b128 s[4:7], s[0:1], 0x18
	s_load_b64 s[14:15], s[0:1], 0x28
	s_waitcnt lgkmcnt(0)
	s_cmp_eq_u64 s[4:5], 0
	s_cbranch_scc1 .LBB353_7
; %bb.6:
	s_ashr_i32 s11, s10, 31
	s_delay_alu instid0(SALU_CYCLE_1) | instskip(NEXT) | instid1(SALU_CYCLE_1)
	s_lshl_b64 s[2:3], s[10:11], 2
	s_add_u32 s2, s4, s2
	s_addc_u32 s3, s5, s3
	s_load_b32 s2, s[2:3], 0x0
	s_waitcnt lgkmcnt(0)
	s_sub_i32 s10, s2, s16
.LBB353_7:
	s_load_b32 s3, s[0:1], 0x4
	v_mul_u32_u24_e32 v1, 0xe39, v0
	v_mov_b32_e32 v6, 0
	s_delay_alu instid0(VALU_DEP_2) | instskip(NEXT) | instid1(VALU_DEP_1)
	v_lshrrev_b32_e32 v1, 16, v1
	v_mul_lo_u16 v2, v1, 18
	s_delay_alu instid0(VALU_DEP_1)
	v_sub_nc_u16 v7, v0, v2
	s_waitcnt lgkmcnt(0)
	s_cmp_eq_u32 s3, 1
	s_cselect_b32 s2, -1, 0
	s_cmp_lg_u32 s3, 1
	s_cselect_b32 s3, -1, 0
	s_ashr_i32 s11, s10, 31
	s_delay_alu instid0(SALU_CYCLE_1) | instskip(NEXT) | instid1(SALU_CYCLE_1)
	s_lshl_b64 s[4:5], s[10:11], 3
	s_add_u32 s6, s6, s4
	s_addc_u32 s7, s7, s5
	s_add_u32 s9, s6, 8
	s_addc_u32 s11, s7, 0
	;; [unrolled: 2-line block ×3, first 2 shown]
	s_cmp_eq_u64 s[14:15], 0
	s_load_b64 s[14:15], s[0:1], 0x50
	s_cselect_b32 s5, s11, s5
	s_cselect_b32 s4, s9, s4
	s_load_b64 s[22:23], s[6:7], 0x0
	s_load_b64 s[18:19], s[4:5], 0x0
	s_waitcnt lgkmcnt(0)
	v_cmp_ge_i64_e64 s4, s[22:23], s[18:19]
	s_delay_alu instid0(VALU_DEP_1)
	s_and_b32 vcc_lo, exec_lo, s4
	s_cbranch_vccnz .LBB353_12
; %bb.8:
	v_mul_lo_u16 v2, v1, 15
	v_dual_mov_b32 v6, 0 :: v_dual_and_b32 v3, 0xffff, v0
	s_sub_u32 s18, s18, s16
	s_subb_u32 s19, s19, 0
	s_delay_alu instid0(VALU_DEP_2) | instskip(NEXT) | instid1(VALU_DEP_2)
	v_lshrrev_b16 v2, 8, v2
	v_mul_u32_u24_e32 v3, 0x195, v3
	s_sub_u32 s20, s22, s16
	s_subb_u32 s21, s23, 0
	s_clause 0x1
	s_load_b128 s[4:7], s[0:1], 0x30
	s_load_b64 s[0:1], s[0:1], 0x40
	v_mul_lo_u16 v2, v2, 18
	v_lshrrev_b32_e32 v8, 17, v3
	s_mul_hi_u32 s9, s20, 0x288
	s_mul_i32 s11, s21, 0x288
	v_and_b32_e32 v4, 0xffff, v7
	v_sub_nc_u16 v1, v1, v2
	s_add_i32 s9, s9, s11
	v_add_co_u32 v2, s11, s22, v8
	s_delay_alu instid0(VALU_DEP_1) | instskip(NEXT) | instid1(VALU_DEP_3)
	v_add_co_ci_u32_e64 v3, null, s23, 0, s11
	v_and_b32_e32 v1, 0xff, v1
	s_delay_alu instid0(VALU_DEP_3) | instskip(NEXT) | instid1(VALU_DEP_3)
	v_sub_co_u32 v2, vcc_lo, v2, s16
	v_subrev_co_ci_u32_e32 v3, vcc_lo, 0, v3, vcc_lo
	s_delay_alu instid0(VALU_DEP_3) | instskip(SKIP_2) | instid1(VALU_DEP_3)
	v_cndmask_b32_e64 v1, v4, v1, s2
	v_lshlrev_b32_e32 v9, 1, v0
	s_mul_i32 s13, s20, 0x288
	v_lshlrev_b64 v[4:5], 2, v[2:3]
	s_waitcnt lgkmcnt(0)
	s_add_u32 s2, s6, s13
	s_addc_u32 s6, s7, s9
	v_add_co_u32 v2, s2, s2, v9
	s_delay_alu instid0(VALU_DEP_1)
	v_add_co_ci_u32_e64 v3, null, s6, 0, s2
	v_add_co_u32 v4, vcc_lo, s4, v4
	v_add_co_ci_u32_e32 v5, vcc_lo, s5, v5, vcc_lo
	s_set_inst_prefetch_distance 0x1
	s_branch .LBB353_10
	.p2align	6
.LBB353_9:                              ;   in Loop: Header=BB353_10 Depth=1
	s_or_b32 exec_lo, exec_lo, s2
	s_add_u32 s20, s20, 1
	s_addc_u32 s21, s21, 0
	v_add_co_u32 v4, vcc_lo, v4, 4
	v_cmp_lt_i64_e64 s2, s[20:21], s[18:19]
	v_add_co_ci_u32_e32 v5, vcc_lo, 0, v5, vcc_lo
	s_delay_alu instid0(VALU_DEP_2)
	s_and_b32 vcc_lo, exec_lo, s2
	s_cbranch_vccz .LBB353_12
.LBB353_10:                             ; =>This Inner Loop Header: Depth=1
	v_add_co_u32 v9, s2, v8, s20
	s_delay_alu instid0(VALU_DEP_1) | instskip(SKIP_1) | instid1(VALU_DEP_1)
	v_add_co_ci_u32_e64 v10, null, 0, s21, s2
	s_mov_b32 s2, exec_lo
	v_cmpx_gt_i64_e64 s[18:19], v[9:10]
	s_cbranch_execz .LBB353_9
; %bb.11:                               ;   in Loop: Header=BB353_10 Depth=1
	global_load_b32 v9, v[4:5], off
	s_waitcnt vmcnt(0)
	v_subrev_nc_u32_e32 v11, s16, v9
	s_delay_alu instid0(VALU_DEP_1) | instskip(NEXT) | instid1(VALU_DEP_1)
	v_mad_u64_u32 v[9:10], null, v11, 18, v[1:2]
	v_ashrrev_i32_e32 v10, 31, v9
	s_delay_alu instid0(VALU_DEP_1) | instskip(NEXT) | instid1(VALU_DEP_1)
	v_lshlrev_b64 v[9:10], 1, v[9:10]
	v_add_co_u32 v9, vcc_lo, s0, v9
	s_delay_alu instid0(VALU_DEP_2)
	v_add_co_ci_u32_e32 v10, vcc_lo, s1, v10, vcc_lo
	global_load_u16 v11, v[2:3], off
	global_load_u16 v9, v[9:10], off
	v_add_co_u32 v2, vcc_lo, 0x288, v2
	v_add_co_ci_u32_e32 v3, vcc_lo, 0, v3, vcc_lo
	s_waitcnt vmcnt(1)
	v_lshlrev_b32_e32 v10, 16, v11
	s_waitcnt vmcnt(0)
	v_lshlrev_b32_e32 v9, 16, v9
	s_delay_alu instid0(VALU_DEP_1)
	v_fmac_f32_e32 v6, v10, v9
	s_branch .LBB353_9
.LBB353_12:
	s_set_inst_prefetch_distance 0x2
	v_lshlrev_b32_e32 v1, 2, v0
	s_and_b32 vcc_lo, exec_lo, s3
	ds_store_b32 v1, v6
	s_waitcnt lgkmcnt(0)
	s_barrier
	buffer_gl0_inv
	s_cbranch_vccz .LBB353_24
; %bb.13:
	v_cmp_gt_u16_e32 vcc_lo, 2, v7
	s_and_saveexec_b32 s0, vcc_lo
	s_cbranch_execz .LBB353_15
; %bb.14:
	ds_load_2addr_b32 v[2:3], v1 offset1:16
	s_waitcnt lgkmcnt(0)
	v_add_f32_e32 v2, v3, v2
	ds_store_b32 v1, v2
.LBB353_15:
	s_or_b32 exec_lo, exec_lo, s0
	s_delay_alu instid0(SALU_CYCLE_1)
	s_mov_b32 s1, exec_lo
	s_waitcnt lgkmcnt(0)
	s_barrier
	buffer_gl0_inv
	v_cmpx_gt_u16_e32 8, v7
	s_cbranch_execz .LBB353_17
; %bb.16:
	ds_load_2addr_b32 v[2:3], v1 offset1:8
	s_waitcnt lgkmcnt(0)
	v_add_f32_e32 v2, v3, v2
	ds_store_b32 v1, v2
.LBB353_17:
	s_or_b32 exec_lo, exec_lo, s1
	s_delay_alu instid0(SALU_CYCLE_1)
	s_mov_b32 s1, exec_lo
	s_waitcnt lgkmcnt(0)
	s_barrier
	buffer_gl0_inv
	v_cmpx_gt_u16_e32 4, v7
	s_cbranch_execz .LBB353_19
; %bb.18:
	ds_load_2addr_b32 v[2:3], v1 offset1:4
	s_waitcnt lgkmcnt(0)
	v_add_f32_e32 v2, v3, v2
	ds_store_b32 v1, v2
.LBB353_19:
	s_or_b32 exec_lo, exec_lo, s1
	s_waitcnt lgkmcnt(0)
	s_barrier
	buffer_gl0_inv
	s_and_saveexec_b32 s0, vcc_lo
	s_cbranch_execz .LBB353_21
; %bb.20:
	ds_load_2addr_b32 v[2:3], v1 offset1:2
	s_waitcnt lgkmcnt(0)
	v_add_f32_e32 v2, v3, v2
	ds_store_b32 v1, v2
.LBB353_21:
	s_or_b32 exec_lo, exec_lo, s0
	s_mov_b32 s0, 0
	s_mov_b32 s1, 0
	s_mov_b32 s2, exec_lo
	s_waitcnt lgkmcnt(0)
	s_barrier
	buffer_gl0_inv
                                        ; implicit-def: $vgpr2
                                        ; implicit-def: $vgpr3
	v_cmpx_gt_u32_e32 18, v0
	s_xor_b32 s2, exec_lo, s2
; %bb.22:
	v_mul_u32_u24_e32 v2, 18, v0
	v_mad_u32_u24 v3, 0x44, v0, v1
	s_mov_b32 s1, exec_lo
	s_delay_alu instid0(VALU_DEP_2)
	v_or_b32_e32 v2, 1, v2
; %bb.23:
	s_or_b32 exec_lo, exec_lo, s2
	s_delay_alu instid0(SALU_CYCLE_1)
	s_and_b32 vcc_lo, exec_lo, s0
	s_cbranch_vccnz .LBB353_25
	s_branch .LBB353_36
.LBB353_24:
	s_mov_b32 s1, 0
                                        ; implicit-def: $vgpr2
                                        ; implicit-def: $vgpr3
	s_cbranch_execz .LBB353_36
.LBB353_25:
	v_cmp_gt_u32_e32 vcc_lo, 36, v0
	s_and_saveexec_b32 s0, vcc_lo
	s_cbranch_execz .LBB353_27
; %bb.26:
	ds_load_b32 v2, v1 offset:1152
	ds_load_b32 v3, v1
	s_waitcnt lgkmcnt(0)
	v_add_f32_e32 v2, v2, v3
	ds_store_b32 v1, v2
.LBB353_27:
	s_or_b32 exec_lo, exec_lo, s0
	s_delay_alu instid0(SALU_CYCLE_1)
	s_mov_b32 s2, exec_lo
	s_waitcnt lgkmcnt(0)
	s_barrier
	buffer_gl0_inv
	v_cmpx_gt_u32_e32 0x90, v0
	s_cbranch_execz .LBB353_29
; %bb.28:
	ds_load_2addr_b32 v[2:3], v1 offset1:144
	s_waitcnt lgkmcnt(0)
	v_add_f32_e32 v2, v3, v2
	ds_store_b32 v1, v2
.LBB353_29:
	s_or_b32 exec_lo, exec_lo, s2
	s_delay_alu instid0(SALU_CYCLE_1)
	s_mov_b32 s2, exec_lo
	s_waitcnt lgkmcnt(0)
	s_barrier
	buffer_gl0_inv
	v_cmpx_gt_u32_e32 0x48, v0
	s_cbranch_execz .LBB353_31
; %bb.30:
	ds_load_2addr_b32 v[2:3], v1 offset1:72
	s_waitcnt lgkmcnt(0)
	v_add_f32_e32 v2, v3, v2
	ds_store_b32 v1, v2
.LBB353_31:
	s_or_b32 exec_lo, exec_lo, s2
	s_waitcnt lgkmcnt(0)
	s_barrier
	buffer_gl0_inv
	s_and_saveexec_b32 s0, vcc_lo
	s_cbranch_execz .LBB353_33
; %bb.32:
	ds_load_2addr_b32 v[2:3], v1 offset1:36
	s_waitcnt lgkmcnt(0)
	v_add_f32_e32 v2, v3, v2
	ds_store_b32 v1, v2
.LBB353_33:
	s_or_b32 exec_lo, exec_lo, s0
	s_delay_alu instid0(SALU_CYCLE_1)
	s_mov_b32 s0, exec_lo
	s_waitcnt lgkmcnt(0)
	buffer_gl0_inv
                                        ; implicit-def: $vgpr2
	v_cmpx_gt_u32_e32 18, v0
; %bb.34:
	v_add_nc_u32_e32 v2, 18, v0
	s_or_b32 s1, s1, exec_lo
                                        ; implicit-def: $vgpr6
; %bb.35:
	s_or_b32 exec_lo, exec_lo, s0
	v_mov_b32_e32 v3, v1
.LBB353_36:
	s_and_saveexec_b32 s0, s1
	s_cbranch_execz .LBB353_38
; %bb.37:
	v_lshlrev_b32_e32 v1, 2, v2
	ds_load_b32 v2, v3
	ds_load_b32 v1, v1
	s_waitcnt lgkmcnt(0)
	v_add_f32_e32 v6, v2, v1
.LBB353_38:
	s_or_b32 exec_lo, exec_lo, s0
	s_delay_alu instid0(SALU_CYCLE_1)
	s_mov_b32 s0, exec_lo
	v_cmpx_gt_u32_e32 18, v0
	s_cbranch_execz .LBB353_42
; %bb.39:
	v_cmp_eq_f32_e64 s0, s8, 0
	v_mul_f32_e32 v1, s12, v6
	s_delay_alu instid0(VALU_DEP_2)
	s_and_b32 vcc_lo, exec_lo, s0
	s_mov_b32 s0, 0
	s_cbranch_vccz .LBB353_43
; %bb.40:
	s_delay_alu instid0(VALU_DEP_1) | instskip(SKIP_1) | instid1(VALU_DEP_1)
	v_mad_u64_u32 v[2:3], null, s10, 18, v[0:1]
	v_mov_b32_e32 v3, 0
	v_lshlrev_b64 v[2:3], 2, v[2:3]
	s_delay_alu instid0(VALU_DEP_1) | instskip(NEXT) | instid1(VALU_DEP_2)
	v_add_co_u32 v2, vcc_lo, s14, v2
	v_add_co_ci_u32_e32 v3, vcc_lo, s15, v3, vcc_lo
	global_store_b32 v[2:3], v1, off
	s_and_not1_b32 vcc_lo, exec_lo, s0
	s_cbranch_vccnz .LBB353_42
.LBB353_41:
	v_mad_u64_u32 v[2:3], null, s10, 18, v[0:1]
	v_mov_b32_e32 v3, 0
	s_delay_alu instid0(VALU_DEP_1) | instskip(NEXT) | instid1(VALU_DEP_1)
	v_lshlrev_b64 v[2:3], 2, v[2:3]
	v_add_co_u32 v2, vcc_lo, s14, v2
	s_delay_alu instid0(VALU_DEP_2)
	v_add_co_ci_u32_e32 v3, vcc_lo, s15, v3, vcc_lo
	global_load_b32 v0, v[2:3], off
	s_waitcnt vmcnt(0)
	v_fmac_f32_e32 v1, s8, v0
	global_store_b32 v[2:3], v1, off
.LBB353_42:
	s_nop 0
	s_sendmsg sendmsg(MSG_DEALLOC_VGPRS)
	s_endpgm
.LBB353_43:
	s_branch .LBB353_41
	.section	.rodata,"a",@progbits
	.p2align	6, 0x0
	.amdhsa_kernel _ZN9rocsparseL20bsrxmvn_17_32_kernelILj18Efli18rocsparse_bfloat16S1_fEEvT2_20rocsparse_direction_NS_24const_host_device_scalarIT0_EES2_PKS2_PKT1_SB_S8_PKT3_PKT4_S6_PT5_21rocsparse_index_base_b
		.amdhsa_group_segment_fixed_size 1296
		.amdhsa_private_segment_fixed_size 0
		.amdhsa_kernarg_size 96
		.amdhsa_user_sgpr_count 15
		.amdhsa_user_sgpr_dispatch_ptr 0
		.amdhsa_user_sgpr_queue_ptr 0
		.amdhsa_user_sgpr_kernarg_segment_ptr 1
		.amdhsa_user_sgpr_dispatch_id 0
		.amdhsa_user_sgpr_private_segment_size 0
		.amdhsa_wavefront_size32 1
		.amdhsa_uses_dynamic_stack 0
		.amdhsa_enable_private_segment 0
		.amdhsa_system_sgpr_workgroup_id_x 1
		.amdhsa_system_sgpr_workgroup_id_y 0
		.amdhsa_system_sgpr_workgroup_id_z 0
		.amdhsa_system_sgpr_workgroup_info 0
		.amdhsa_system_vgpr_workitem_id 0
		.amdhsa_next_free_vgpr 12
		.amdhsa_next_free_sgpr 24
		.amdhsa_reserve_vcc 1
		.amdhsa_float_round_mode_32 0
		.amdhsa_float_round_mode_16_64 0
		.amdhsa_float_denorm_mode_32 3
		.amdhsa_float_denorm_mode_16_64 3
		.amdhsa_dx10_clamp 1
		.amdhsa_ieee_mode 1
		.amdhsa_fp16_overflow 0
		.amdhsa_workgroup_processor_mode 1
		.amdhsa_memory_ordered 1
		.amdhsa_forward_progress 0
		.amdhsa_shared_vgpr_count 0
		.amdhsa_exception_fp_ieee_invalid_op 0
		.amdhsa_exception_fp_denorm_src 0
		.amdhsa_exception_fp_ieee_div_zero 0
		.amdhsa_exception_fp_ieee_overflow 0
		.amdhsa_exception_fp_ieee_underflow 0
		.amdhsa_exception_fp_ieee_inexact 0
		.amdhsa_exception_int_div_zero 0
	.end_amdhsa_kernel
	.section	.text._ZN9rocsparseL20bsrxmvn_17_32_kernelILj18Efli18rocsparse_bfloat16S1_fEEvT2_20rocsparse_direction_NS_24const_host_device_scalarIT0_EES2_PKS2_PKT1_SB_S8_PKT3_PKT4_S6_PT5_21rocsparse_index_base_b,"axG",@progbits,_ZN9rocsparseL20bsrxmvn_17_32_kernelILj18Efli18rocsparse_bfloat16S1_fEEvT2_20rocsparse_direction_NS_24const_host_device_scalarIT0_EES2_PKS2_PKT1_SB_S8_PKT3_PKT4_S6_PT5_21rocsparse_index_base_b,comdat
.Lfunc_end353:
	.size	_ZN9rocsparseL20bsrxmvn_17_32_kernelILj18Efli18rocsparse_bfloat16S1_fEEvT2_20rocsparse_direction_NS_24const_host_device_scalarIT0_EES2_PKS2_PKT1_SB_S8_PKT3_PKT4_S6_PT5_21rocsparse_index_base_b, .Lfunc_end353-_ZN9rocsparseL20bsrxmvn_17_32_kernelILj18Efli18rocsparse_bfloat16S1_fEEvT2_20rocsparse_direction_NS_24const_host_device_scalarIT0_EES2_PKS2_PKT1_SB_S8_PKT3_PKT4_S6_PT5_21rocsparse_index_base_b
                                        ; -- End function
	.section	.AMDGPU.csdata,"",@progbits
; Kernel info:
; codeLenInByte = 1636
; NumSgprs: 26
; NumVgprs: 12
; ScratchSize: 0
; MemoryBound: 0
; FloatMode: 240
; IeeeMode: 1
; LDSByteSize: 1296 bytes/workgroup (compile time only)
; SGPRBlocks: 3
; VGPRBlocks: 1
; NumSGPRsForWavesPerEU: 26
; NumVGPRsForWavesPerEU: 12
; Occupancy: 14
; WaveLimiterHint : 1
; COMPUTE_PGM_RSRC2:SCRATCH_EN: 0
; COMPUTE_PGM_RSRC2:USER_SGPR: 15
; COMPUTE_PGM_RSRC2:TRAP_HANDLER: 0
; COMPUTE_PGM_RSRC2:TGID_X_EN: 1
; COMPUTE_PGM_RSRC2:TGID_Y_EN: 0
; COMPUTE_PGM_RSRC2:TGID_Z_EN: 0
; COMPUTE_PGM_RSRC2:TIDIG_COMP_CNT: 0
	.section	.text._ZN9rocsparseL20bsrxmvn_17_32_kernelILj19Efli18rocsparse_bfloat16S1_fEEvT2_20rocsparse_direction_NS_24const_host_device_scalarIT0_EES2_PKS2_PKT1_SB_S8_PKT3_PKT4_S6_PT5_21rocsparse_index_base_b,"axG",@progbits,_ZN9rocsparseL20bsrxmvn_17_32_kernelILj19Efli18rocsparse_bfloat16S1_fEEvT2_20rocsparse_direction_NS_24const_host_device_scalarIT0_EES2_PKS2_PKT1_SB_S8_PKT3_PKT4_S6_PT5_21rocsparse_index_base_b,comdat
	.globl	_ZN9rocsparseL20bsrxmvn_17_32_kernelILj19Efli18rocsparse_bfloat16S1_fEEvT2_20rocsparse_direction_NS_24const_host_device_scalarIT0_EES2_PKS2_PKT1_SB_S8_PKT3_PKT4_S6_PT5_21rocsparse_index_base_b ; -- Begin function _ZN9rocsparseL20bsrxmvn_17_32_kernelILj19Efli18rocsparse_bfloat16S1_fEEvT2_20rocsparse_direction_NS_24const_host_device_scalarIT0_EES2_PKS2_PKT1_SB_S8_PKT3_PKT4_S6_PT5_21rocsparse_index_base_b
	.p2align	8
	.type	_ZN9rocsparseL20bsrxmvn_17_32_kernelILj19Efli18rocsparse_bfloat16S1_fEEvT2_20rocsparse_direction_NS_24const_host_device_scalarIT0_EES2_PKS2_PKT1_SB_S8_PKT3_PKT4_S6_PT5_21rocsparse_index_base_b,@function
_ZN9rocsparseL20bsrxmvn_17_32_kernelILj19Efli18rocsparse_bfloat16S1_fEEvT2_20rocsparse_direction_NS_24const_host_device_scalarIT0_EES2_PKS2_PKT1_SB_S8_PKT3_PKT4_S6_PT5_21rocsparse_index_base_b: ; @_ZN9rocsparseL20bsrxmvn_17_32_kernelILj19Efli18rocsparse_bfloat16S1_fEEvT2_20rocsparse_direction_NS_24const_host_device_scalarIT0_EES2_PKS2_PKT1_SB_S8_PKT3_PKT4_S6_PT5_21rocsparse_index_base_b
; %bb.0:
	s_clause 0x2
	s_load_b64 s[16:17], s[0:1], 0x58
	s_load_b64 s[12:13], s[0:1], 0x8
	;; [unrolled: 1-line block ×3, first 2 shown]
	s_mov_b32 s10, s15
	s_waitcnt lgkmcnt(0)
	s_bitcmp1_b32 s17, 0
	s_cselect_b32 s2, -1, 0
	s_delay_alu instid0(SALU_CYCLE_1)
	s_and_b32 vcc_lo, exec_lo, s2
	s_xor_b32 s2, s2, -1
	s_cbranch_vccnz .LBB354_2
; %bb.1:
	s_load_b32 s12, s[12:13], 0x0
.LBB354_2:
	s_and_not1_b32 vcc_lo, exec_lo, s2
	s_cbranch_vccnz .LBB354_4
; %bb.3:
	s_load_b32 s8, s[8:9], 0x0
.LBB354_4:
	s_waitcnt lgkmcnt(0)
	v_cmp_neq_f32_e64 s2, s12, 0
	v_cmp_neq_f32_e64 s3, s8, 1.0
	s_delay_alu instid0(VALU_DEP_1) | instskip(NEXT) | instid1(SALU_CYCLE_1)
	s_or_b32 s2, s2, s3
	s_and_not1_b32 vcc_lo, exec_lo, s2
	s_cbranch_vccnz .LBB354_42
; %bb.5:
	s_clause 0x1
	s_load_b128 s[4:7], s[0:1], 0x18
	s_load_b64 s[14:15], s[0:1], 0x28
	s_waitcnt lgkmcnt(0)
	s_cmp_eq_u64 s[4:5], 0
	s_cbranch_scc1 .LBB354_7
; %bb.6:
	s_ashr_i32 s11, s10, 31
	s_delay_alu instid0(SALU_CYCLE_1) | instskip(NEXT) | instid1(SALU_CYCLE_1)
	s_lshl_b64 s[2:3], s[10:11], 2
	s_add_u32 s2, s4, s2
	s_addc_u32 s3, s5, s3
	s_load_b32 s2, s[2:3], 0x0
	s_waitcnt lgkmcnt(0)
	s_sub_i32 s10, s2, s16
.LBB354_7:
	s_load_b32 s3, s[0:1], 0x4
	v_mul_u32_u24_e32 v1, 0xd7a, v0
	v_mov_b32_e32 v6, 0
	s_delay_alu instid0(VALU_DEP_2) | instskip(NEXT) | instid1(VALU_DEP_1)
	v_lshrrev_b32_e32 v1, 16, v1
	v_mul_lo_u16 v2, v1, 19
	s_delay_alu instid0(VALU_DEP_1)
	v_sub_nc_u16 v7, v0, v2
	s_waitcnt lgkmcnt(0)
	s_cmp_eq_u32 s3, 1
	s_cselect_b32 s2, -1, 0
	s_cmp_lg_u32 s3, 1
	s_cselect_b32 s3, -1, 0
	s_ashr_i32 s11, s10, 31
	s_delay_alu instid0(SALU_CYCLE_1) | instskip(NEXT) | instid1(SALU_CYCLE_1)
	s_lshl_b64 s[4:5], s[10:11], 3
	s_add_u32 s6, s6, s4
	s_addc_u32 s7, s7, s5
	s_add_u32 s9, s6, 8
	s_addc_u32 s11, s7, 0
	;; [unrolled: 2-line block ×3, first 2 shown]
	s_cmp_eq_u64 s[14:15], 0
	s_load_b64 s[14:15], s[0:1], 0x50
	s_cselect_b32 s5, s11, s5
	s_cselect_b32 s4, s9, s4
	s_load_b64 s[22:23], s[6:7], 0x0
	s_load_b64 s[18:19], s[4:5], 0x0
	s_waitcnt lgkmcnt(0)
	v_cmp_ge_i64_e64 s4, s[22:23], s[18:19]
	s_delay_alu instid0(VALU_DEP_1)
	s_and_b32 vcc_lo, exec_lo, s4
	s_cbranch_vccnz .LBB354_12
; %bb.8:
	v_mul_lo_u16 v2, v1, 14
	v_dual_mov_b32 v6, 0 :: v_dual_and_b32 v3, 0xffff, v0
	s_sub_u32 s18, s18, s16
	s_subb_u32 s19, s19, 0
	s_delay_alu instid0(VALU_DEP_2) | instskip(NEXT) | instid1(VALU_DEP_2)
	v_lshrrev_b16 v2, 8, v2
	v_mul_u32_u24_e32 v3, 0xb6, v3
	s_sub_u32 s20, s22, s16
	s_subb_u32 s21, s23, 0
	s_clause 0x1
	s_load_b128 s[4:7], s[0:1], 0x30
	s_load_b64 s[0:1], s[0:1], 0x40
	v_mul_lo_u16 v2, v2, 19
	v_lshrrev_b32_e32 v8, 16, v3
	s_mul_hi_u32 s9, s20, 0x2d2
	s_mul_i32 s11, s21, 0x2d2
	v_and_b32_e32 v4, 0xffff, v7
	v_sub_nc_u16 v1, v1, v2
	s_add_i32 s9, s9, s11
	v_add_co_u32 v2, s11, s22, v8
	s_delay_alu instid0(VALU_DEP_1) | instskip(NEXT) | instid1(VALU_DEP_3)
	v_add_co_ci_u32_e64 v3, null, s23, 0, s11
	v_and_b32_e32 v1, 0xff, v1
	s_delay_alu instid0(VALU_DEP_3) | instskip(NEXT) | instid1(VALU_DEP_3)
	v_sub_co_u32 v2, vcc_lo, v2, s16
	v_subrev_co_ci_u32_e32 v3, vcc_lo, 0, v3, vcc_lo
	s_delay_alu instid0(VALU_DEP_3) | instskip(SKIP_2) | instid1(VALU_DEP_3)
	v_cndmask_b32_e64 v1, v4, v1, s2
	v_lshlrev_b32_e32 v9, 1, v0
	s_mul_i32 s13, s20, 0x2d2
	v_lshlrev_b64 v[4:5], 2, v[2:3]
	s_waitcnt lgkmcnt(0)
	s_add_u32 s2, s6, s13
	s_addc_u32 s6, s7, s9
	v_add_co_u32 v2, s2, s2, v9
	s_delay_alu instid0(VALU_DEP_1)
	v_add_co_ci_u32_e64 v3, null, s6, 0, s2
	v_add_co_u32 v4, vcc_lo, s4, v4
	v_add_co_ci_u32_e32 v5, vcc_lo, s5, v5, vcc_lo
	s_set_inst_prefetch_distance 0x1
	s_branch .LBB354_10
	.p2align	6
.LBB354_9:                              ;   in Loop: Header=BB354_10 Depth=1
	s_or_b32 exec_lo, exec_lo, s2
	s_add_u32 s20, s20, 1
	s_addc_u32 s21, s21, 0
	v_add_co_u32 v4, vcc_lo, v4, 4
	v_cmp_lt_i64_e64 s2, s[20:21], s[18:19]
	v_add_co_ci_u32_e32 v5, vcc_lo, 0, v5, vcc_lo
	s_delay_alu instid0(VALU_DEP_2)
	s_and_b32 vcc_lo, exec_lo, s2
	s_cbranch_vccz .LBB354_12
.LBB354_10:                             ; =>This Inner Loop Header: Depth=1
	v_add_co_u32 v9, s2, v8, s20
	s_delay_alu instid0(VALU_DEP_1) | instskip(SKIP_1) | instid1(VALU_DEP_1)
	v_add_co_ci_u32_e64 v10, null, 0, s21, s2
	s_mov_b32 s2, exec_lo
	v_cmpx_gt_i64_e64 s[18:19], v[9:10]
	s_cbranch_execz .LBB354_9
; %bb.11:                               ;   in Loop: Header=BB354_10 Depth=1
	global_load_b32 v9, v[4:5], off
	s_waitcnt vmcnt(0)
	v_subrev_nc_u32_e32 v11, s16, v9
	s_delay_alu instid0(VALU_DEP_1) | instskip(NEXT) | instid1(VALU_DEP_1)
	v_mad_u64_u32 v[9:10], null, v11, 19, v[1:2]
	v_ashrrev_i32_e32 v10, 31, v9
	s_delay_alu instid0(VALU_DEP_1) | instskip(NEXT) | instid1(VALU_DEP_1)
	v_lshlrev_b64 v[9:10], 1, v[9:10]
	v_add_co_u32 v9, vcc_lo, s0, v9
	s_delay_alu instid0(VALU_DEP_2)
	v_add_co_ci_u32_e32 v10, vcc_lo, s1, v10, vcc_lo
	global_load_u16 v11, v[2:3], off
	global_load_u16 v9, v[9:10], off
	v_add_co_u32 v2, vcc_lo, 0x2d2, v2
	v_add_co_ci_u32_e32 v3, vcc_lo, 0, v3, vcc_lo
	s_waitcnt vmcnt(1)
	v_lshlrev_b32_e32 v10, 16, v11
	s_waitcnt vmcnt(0)
	v_lshlrev_b32_e32 v9, 16, v9
	s_delay_alu instid0(VALU_DEP_1)
	v_fmac_f32_e32 v6, v10, v9
	s_branch .LBB354_9
.LBB354_12:
	s_set_inst_prefetch_distance 0x2
	v_lshlrev_b32_e32 v1, 2, v0
	s_and_b32 vcc_lo, exec_lo, s3
	ds_store_b32 v1, v6
	s_waitcnt lgkmcnt(0)
	s_barrier
	buffer_gl0_inv
	s_cbranch_vccz .LBB354_24
; %bb.13:
	s_mov_b32 s0, exec_lo
	v_cmpx_gt_u16_e32 3, v7
	s_cbranch_execz .LBB354_15
; %bb.14:
	ds_load_2addr_b32 v[2:3], v1 offset1:16
	s_waitcnt lgkmcnt(0)
	v_add_f32_e32 v2, v3, v2
	ds_store_b32 v1, v2
.LBB354_15:
	s_or_b32 exec_lo, exec_lo, s0
	s_delay_alu instid0(SALU_CYCLE_1)
	s_mov_b32 s0, exec_lo
	s_waitcnt lgkmcnt(0)
	s_barrier
	buffer_gl0_inv
	v_cmpx_gt_u16_e32 8, v7
	s_cbranch_execz .LBB354_17
; %bb.16:
	ds_load_2addr_b32 v[2:3], v1 offset1:8
	s_waitcnt lgkmcnt(0)
	v_add_f32_e32 v2, v3, v2
	ds_store_b32 v1, v2
.LBB354_17:
	s_or_b32 exec_lo, exec_lo, s0
	s_delay_alu instid0(SALU_CYCLE_1)
	s_mov_b32 s0, exec_lo
	s_waitcnt lgkmcnt(0)
	s_barrier
	buffer_gl0_inv
	v_cmpx_gt_u16_e32 4, v7
	s_cbranch_execz .LBB354_19
; %bb.18:
	ds_load_2addr_b32 v[2:3], v1 offset1:4
	s_waitcnt lgkmcnt(0)
	v_add_f32_e32 v2, v3, v2
	ds_store_b32 v1, v2
.LBB354_19:
	s_or_b32 exec_lo, exec_lo, s0
	s_delay_alu instid0(SALU_CYCLE_1)
	s_mov_b32 s0, exec_lo
	s_waitcnt lgkmcnt(0)
	s_barrier
	buffer_gl0_inv
	v_cmpx_gt_u16_e32 2, v7
	s_cbranch_execz .LBB354_21
; %bb.20:
	ds_load_2addr_b32 v[2:3], v1 offset1:2
	s_waitcnt lgkmcnt(0)
	v_add_f32_e32 v2, v3, v2
	ds_store_b32 v1, v2
.LBB354_21:
	s_or_b32 exec_lo, exec_lo, s0
	s_mov_b32 s1, 0
	s_mov_b32 s0, 0
	s_mov_b32 s2, exec_lo
	s_waitcnt lgkmcnt(0)
	s_barrier
	buffer_gl0_inv
                                        ; implicit-def: $vgpr2
                                        ; implicit-def: $vgpr3
	v_cmpx_gt_u32_e32 19, v0
	s_xor_b32 s2, exec_lo, s2
; %bb.22:
	v_mad_u32_u24 v2, v0, 19, 1
	v_mad_u32_u24 v3, 0x48, v0, v1
	s_mov_b32 s0, exec_lo
; %bb.23:
	s_or_b32 exec_lo, exec_lo, s2
	s_delay_alu instid0(SALU_CYCLE_1)
	s_and_b32 vcc_lo, exec_lo, s1
	s_cbranch_vccnz .LBB354_25
	s_branch .LBB354_36
.LBB354_24:
	s_mov_b32 s0, 0
                                        ; implicit-def: $vgpr2
                                        ; implicit-def: $vgpr3
	s_cbranch_execz .LBB354_36
.LBB354_25:
	s_mov_b32 s1, exec_lo
	v_cmpx_gt_u32_e32 57, v0
	s_cbranch_execz .LBB354_27
; %bb.26:
	ds_load_b32 v2, v1 offset:1216
	ds_load_b32 v3, v1
	s_waitcnt lgkmcnt(0)
	v_add_f32_e32 v2, v2, v3
	ds_store_b32 v1, v2
.LBB354_27:
	s_or_b32 exec_lo, exec_lo, s1
	s_delay_alu instid0(SALU_CYCLE_1)
	s_mov_b32 s1, exec_lo
	s_waitcnt lgkmcnt(0)
	s_barrier
	buffer_gl0_inv
	v_cmpx_gt_u32_e32 0x98, v0
	s_cbranch_execz .LBB354_29
; %bb.28:
	ds_load_2addr_b32 v[2:3], v1 offset1:152
	s_waitcnt lgkmcnt(0)
	v_add_f32_e32 v2, v3, v2
	ds_store_b32 v1, v2
.LBB354_29:
	s_or_b32 exec_lo, exec_lo, s1
	s_delay_alu instid0(SALU_CYCLE_1)
	s_mov_b32 s1, exec_lo
	s_waitcnt lgkmcnt(0)
	s_barrier
	buffer_gl0_inv
	v_cmpx_gt_u32_e32 0x4c, v0
	s_cbranch_execz .LBB354_31
; %bb.30:
	ds_load_2addr_b32 v[2:3], v1 offset1:76
	s_waitcnt lgkmcnt(0)
	v_add_f32_e32 v2, v3, v2
	ds_store_b32 v1, v2
.LBB354_31:
	;; [unrolled: 14-line block ×3, first 2 shown]
	s_or_b32 exec_lo, exec_lo, s1
	s_delay_alu instid0(SALU_CYCLE_1)
	s_mov_b32 s1, exec_lo
	s_waitcnt lgkmcnt(0)
	buffer_gl0_inv
                                        ; implicit-def: $vgpr2
	v_cmpx_gt_u32_e32 19, v0
; %bb.34:
	v_add_nc_u32_e32 v2, 19, v0
	s_or_b32 s0, s0, exec_lo
                                        ; implicit-def: $vgpr6
; %bb.35:
	s_or_b32 exec_lo, exec_lo, s1
	v_mov_b32_e32 v3, v1
.LBB354_36:
	s_and_saveexec_b32 s1, s0
	s_cbranch_execz .LBB354_38
; %bb.37:
	v_lshlrev_b32_e32 v1, 2, v2
	ds_load_b32 v2, v3
	ds_load_b32 v1, v1
	s_waitcnt lgkmcnt(0)
	v_add_f32_e32 v6, v2, v1
.LBB354_38:
	s_or_b32 exec_lo, exec_lo, s1
	s_delay_alu instid0(SALU_CYCLE_1)
	s_mov_b32 s0, exec_lo
	v_cmpx_gt_u32_e32 19, v0
	s_cbranch_execz .LBB354_42
; %bb.39:
	v_cmp_eq_f32_e64 s0, s8, 0
	v_mul_f32_e32 v1, s12, v6
	s_delay_alu instid0(VALU_DEP_2)
	s_and_b32 vcc_lo, exec_lo, s0
	s_mov_b32 s0, 0
	s_cbranch_vccz .LBB354_43
; %bb.40:
	s_delay_alu instid0(VALU_DEP_1) | instskip(SKIP_1) | instid1(VALU_DEP_1)
	v_mad_u64_u32 v[2:3], null, s10, 19, v[0:1]
	v_mov_b32_e32 v3, 0
	v_lshlrev_b64 v[2:3], 2, v[2:3]
	s_delay_alu instid0(VALU_DEP_1) | instskip(NEXT) | instid1(VALU_DEP_2)
	v_add_co_u32 v2, vcc_lo, s14, v2
	v_add_co_ci_u32_e32 v3, vcc_lo, s15, v3, vcc_lo
	global_store_b32 v[2:3], v1, off
	s_and_not1_b32 vcc_lo, exec_lo, s0
	s_cbranch_vccnz .LBB354_42
.LBB354_41:
	v_mad_u64_u32 v[2:3], null, s10, 19, v[0:1]
	v_mov_b32_e32 v3, 0
	s_delay_alu instid0(VALU_DEP_1) | instskip(NEXT) | instid1(VALU_DEP_1)
	v_lshlrev_b64 v[2:3], 2, v[2:3]
	v_add_co_u32 v2, vcc_lo, s14, v2
	s_delay_alu instid0(VALU_DEP_2)
	v_add_co_ci_u32_e32 v3, vcc_lo, s15, v3, vcc_lo
	global_load_b32 v0, v[2:3], off
	s_waitcnt vmcnt(0)
	v_fmac_f32_e32 v1, s8, v0
	global_store_b32 v[2:3], v1, off
.LBB354_42:
	s_nop 0
	s_sendmsg sendmsg(MSG_DEALLOC_VGPRS)
	s_endpgm
.LBB354_43:
	s_branch .LBB354_41
	.section	.rodata,"a",@progbits
	.p2align	6, 0x0
	.amdhsa_kernel _ZN9rocsparseL20bsrxmvn_17_32_kernelILj19Efli18rocsparse_bfloat16S1_fEEvT2_20rocsparse_direction_NS_24const_host_device_scalarIT0_EES2_PKS2_PKT1_SB_S8_PKT3_PKT4_S6_PT5_21rocsparse_index_base_b
		.amdhsa_group_segment_fixed_size 1444
		.amdhsa_private_segment_fixed_size 0
		.amdhsa_kernarg_size 96
		.amdhsa_user_sgpr_count 15
		.amdhsa_user_sgpr_dispatch_ptr 0
		.amdhsa_user_sgpr_queue_ptr 0
		.amdhsa_user_sgpr_kernarg_segment_ptr 1
		.amdhsa_user_sgpr_dispatch_id 0
		.amdhsa_user_sgpr_private_segment_size 0
		.amdhsa_wavefront_size32 1
		.amdhsa_uses_dynamic_stack 0
		.amdhsa_enable_private_segment 0
		.amdhsa_system_sgpr_workgroup_id_x 1
		.amdhsa_system_sgpr_workgroup_id_y 0
		.amdhsa_system_sgpr_workgroup_id_z 0
		.amdhsa_system_sgpr_workgroup_info 0
		.amdhsa_system_vgpr_workitem_id 0
		.amdhsa_next_free_vgpr 12
		.amdhsa_next_free_sgpr 24
		.amdhsa_reserve_vcc 1
		.amdhsa_float_round_mode_32 0
		.amdhsa_float_round_mode_16_64 0
		.amdhsa_float_denorm_mode_32 3
		.amdhsa_float_denorm_mode_16_64 3
		.amdhsa_dx10_clamp 1
		.amdhsa_ieee_mode 1
		.amdhsa_fp16_overflow 0
		.amdhsa_workgroup_processor_mode 1
		.amdhsa_memory_ordered 1
		.amdhsa_forward_progress 0
		.amdhsa_shared_vgpr_count 0
		.amdhsa_exception_fp_ieee_invalid_op 0
		.amdhsa_exception_fp_denorm_src 0
		.amdhsa_exception_fp_ieee_div_zero 0
		.amdhsa_exception_fp_ieee_overflow 0
		.amdhsa_exception_fp_ieee_underflow 0
		.amdhsa_exception_fp_ieee_inexact 0
		.amdhsa_exception_int_div_zero 0
	.end_amdhsa_kernel
	.section	.text._ZN9rocsparseL20bsrxmvn_17_32_kernelILj19Efli18rocsparse_bfloat16S1_fEEvT2_20rocsparse_direction_NS_24const_host_device_scalarIT0_EES2_PKS2_PKT1_SB_S8_PKT3_PKT4_S6_PT5_21rocsparse_index_base_b,"axG",@progbits,_ZN9rocsparseL20bsrxmvn_17_32_kernelILj19Efli18rocsparse_bfloat16S1_fEEvT2_20rocsparse_direction_NS_24const_host_device_scalarIT0_EES2_PKS2_PKT1_SB_S8_PKT3_PKT4_S6_PT5_21rocsparse_index_base_b,comdat
.Lfunc_end354:
	.size	_ZN9rocsparseL20bsrxmvn_17_32_kernelILj19Efli18rocsparse_bfloat16S1_fEEvT2_20rocsparse_direction_NS_24const_host_device_scalarIT0_EES2_PKS2_PKT1_SB_S8_PKT3_PKT4_S6_PT5_21rocsparse_index_base_b, .Lfunc_end354-_ZN9rocsparseL20bsrxmvn_17_32_kernelILj19Efli18rocsparse_bfloat16S1_fEEvT2_20rocsparse_direction_NS_24const_host_device_scalarIT0_EES2_PKS2_PKT1_SB_S8_PKT3_PKT4_S6_PT5_21rocsparse_index_base_b
                                        ; -- End function
	.section	.AMDGPU.csdata,"",@progbits
; Kernel info:
; codeLenInByte = 1648
; NumSgprs: 26
; NumVgprs: 12
; ScratchSize: 0
; MemoryBound: 0
; FloatMode: 240
; IeeeMode: 1
; LDSByteSize: 1444 bytes/workgroup (compile time only)
; SGPRBlocks: 3
; VGPRBlocks: 1
; NumSGPRsForWavesPerEU: 26
; NumVGPRsForWavesPerEU: 12
; Occupancy: 15
; WaveLimiterHint : 1
; COMPUTE_PGM_RSRC2:SCRATCH_EN: 0
; COMPUTE_PGM_RSRC2:USER_SGPR: 15
; COMPUTE_PGM_RSRC2:TRAP_HANDLER: 0
; COMPUTE_PGM_RSRC2:TGID_X_EN: 1
; COMPUTE_PGM_RSRC2:TGID_Y_EN: 0
; COMPUTE_PGM_RSRC2:TGID_Z_EN: 0
; COMPUTE_PGM_RSRC2:TIDIG_COMP_CNT: 0
	.section	.text._ZN9rocsparseL20bsrxmvn_17_32_kernelILj20Efli18rocsparse_bfloat16S1_fEEvT2_20rocsparse_direction_NS_24const_host_device_scalarIT0_EES2_PKS2_PKT1_SB_S8_PKT3_PKT4_S6_PT5_21rocsparse_index_base_b,"axG",@progbits,_ZN9rocsparseL20bsrxmvn_17_32_kernelILj20Efli18rocsparse_bfloat16S1_fEEvT2_20rocsparse_direction_NS_24const_host_device_scalarIT0_EES2_PKS2_PKT1_SB_S8_PKT3_PKT4_S6_PT5_21rocsparse_index_base_b,comdat
	.globl	_ZN9rocsparseL20bsrxmvn_17_32_kernelILj20Efli18rocsparse_bfloat16S1_fEEvT2_20rocsparse_direction_NS_24const_host_device_scalarIT0_EES2_PKS2_PKT1_SB_S8_PKT3_PKT4_S6_PT5_21rocsparse_index_base_b ; -- Begin function _ZN9rocsparseL20bsrxmvn_17_32_kernelILj20Efli18rocsparse_bfloat16S1_fEEvT2_20rocsparse_direction_NS_24const_host_device_scalarIT0_EES2_PKS2_PKT1_SB_S8_PKT3_PKT4_S6_PT5_21rocsparse_index_base_b
	.p2align	8
	.type	_ZN9rocsparseL20bsrxmvn_17_32_kernelILj20Efli18rocsparse_bfloat16S1_fEEvT2_20rocsparse_direction_NS_24const_host_device_scalarIT0_EES2_PKS2_PKT1_SB_S8_PKT3_PKT4_S6_PT5_21rocsparse_index_base_b,@function
_ZN9rocsparseL20bsrxmvn_17_32_kernelILj20Efli18rocsparse_bfloat16S1_fEEvT2_20rocsparse_direction_NS_24const_host_device_scalarIT0_EES2_PKS2_PKT1_SB_S8_PKT3_PKT4_S6_PT5_21rocsparse_index_base_b: ; @_ZN9rocsparseL20bsrxmvn_17_32_kernelILj20Efli18rocsparse_bfloat16S1_fEEvT2_20rocsparse_direction_NS_24const_host_device_scalarIT0_EES2_PKS2_PKT1_SB_S8_PKT3_PKT4_S6_PT5_21rocsparse_index_base_b
; %bb.0:
	s_clause 0x2
	s_load_b64 s[16:17], s[0:1], 0x58
	s_load_b64 s[12:13], s[0:1], 0x8
	;; [unrolled: 1-line block ×3, first 2 shown]
	s_mov_b32 s10, s15
	s_waitcnt lgkmcnt(0)
	s_bitcmp1_b32 s17, 0
	s_cselect_b32 s2, -1, 0
	s_delay_alu instid0(SALU_CYCLE_1)
	s_and_b32 vcc_lo, exec_lo, s2
	s_xor_b32 s2, s2, -1
	s_cbranch_vccnz .LBB355_2
; %bb.1:
	s_load_b32 s12, s[12:13], 0x0
.LBB355_2:
	s_and_not1_b32 vcc_lo, exec_lo, s2
	s_cbranch_vccnz .LBB355_4
; %bb.3:
	s_load_b32 s8, s[8:9], 0x0
.LBB355_4:
	s_waitcnt lgkmcnt(0)
	v_cmp_neq_f32_e64 s2, s12, 0
	v_cmp_neq_f32_e64 s3, s8, 1.0
	s_delay_alu instid0(VALU_DEP_1) | instskip(NEXT) | instid1(SALU_CYCLE_1)
	s_or_b32 s2, s2, s3
	s_and_not1_b32 vcc_lo, exec_lo, s2
	s_cbranch_vccnz .LBB355_42
; %bb.5:
	s_clause 0x1
	s_load_b128 s[4:7], s[0:1], 0x18
	s_load_b64 s[14:15], s[0:1], 0x28
	s_waitcnt lgkmcnt(0)
	s_cmp_eq_u64 s[4:5], 0
	s_cbranch_scc1 .LBB355_7
; %bb.6:
	s_ashr_i32 s11, s10, 31
	s_delay_alu instid0(SALU_CYCLE_1) | instskip(NEXT) | instid1(SALU_CYCLE_1)
	s_lshl_b64 s[2:3], s[10:11], 2
	s_add_u32 s2, s4, s2
	s_addc_u32 s3, s5, s3
	s_load_b32 s2, s[2:3], 0x0
	s_waitcnt lgkmcnt(0)
	s_sub_i32 s10, s2, s16
.LBB355_7:
	s_load_b32 s3, s[0:1], 0x4
	v_mul_u32_u24_e32 v1, 0xccd, v0
	v_mov_b32_e32 v6, 0
	s_delay_alu instid0(VALU_DEP_2) | instskip(NEXT) | instid1(VALU_DEP_1)
	v_lshrrev_b32_e32 v1, 16, v1
	v_mul_lo_u16 v2, v1, 20
	s_delay_alu instid0(VALU_DEP_1)
	v_sub_nc_u16 v7, v0, v2
	s_waitcnt lgkmcnt(0)
	s_cmp_eq_u32 s3, 1
	s_cselect_b32 s2, -1, 0
	s_cmp_lg_u32 s3, 1
	s_cselect_b32 s3, -1, 0
	s_ashr_i32 s11, s10, 31
	s_delay_alu instid0(SALU_CYCLE_1) | instskip(NEXT) | instid1(SALU_CYCLE_1)
	s_lshl_b64 s[4:5], s[10:11], 3
	s_add_u32 s6, s6, s4
	s_addc_u32 s7, s7, s5
	s_add_u32 s9, s6, 8
	s_addc_u32 s11, s7, 0
	;; [unrolled: 2-line block ×3, first 2 shown]
	s_cmp_eq_u64 s[14:15], 0
	s_load_b64 s[14:15], s[0:1], 0x50
	s_cselect_b32 s5, s11, s5
	s_cselect_b32 s4, s9, s4
	s_load_b64 s[22:23], s[6:7], 0x0
	s_load_b64 s[18:19], s[4:5], 0x0
	s_waitcnt lgkmcnt(0)
	v_cmp_ge_i64_e64 s4, s[22:23], s[18:19]
	s_delay_alu instid0(VALU_DEP_1)
	s_and_b32 vcc_lo, exec_lo, s4
	s_cbranch_vccnz .LBB355_12
; %bb.8:
	v_mul_lo_u16 v2, v1, 13
	v_dual_mov_b32 v6, 0 :: v_dual_and_b32 v3, 0xffff, v0
	s_sub_u32 s18, s18, s16
	s_subb_u32 s19, s19, 0
	s_delay_alu instid0(VALU_DEP_2) | instskip(NEXT) | instid1(VALU_DEP_2)
	v_lshrrev_b16 v2, 8, v2
	v_mul_u32_u24_e32 v3, 0xa4, v3
	s_sub_u32 s20, s22, s16
	s_subb_u32 s21, s23, 0
	s_clause 0x1
	s_load_b128 s[4:7], s[0:1], 0x30
	s_load_b64 s[0:1], s[0:1], 0x40
	v_mul_lo_u16 v2, v2, 20
	v_lshrrev_b32_e32 v8, 16, v3
	s_mul_hi_u32 s9, s20, 0x320
	s_mul_i32 s11, s21, 0x320
	v_and_b32_e32 v4, 0xffff, v7
	v_sub_nc_u16 v1, v1, v2
	s_add_i32 s9, s9, s11
	v_add_co_u32 v2, s11, s22, v8
	s_delay_alu instid0(VALU_DEP_1) | instskip(NEXT) | instid1(VALU_DEP_3)
	v_add_co_ci_u32_e64 v3, null, s23, 0, s11
	v_and_b32_e32 v1, 0xff, v1
	s_delay_alu instid0(VALU_DEP_3) | instskip(NEXT) | instid1(VALU_DEP_3)
	v_sub_co_u32 v2, vcc_lo, v2, s16
	v_subrev_co_ci_u32_e32 v3, vcc_lo, 0, v3, vcc_lo
	s_delay_alu instid0(VALU_DEP_3) | instskip(SKIP_2) | instid1(VALU_DEP_3)
	v_cndmask_b32_e64 v1, v4, v1, s2
	v_lshlrev_b32_e32 v9, 1, v0
	s_mul_i32 s13, s20, 0x320
	v_lshlrev_b64 v[4:5], 2, v[2:3]
	s_waitcnt lgkmcnt(0)
	s_add_u32 s2, s6, s13
	s_addc_u32 s6, s7, s9
	v_add_co_u32 v2, s2, s2, v9
	s_delay_alu instid0(VALU_DEP_1)
	v_add_co_ci_u32_e64 v3, null, s6, 0, s2
	v_add_co_u32 v4, vcc_lo, s4, v4
	v_add_co_ci_u32_e32 v5, vcc_lo, s5, v5, vcc_lo
	s_set_inst_prefetch_distance 0x1
	s_branch .LBB355_10
	.p2align	6
.LBB355_9:                              ;   in Loop: Header=BB355_10 Depth=1
	s_or_b32 exec_lo, exec_lo, s2
	s_add_u32 s20, s20, 1
	s_addc_u32 s21, s21, 0
	v_add_co_u32 v4, vcc_lo, v4, 4
	v_cmp_lt_i64_e64 s2, s[20:21], s[18:19]
	v_add_co_ci_u32_e32 v5, vcc_lo, 0, v5, vcc_lo
	s_delay_alu instid0(VALU_DEP_2)
	s_and_b32 vcc_lo, exec_lo, s2
	s_cbranch_vccz .LBB355_12
.LBB355_10:                             ; =>This Inner Loop Header: Depth=1
	v_add_co_u32 v9, s2, v8, s20
	s_delay_alu instid0(VALU_DEP_1) | instskip(SKIP_1) | instid1(VALU_DEP_1)
	v_add_co_ci_u32_e64 v10, null, 0, s21, s2
	s_mov_b32 s2, exec_lo
	v_cmpx_gt_i64_e64 s[18:19], v[9:10]
	s_cbranch_execz .LBB355_9
; %bb.11:                               ;   in Loop: Header=BB355_10 Depth=1
	global_load_b32 v9, v[4:5], off
	s_waitcnt vmcnt(0)
	v_subrev_nc_u32_e32 v11, s16, v9
	s_delay_alu instid0(VALU_DEP_1) | instskip(NEXT) | instid1(VALU_DEP_1)
	v_mad_u64_u32 v[9:10], null, v11, 20, v[1:2]
	v_ashrrev_i32_e32 v10, 31, v9
	s_delay_alu instid0(VALU_DEP_1) | instskip(NEXT) | instid1(VALU_DEP_1)
	v_lshlrev_b64 v[9:10], 1, v[9:10]
	v_add_co_u32 v9, vcc_lo, s0, v9
	s_delay_alu instid0(VALU_DEP_2)
	v_add_co_ci_u32_e32 v10, vcc_lo, s1, v10, vcc_lo
	global_load_u16 v11, v[2:3], off
	global_load_u16 v9, v[9:10], off
	v_add_co_u32 v2, vcc_lo, 0x320, v2
	v_add_co_ci_u32_e32 v3, vcc_lo, 0, v3, vcc_lo
	s_waitcnt vmcnt(1)
	v_lshlrev_b32_e32 v10, 16, v11
	s_waitcnt vmcnt(0)
	v_lshlrev_b32_e32 v9, 16, v9
	s_delay_alu instid0(VALU_DEP_1)
	v_fmac_f32_e32 v6, v10, v9
	s_branch .LBB355_9
.LBB355_12:
	s_set_inst_prefetch_distance 0x2
	v_lshlrev_b32_e32 v1, 2, v0
	s_and_b32 vcc_lo, exec_lo, s3
	ds_store_b32 v1, v6
	s_waitcnt lgkmcnt(0)
	s_barrier
	buffer_gl0_inv
	s_cbranch_vccz .LBB355_24
; %bb.13:
	v_cmp_gt_u16_e32 vcc_lo, 4, v7
	s_and_saveexec_b32 s0, vcc_lo
	s_cbranch_execz .LBB355_15
; %bb.14:
	ds_load_2addr_b32 v[2:3], v1 offset1:16
	s_waitcnt lgkmcnt(0)
	v_add_f32_e32 v2, v3, v2
	ds_store_b32 v1, v2
.LBB355_15:
	s_or_b32 exec_lo, exec_lo, s0
	s_delay_alu instid0(SALU_CYCLE_1)
	s_mov_b32 s1, exec_lo
	s_waitcnt lgkmcnt(0)
	s_barrier
	buffer_gl0_inv
	v_cmpx_gt_u16_e32 8, v7
	s_cbranch_execz .LBB355_17
; %bb.16:
	ds_load_2addr_b32 v[2:3], v1 offset1:8
	s_waitcnt lgkmcnt(0)
	v_add_f32_e32 v2, v3, v2
	ds_store_b32 v1, v2
.LBB355_17:
	s_or_b32 exec_lo, exec_lo, s1
	s_waitcnt lgkmcnt(0)
	s_barrier
	buffer_gl0_inv
	s_and_saveexec_b32 s0, vcc_lo
	s_cbranch_execz .LBB355_19
; %bb.18:
	ds_load_2addr_b32 v[2:3], v1 offset1:4
	s_waitcnt lgkmcnt(0)
	v_add_f32_e32 v2, v3, v2
	ds_store_b32 v1, v2
.LBB355_19:
	s_or_b32 exec_lo, exec_lo, s0
	s_delay_alu instid0(SALU_CYCLE_1)
	s_mov_b32 s0, exec_lo
	s_waitcnt lgkmcnt(0)
	s_barrier
	buffer_gl0_inv
	v_cmpx_gt_u16_e32 2, v7
	s_cbranch_execz .LBB355_21
; %bb.20:
	ds_load_2addr_b32 v[2:3], v1 offset1:2
	s_waitcnt lgkmcnt(0)
	v_add_f32_e32 v2, v3, v2
	ds_store_b32 v1, v2
.LBB355_21:
	s_or_b32 exec_lo, exec_lo, s0
	s_mov_b32 s0, 0
	s_mov_b32 s1, 0
	s_mov_b32 s2, exec_lo
	s_waitcnt lgkmcnt(0)
	s_barrier
	buffer_gl0_inv
                                        ; implicit-def: $vgpr2
                                        ; implicit-def: $vgpr3
	v_cmpx_gt_u32_e32 20, v0
	s_xor_b32 s2, exec_lo, s2
; %bb.22:
	v_mul_u32_u24_e32 v2, 20, v0
	v_mad_u32_u24 v3, 0x4c, v0, v1
	s_mov_b32 s1, exec_lo
	s_delay_alu instid0(VALU_DEP_2)
	v_or_b32_e32 v2, 1, v2
; %bb.23:
	s_or_b32 exec_lo, exec_lo, s2
	s_delay_alu instid0(SALU_CYCLE_1)
	s_and_b32 vcc_lo, exec_lo, s0
	s_cbranch_vccnz .LBB355_25
	s_branch .LBB355_36
.LBB355_24:
	s_mov_b32 s1, 0
                                        ; implicit-def: $vgpr2
                                        ; implicit-def: $vgpr3
	s_cbranch_execz .LBB355_36
.LBB355_25:
	v_cmp_gt_u32_e32 vcc_lo, 0x50, v0
	s_and_saveexec_b32 s0, vcc_lo
	s_cbranch_execz .LBB355_27
; %bb.26:
	ds_load_2addr_stride64_b32 v[2:3], v1 offset1:5
	s_waitcnt lgkmcnt(0)
	v_add_f32_e32 v2, v3, v2
	ds_store_b32 v1, v2
.LBB355_27:
	s_or_b32 exec_lo, exec_lo, s0
	s_delay_alu instid0(SALU_CYCLE_1)
	s_mov_b32 s2, exec_lo
	s_waitcnt lgkmcnt(0)
	s_barrier
	buffer_gl0_inv
	v_cmpx_gt_u32_e32 0xa0, v0
	s_cbranch_execz .LBB355_29
; %bb.28:
	ds_load_2addr_b32 v[2:3], v1 offset1:160
	s_waitcnt lgkmcnt(0)
	v_add_f32_e32 v2, v3, v2
	ds_store_b32 v1, v2
.LBB355_29:
	s_or_b32 exec_lo, exec_lo, s2
	s_waitcnt lgkmcnt(0)
	s_barrier
	buffer_gl0_inv
	s_and_saveexec_b32 s0, vcc_lo
	s_cbranch_execz .LBB355_31
; %bb.30:
	ds_load_2addr_b32 v[2:3], v1 offset1:80
	s_waitcnt lgkmcnt(0)
	v_add_f32_e32 v2, v3, v2
	ds_store_b32 v1, v2
.LBB355_31:
	s_or_b32 exec_lo, exec_lo, s0
	s_delay_alu instid0(SALU_CYCLE_1)
	s_mov_b32 s0, exec_lo
	s_waitcnt lgkmcnt(0)
	s_barrier
	buffer_gl0_inv
	v_cmpx_gt_u32_e32 40, v0
	s_cbranch_execz .LBB355_33
; %bb.32:
	ds_load_2addr_b32 v[2:3], v1 offset1:40
	s_waitcnt lgkmcnt(0)
	v_add_f32_e32 v2, v3, v2
	ds_store_b32 v1, v2
.LBB355_33:
	s_or_b32 exec_lo, exec_lo, s0
	s_delay_alu instid0(SALU_CYCLE_1)
	s_mov_b32 s0, exec_lo
	s_waitcnt lgkmcnt(0)
	buffer_gl0_inv
                                        ; implicit-def: $vgpr2
	v_cmpx_gt_u32_e32 20, v0
; %bb.34:
	v_add_nc_u32_e32 v2, 20, v0
	s_or_b32 s1, s1, exec_lo
                                        ; implicit-def: $vgpr6
; %bb.35:
	s_or_b32 exec_lo, exec_lo, s0
	v_mov_b32_e32 v3, v1
.LBB355_36:
	s_and_saveexec_b32 s0, s1
	s_cbranch_execz .LBB355_38
; %bb.37:
	v_lshlrev_b32_e32 v1, 2, v2
	ds_load_b32 v2, v3
	ds_load_b32 v1, v1
	s_waitcnt lgkmcnt(0)
	v_add_f32_e32 v6, v2, v1
.LBB355_38:
	s_or_b32 exec_lo, exec_lo, s0
	s_delay_alu instid0(SALU_CYCLE_1)
	s_mov_b32 s0, exec_lo
	v_cmpx_gt_u32_e32 20, v0
	s_cbranch_execz .LBB355_42
; %bb.39:
	v_cmp_eq_f32_e64 s0, s8, 0
	v_mul_f32_e32 v1, s12, v6
	s_delay_alu instid0(VALU_DEP_2)
	s_and_b32 vcc_lo, exec_lo, s0
	s_mov_b32 s0, 0
	s_cbranch_vccz .LBB355_43
; %bb.40:
	s_delay_alu instid0(VALU_DEP_1) | instskip(SKIP_1) | instid1(VALU_DEP_1)
	v_mad_u64_u32 v[2:3], null, s10, 20, v[0:1]
	v_mov_b32_e32 v3, 0
	v_lshlrev_b64 v[2:3], 2, v[2:3]
	s_delay_alu instid0(VALU_DEP_1) | instskip(NEXT) | instid1(VALU_DEP_2)
	v_add_co_u32 v2, vcc_lo, s14, v2
	v_add_co_ci_u32_e32 v3, vcc_lo, s15, v3, vcc_lo
	global_store_b32 v[2:3], v1, off
	s_and_not1_b32 vcc_lo, exec_lo, s0
	s_cbranch_vccnz .LBB355_42
.LBB355_41:
	v_mad_u64_u32 v[2:3], null, s10, 20, v[0:1]
	v_mov_b32_e32 v3, 0
	s_delay_alu instid0(VALU_DEP_1) | instskip(NEXT) | instid1(VALU_DEP_1)
	v_lshlrev_b64 v[2:3], 2, v[2:3]
	v_add_co_u32 v2, vcc_lo, s14, v2
	s_delay_alu instid0(VALU_DEP_2)
	v_add_co_ci_u32_e32 v3, vcc_lo, s15, v3, vcc_lo
	global_load_b32 v0, v[2:3], off
	s_waitcnt vmcnt(0)
	v_fmac_f32_e32 v1, s8, v0
	global_store_b32 v[2:3], v1, off
.LBB355_42:
	s_nop 0
	s_sendmsg sendmsg(MSG_DEALLOC_VGPRS)
	s_endpgm
.LBB355_43:
	s_branch .LBB355_41
	.section	.rodata,"a",@progbits
	.p2align	6, 0x0
	.amdhsa_kernel _ZN9rocsparseL20bsrxmvn_17_32_kernelILj20Efli18rocsparse_bfloat16S1_fEEvT2_20rocsparse_direction_NS_24const_host_device_scalarIT0_EES2_PKS2_PKT1_SB_S8_PKT3_PKT4_S6_PT5_21rocsparse_index_base_b
		.amdhsa_group_segment_fixed_size 1600
		.amdhsa_private_segment_fixed_size 0
		.amdhsa_kernarg_size 96
		.amdhsa_user_sgpr_count 15
		.amdhsa_user_sgpr_dispatch_ptr 0
		.amdhsa_user_sgpr_queue_ptr 0
		.amdhsa_user_sgpr_kernarg_segment_ptr 1
		.amdhsa_user_sgpr_dispatch_id 0
		.amdhsa_user_sgpr_private_segment_size 0
		.amdhsa_wavefront_size32 1
		.amdhsa_uses_dynamic_stack 0
		.amdhsa_enable_private_segment 0
		.amdhsa_system_sgpr_workgroup_id_x 1
		.amdhsa_system_sgpr_workgroup_id_y 0
		.amdhsa_system_sgpr_workgroup_id_z 0
		.amdhsa_system_sgpr_workgroup_info 0
		.amdhsa_system_vgpr_workitem_id 0
		.amdhsa_next_free_vgpr 12
		.amdhsa_next_free_sgpr 24
		.amdhsa_reserve_vcc 1
		.amdhsa_float_round_mode_32 0
		.amdhsa_float_round_mode_16_64 0
		.amdhsa_float_denorm_mode_32 3
		.amdhsa_float_denorm_mode_16_64 3
		.amdhsa_dx10_clamp 1
		.amdhsa_ieee_mode 1
		.amdhsa_fp16_overflow 0
		.amdhsa_workgroup_processor_mode 1
		.amdhsa_memory_ordered 1
		.amdhsa_forward_progress 0
		.amdhsa_shared_vgpr_count 0
		.amdhsa_exception_fp_ieee_invalid_op 0
		.amdhsa_exception_fp_denorm_src 0
		.amdhsa_exception_fp_ieee_div_zero 0
		.amdhsa_exception_fp_ieee_overflow 0
		.amdhsa_exception_fp_ieee_underflow 0
		.amdhsa_exception_fp_ieee_inexact 0
		.amdhsa_exception_int_div_zero 0
	.end_amdhsa_kernel
	.section	.text._ZN9rocsparseL20bsrxmvn_17_32_kernelILj20Efli18rocsparse_bfloat16S1_fEEvT2_20rocsparse_direction_NS_24const_host_device_scalarIT0_EES2_PKS2_PKT1_SB_S8_PKT3_PKT4_S6_PT5_21rocsparse_index_base_b,"axG",@progbits,_ZN9rocsparseL20bsrxmvn_17_32_kernelILj20Efli18rocsparse_bfloat16S1_fEEvT2_20rocsparse_direction_NS_24const_host_device_scalarIT0_EES2_PKS2_PKT1_SB_S8_PKT3_PKT4_S6_PT5_21rocsparse_index_base_b,comdat
.Lfunc_end355:
	.size	_ZN9rocsparseL20bsrxmvn_17_32_kernelILj20Efli18rocsparse_bfloat16S1_fEEvT2_20rocsparse_direction_NS_24const_host_device_scalarIT0_EES2_PKS2_PKT1_SB_S8_PKT3_PKT4_S6_PT5_21rocsparse_index_base_b, .Lfunc_end355-_ZN9rocsparseL20bsrxmvn_17_32_kernelILj20Efli18rocsparse_bfloat16S1_fEEvT2_20rocsparse_direction_NS_24const_host_device_scalarIT0_EES2_PKS2_PKT1_SB_S8_PKT3_PKT4_S6_PT5_21rocsparse_index_base_b
                                        ; -- End function
	.section	.AMDGPU.csdata,"",@progbits
; Kernel info:
; codeLenInByte = 1628
; NumSgprs: 26
; NumVgprs: 12
; ScratchSize: 0
; MemoryBound: 0
; FloatMode: 240
; IeeeMode: 1
; LDSByteSize: 1600 bytes/workgroup (compile time only)
; SGPRBlocks: 3
; VGPRBlocks: 1
; NumSGPRsForWavesPerEU: 26
; NumVGPRsForWavesPerEU: 12
; Occupancy: 13
; WaveLimiterHint : 1
; COMPUTE_PGM_RSRC2:SCRATCH_EN: 0
; COMPUTE_PGM_RSRC2:USER_SGPR: 15
; COMPUTE_PGM_RSRC2:TRAP_HANDLER: 0
; COMPUTE_PGM_RSRC2:TGID_X_EN: 1
; COMPUTE_PGM_RSRC2:TGID_Y_EN: 0
; COMPUTE_PGM_RSRC2:TGID_Z_EN: 0
; COMPUTE_PGM_RSRC2:TIDIG_COMP_CNT: 0
	.section	.text._ZN9rocsparseL20bsrxmvn_17_32_kernelILj21Efli18rocsparse_bfloat16S1_fEEvT2_20rocsparse_direction_NS_24const_host_device_scalarIT0_EES2_PKS2_PKT1_SB_S8_PKT3_PKT4_S6_PT5_21rocsparse_index_base_b,"axG",@progbits,_ZN9rocsparseL20bsrxmvn_17_32_kernelILj21Efli18rocsparse_bfloat16S1_fEEvT2_20rocsparse_direction_NS_24const_host_device_scalarIT0_EES2_PKS2_PKT1_SB_S8_PKT3_PKT4_S6_PT5_21rocsparse_index_base_b,comdat
	.globl	_ZN9rocsparseL20bsrxmvn_17_32_kernelILj21Efli18rocsparse_bfloat16S1_fEEvT2_20rocsparse_direction_NS_24const_host_device_scalarIT0_EES2_PKS2_PKT1_SB_S8_PKT3_PKT4_S6_PT5_21rocsparse_index_base_b ; -- Begin function _ZN9rocsparseL20bsrxmvn_17_32_kernelILj21Efli18rocsparse_bfloat16S1_fEEvT2_20rocsparse_direction_NS_24const_host_device_scalarIT0_EES2_PKS2_PKT1_SB_S8_PKT3_PKT4_S6_PT5_21rocsparse_index_base_b
	.p2align	8
	.type	_ZN9rocsparseL20bsrxmvn_17_32_kernelILj21Efli18rocsparse_bfloat16S1_fEEvT2_20rocsparse_direction_NS_24const_host_device_scalarIT0_EES2_PKS2_PKT1_SB_S8_PKT3_PKT4_S6_PT5_21rocsparse_index_base_b,@function
_ZN9rocsparseL20bsrxmvn_17_32_kernelILj21Efli18rocsparse_bfloat16S1_fEEvT2_20rocsparse_direction_NS_24const_host_device_scalarIT0_EES2_PKS2_PKT1_SB_S8_PKT3_PKT4_S6_PT5_21rocsparse_index_base_b: ; @_ZN9rocsparseL20bsrxmvn_17_32_kernelILj21Efli18rocsparse_bfloat16S1_fEEvT2_20rocsparse_direction_NS_24const_host_device_scalarIT0_EES2_PKS2_PKT1_SB_S8_PKT3_PKT4_S6_PT5_21rocsparse_index_base_b
; %bb.0:
	s_clause 0x2
	s_load_b64 s[16:17], s[0:1], 0x58
	s_load_b64 s[12:13], s[0:1], 0x8
	;; [unrolled: 1-line block ×3, first 2 shown]
	s_mov_b32 s10, s15
	s_waitcnt lgkmcnt(0)
	s_bitcmp1_b32 s17, 0
	s_cselect_b32 s2, -1, 0
	s_delay_alu instid0(SALU_CYCLE_1)
	s_and_b32 vcc_lo, exec_lo, s2
	s_xor_b32 s2, s2, -1
	s_cbranch_vccnz .LBB356_2
; %bb.1:
	s_load_b32 s12, s[12:13], 0x0
.LBB356_2:
	s_and_not1_b32 vcc_lo, exec_lo, s2
	s_cbranch_vccnz .LBB356_4
; %bb.3:
	s_load_b32 s8, s[8:9], 0x0
.LBB356_4:
	s_waitcnt lgkmcnt(0)
	v_cmp_neq_f32_e64 s2, s12, 0
	v_cmp_neq_f32_e64 s3, s8, 1.0
	s_delay_alu instid0(VALU_DEP_1) | instskip(NEXT) | instid1(SALU_CYCLE_1)
	s_or_b32 s2, s2, s3
	s_and_not1_b32 vcc_lo, exec_lo, s2
	s_cbranch_vccnz .LBB356_42
; %bb.5:
	s_clause 0x1
	s_load_b128 s[4:7], s[0:1], 0x18
	s_load_b64 s[14:15], s[0:1], 0x28
	s_waitcnt lgkmcnt(0)
	s_cmp_eq_u64 s[4:5], 0
	s_cbranch_scc1 .LBB356_7
; %bb.6:
	s_ashr_i32 s11, s10, 31
	s_delay_alu instid0(SALU_CYCLE_1) | instskip(NEXT) | instid1(SALU_CYCLE_1)
	s_lshl_b64 s[2:3], s[10:11], 2
	s_add_u32 s2, s4, s2
	s_addc_u32 s3, s5, s3
	s_load_b32 s2, s[2:3], 0x0
	s_waitcnt lgkmcnt(0)
	s_sub_i32 s10, s2, s16
.LBB356_7:
	s_load_b32 s3, s[0:1], 0x4
	v_mul_u32_u24_e32 v1, 0xc31, v0
	v_mov_b32_e32 v6, 0
	s_delay_alu instid0(VALU_DEP_2) | instskip(NEXT) | instid1(VALU_DEP_1)
	v_lshrrev_b32_e32 v1, 16, v1
	v_mul_lo_u16 v2, v1, 21
	s_delay_alu instid0(VALU_DEP_1)
	v_sub_nc_u16 v7, v0, v2
	s_waitcnt lgkmcnt(0)
	s_cmp_eq_u32 s3, 1
	s_cselect_b32 s2, -1, 0
	s_cmp_lg_u32 s3, 1
	s_cselect_b32 s3, -1, 0
	s_ashr_i32 s11, s10, 31
	s_delay_alu instid0(SALU_CYCLE_1) | instskip(NEXT) | instid1(SALU_CYCLE_1)
	s_lshl_b64 s[4:5], s[10:11], 3
	s_add_u32 s6, s6, s4
	s_addc_u32 s7, s7, s5
	s_add_u32 s9, s6, 8
	s_addc_u32 s11, s7, 0
	;; [unrolled: 2-line block ×3, first 2 shown]
	s_cmp_eq_u64 s[14:15], 0
	s_load_b64 s[14:15], s[0:1], 0x50
	s_cselect_b32 s5, s11, s5
	s_cselect_b32 s4, s9, s4
	s_load_b64 s[22:23], s[6:7], 0x0
	s_load_b64 s[18:19], s[4:5], 0x0
	s_waitcnt lgkmcnt(0)
	v_cmp_ge_i64_e64 s4, s[22:23], s[18:19]
	s_delay_alu instid0(VALU_DEP_1)
	s_and_b32 vcc_lo, exec_lo, s4
	s_cbranch_vccnz .LBB356_12
; %bb.8:
	v_mul_lo_u16 v2, v1, 25
	v_dual_mov_b32 v6, 0 :: v_dual_and_b32 v3, 0xffff, v0
	s_sub_u32 s18, s18, s16
	s_subb_u32 s19, s19, 0
	s_delay_alu instid0(VALU_DEP_2) | instskip(NEXT) | instid1(VALU_DEP_2)
	v_lshrrev_b16 v2, 9, v2
	v_mul_u32_u24_e32 v3, 0x253, v3
	s_sub_u32 s20, s22, s16
	s_subb_u32 s21, s23, 0
	s_clause 0x1
	s_load_b128 s[4:7], s[0:1], 0x30
	s_load_b64 s[0:1], s[0:1], 0x40
	v_mul_lo_u16 v2, v2, 21
	v_lshrrev_b32_e32 v8, 18, v3
	s_mul_hi_u32 s9, s20, 0x372
	s_mul_i32 s11, s21, 0x372
	v_and_b32_e32 v4, 0xffff, v7
	v_sub_nc_u16 v1, v1, v2
	s_add_i32 s9, s9, s11
	v_add_co_u32 v2, s11, s22, v8
	s_delay_alu instid0(VALU_DEP_1) | instskip(NEXT) | instid1(VALU_DEP_3)
	v_add_co_ci_u32_e64 v3, null, s23, 0, s11
	v_and_b32_e32 v1, 0xff, v1
	s_delay_alu instid0(VALU_DEP_3) | instskip(NEXT) | instid1(VALU_DEP_3)
	v_sub_co_u32 v2, vcc_lo, v2, s16
	v_subrev_co_ci_u32_e32 v3, vcc_lo, 0, v3, vcc_lo
	s_delay_alu instid0(VALU_DEP_3) | instskip(SKIP_2) | instid1(VALU_DEP_3)
	v_cndmask_b32_e64 v1, v4, v1, s2
	v_lshlrev_b32_e32 v9, 1, v0
	s_mul_i32 s13, s20, 0x372
	v_lshlrev_b64 v[4:5], 2, v[2:3]
	s_waitcnt lgkmcnt(0)
	s_add_u32 s2, s6, s13
	s_addc_u32 s6, s7, s9
	v_add_co_u32 v2, s2, s2, v9
	s_delay_alu instid0(VALU_DEP_1)
	v_add_co_ci_u32_e64 v3, null, s6, 0, s2
	v_add_co_u32 v4, vcc_lo, s4, v4
	v_add_co_ci_u32_e32 v5, vcc_lo, s5, v5, vcc_lo
	s_set_inst_prefetch_distance 0x1
	s_branch .LBB356_10
	.p2align	6
.LBB356_9:                              ;   in Loop: Header=BB356_10 Depth=1
	s_or_b32 exec_lo, exec_lo, s2
	s_add_u32 s20, s20, 1
	s_addc_u32 s21, s21, 0
	v_add_co_u32 v4, vcc_lo, v4, 4
	v_cmp_lt_i64_e64 s2, s[20:21], s[18:19]
	v_add_co_ci_u32_e32 v5, vcc_lo, 0, v5, vcc_lo
	s_delay_alu instid0(VALU_DEP_2)
	s_and_b32 vcc_lo, exec_lo, s2
	s_cbranch_vccz .LBB356_12
.LBB356_10:                             ; =>This Inner Loop Header: Depth=1
	v_add_co_u32 v9, s2, v8, s20
	s_delay_alu instid0(VALU_DEP_1) | instskip(SKIP_1) | instid1(VALU_DEP_1)
	v_add_co_ci_u32_e64 v10, null, 0, s21, s2
	s_mov_b32 s2, exec_lo
	v_cmpx_gt_i64_e64 s[18:19], v[9:10]
	s_cbranch_execz .LBB356_9
; %bb.11:                               ;   in Loop: Header=BB356_10 Depth=1
	global_load_b32 v9, v[4:5], off
	s_waitcnt vmcnt(0)
	v_subrev_nc_u32_e32 v11, s16, v9
	s_delay_alu instid0(VALU_DEP_1) | instskip(NEXT) | instid1(VALU_DEP_1)
	v_mad_u64_u32 v[9:10], null, v11, 21, v[1:2]
	v_ashrrev_i32_e32 v10, 31, v9
	s_delay_alu instid0(VALU_DEP_1) | instskip(NEXT) | instid1(VALU_DEP_1)
	v_lshlrev_b64 v[9:10], 1, v[9:10]
	v_add_co_u32 v9, vcc_lo, s0, v9
	s_delay_alu instid0(VALU_DEP_2)
	v_add_co_ci_u32_e32 v10, vcc_lo, s1, v10, vcc_lo
	global_load_u16 v11, v[2:3], off
	global_load_u16 v9, v[9:10], off
	v_add_co_u32 v2, vcc_lo, 0x372, v2
	v_add_co_ci_u32_e32 v3, vcc_lo, 0, v3, vcc_lo
	s_waitcnt vmcnt(1)
	v_lshlrev_b32_e32 v10, 16, v11
	s_waitcnt vmcnt(0)
	v_lshlrev_b32_e32 v9, 16, v9
	s_delay_alu instid0(VALU_DEP_1)
	v_fmac_f32_e32 v6, v10, v9
	s_branch .LBB356_9
.LBB356_12:
	s_set_inst_prefetch_distance 0x2
	v_lshlrev_b32_e32 v1, 2, v0
	s_and_b32 vcc_lo, exec_lo, s3
	ds_store_b32 v1, v6
	s_waitcnt lgkmcnt(0)
	s_barrier
	buffer_gl0_inv
	s_cbranch_vccz .LBB356_24
; %bb.13:
	s_mov_b32 s0, exec_lo
	v_cmpx_gt_u16_e32 5, v7
	s_cbranch_execz .LBB356_15
; %bb.14:
	ds_load_2addr_b32 v[2:3], v1 offset1:16
	s_waitcnt lgkmcnt(0)
	v_add_f32_e32 v2, v3, v2
	ds_store_b32 v1, v2
.LBB356_15:
	s_or_b32 exec_lo, exec_lo, s0
	s_delay_alu instid0(SALU_CYCLE_1)
	s_mov_b32 s0, exec_lo
	s_waitcnt lgkmcnt(0)
	s_barrier
	buffer_gl0_inv
	v_cmpx_gt_u16_e32 8, v7
	s_cbranch_execz .LBB356_17
; %bb.16:
	ds_load_2addr_b32 v[2:3], v1 offset1:8
	s_waitcnt lgkmcnt(0)
	v_add_f32_e32 v2, v3, v2
	ds_store_b32 v1, v2
.LBB356_17:
	s_or_b32 exec_lo, exec_lo, s0
	s_delay_alu instid0(SALU_CYCLE_1)
	s_mov_b32 s0, exec_lo
	s_waitcnt lgkmcnt(0)
	s_barrier
	buffer_gl0_inv
	;; [unrolled: 14-line block ×3, first 2 shown]
	v_cmpx_gt_u16_e32 2, v7
	s_cbranch_execz .LBB356_21
; %bb.20:
	ds_load_2addr_b32 v[2:3], v1 offset1:2
	s_waitcnt lgkmcnt(0)
	v_add_f32_e32 v2, v3, v2
	ds_store_b32 v1, v2
.LBB356_21:
	s_or_b32 exec_lo, exec_lo, s0
	s_mov_b32 s1, 0
	s_mov_b32 s0, 0
	s_mov_b32 s2, exec_lo
	s_waitcnt lgkmcnt(0)
	s_barrier
	buffer_gl0_inv
                                        ; implicit-def: $vgpr2
                                        ; implicit-def: $vgpr3
	v_cmpx_gt_u32_e32 21, v0
	s_xor_b32 s2, exec_lo, s2
; %bb.22:
	v_mad_u32_u24 v2, v0, 21, 1
	v_mad_u32_u24 v3, 0x50, v0, v1
	s_mov_b32 s0, exec_lo
; %bb.23:
	s_or_b32 exec_lo, exec_lo, s2
	s_delay_alu instid0(SALU_CYCLE_1)
	s_and_b32 vcc_lo, exec_lo, s1
	s_cbranch_vccnz .LBB356_25
	s_branch .LBB356_36
.LBB356_24:
	s_mov_b32 s0, 0
                                        ; implicit-def: $vgpr2
                                        ; implicit-def: $vgpr3
	s_cbranch_execz .LBB356_36
.LBB356_25:
	s_mov_b32 s1, exec_lo
	v_cmpx_gt_u32_e32 0x69, v0
	s_cbranch_execz .LBB356_27
; %bb.26:
	ds_load_b32 v2, v1 offset:1344
	ds_load_b32 v3, v1
	s_waitcnt lgkmcnt(0)
	v_add_f32_e32 v2, v2, v3
	ds_store_b32 v1, v2
.LBB356_27:
	s_or_b32 exec_lo, exec_lo, s1
	s_delay_alu instid0(SALU_CYCLE_1)
	s_mov_b32 s1, exec_lo
	s_waitcnt lgkmcnt(0)
	s_barrier
	buffer_gl0_inv
	v_cmpx_gt_u32_e32 0xa8, v0
	s_cbranch_execz .LBB356_29
; %bb.28:
	ds_load_2addr_b32 v[2:3], v1 offset1:168
	s_waitcnt lgkmcnt(0)
	v_add_f32_e32 v2, v3, v2
	ds_store_b32 v1, v2
.LBB356_29:
	s_or_b32 exec_lo, exec_lo, s1
	s_delay_alu instid0(SALU_CYCLE_1)
	s_mov_b32 s1, exec_lo
	s_waitcnt lgkmcnt(0)
	s_barrier
	buffer_gl0_inv
	v_cmpx_gt_u32_e32 0x54, v0
	s_cbranch_execz .LBB356_31
; %bb.30:
	ds_load_2addr_b32 v[2:3], v1 offset1:84
	s_waitcnt lgkmcnt(0)
	v_add_f32_e32 v2, v3, v2
	ds_store_b32 v1, v2
.LBB356_31:
	;; [unrolled: 14-line block ×3, first 2 shown]
	s_or_b32 exec_lo, exec_lo, s1
	s_delay_alu instid0(SALU_CYCLE_1)
	s_mov_b32 s1, exec_lo
	s_waitcnt lgkmcnt(0)
	buffer_gl0_inv
                                        ; implicit-def: $vgpr2
	v_cmpx_gt_u32_e32 21, v0
; %bb.34:
	v_add_nc_u32_e32 v2, 21, v0
	s_or_b32 s0, s0, exec_lo
                                        ; implicit-def: $vgpr6
; %bb.35:
	s_or_b32 exec_lo, exec_lo, s1
	v_mov_b32_e32 v3, v1
.LBB356_36:
	s_and_saveexec_b32 s1, s0
	s_cbranch_execz .LBB356_38
; %bb.37:
	v_lshlrev_b32_e32 v1, 2, v2
	ds_load_b32 v2, v3
	ds_load_b32 v1, v1
	s_waitcnt lgkmcnt(0)
	v_add_f32_e32 v6, v2, v1
.LBB356_38:
	s_or_b32 exec_lo, exec_lo, s1
	s_delay_alu instid0(SALU_CYCLE_1)
	s_mov_b32 s0, exec_lo
	v_cmpx_gt_u32_e32 21, v0
	s_cbranch_execz .LBB356_42
; %bb.39:
	v_cmp_eq_f32_e64 s0, s8, 0
	v_mul_f32_e32 v1, s12, v6
	s_delay_alu instid0(VALU_DEP_2)
	s_and_b32 vcc_lo, exec_lo, s0
	s_mov_b32 s0, 0
	s_cbranch_vccz .LBB356_43
; %bb.40:
	s_delay_alu instid0(VALU_DEP_1) | instskip(SKIP_1) | instid1(VALU_DEP_1)
	v_mad_u64_u32 v[2:3], null, s10, 21, v[0:1]
	v_mov_b32_e32 v3, 0
	v_lshlrev_b64 v[2:3], 2, v[2:3]
	s_delay_alu instid0(VALU_DEP_1) | instskip(NEXT) | instid1(VALU_DEP_2)
	v_add_co_u32 v2, vcc_lo, s14, v2
	v_add_co_ci_u32_e32 v3, vcc_lo, s15, v3, vcc_lo
	global_store_b32 v[2:3], v1, off
	s_and_not1_b32 vcc_lo, exec_lo, s0
	s_cbranch_vccnz .LBB356_42
.LBB356_41:
	v_mad_u64_u32 v[2:3], null, s10, 21, v[0:1]
	v_mov_b32_e32 v3, 0
	s_delay_alu instid0(VALU_DEP_1) | instskip(NEXT) | instid1(VALU_DEP_1)
	v_lshlrev_b64 v[2:3], 2, v[2:3]
	v_add_co_u32 v2, vcc_lo, s14, v2
	s_delay_alu instid0(VALU_DEP_2)
	v_add_co_ci_u32_e32 v3, vcc_lo, s15, v3, vcc_lo
	global_load_b32 v0, v[2:3], off
	s_waitcnt vmcnt(0)
	v_fmac_f32_e32 v1, s8, v0
	global_store_b32 v[2:3], v1, off
.LBB356_42:
	s_nop 0
	s_sendmsg sendmsg(MSG_DEALLOC_VGPRS)
	s_endpgm
.LBB356_43:
	s_branch .LBB356_41
	.section	.rodata,"a",@progbits
	.p2align	6, 0x0
	.amdhsa_kernel _ZN9rocsparseL20bsrxmvn_17_32_kernelILj21Efli18rocsparse_bfloat16S1_fEEvT2_20rocsparse_direction_NS_24const_host_device_scalarIT0_EES2_PKS2_PKT1_SB_S8_PKT3_PKT4_S6_PT5_21rocsparse_index_base_b
		.amdhsa_group_segment_fixed_size 1764
		.amdhsa_private_segment_fixed_size 0
		.amdhsa_kernarg_size 96
		.amdhsa_user_sgpr_count 15
		.amdhsa_user_sgpr_dispatch_ptr 0
		.amdhsa_user_sgpr_queue_ptr 0
		.amdhsa_user_sgpr_kernarg_segment_ptr 1
		.amdhsa_user_sgpr_dispatch_id 0
		.amdhsa_user_sgpr_private_segment_size 0
		.amdhsa_wavefront_size32 1
		.amdhsa_uses_dynamic_stack 0
		.amdhsa_enable_private_segment 0
		.amdhsa_system_sgpr_workgroup_id_x 1
		.amdhsa_system_sgpr_workgroup_id_y 0
		.amdhsa_system_sgpr_workgroup_id_z 0
		.amdhsa_system_sgpr_workgroup_info 0
		.amdhsa_system_vgpr_workitem_id 0
		.amdhsa_next_free_vgpr 12
		.amdhsa_next_free_sgpr 24
		.amdhsa_reserve_vcc 1
		.amdhsa_float_round_mode_32 0
		.amdhsa_float_round_mode_16_64 0
		.amdhsa_float_denorm_mode_32 3
		.amdhsa_float_denorm_mode_16_64 3
		.amdhsa_dx10_clamp 1
		.amdhsa_ieee_mode 1
		.amdhsa_fp16_overflow 0
		.amdhsa_workgroup_processor_mode 1
		.amdhsa_memory_ordered 1
		.amdhsa_forward_progress 0
		.amdhsa_shared_vgpr_count 0
		.amdhsa_exception_fp_ieee_invalid_op 0
		.amdhsa_exception_fp_denorm_src 0
		.amdhsa_exception_fp_ieee_div_zero 0
		.amdhsa_exception_fp_ieee_overflow 0
		.amdhsa_exception_fp_ieee_underflow 0
		.amdhsa_exception_fp_ieee_inexact 0
		.amdhsa_exception_int_div_zero 0
	.end_amdhsa_kernel
	.section	.text._ZN9rocsparseL20bsrxmvn_17_32_kernelILj21Efli18rocsparse_bfloat16S1_fEEvT2_20rocsparse_direction_NS_24const_host_device_scalarIT0_EES2_PKS2_PKT1_SB_S8_PKT3_PKT4_S6_PT5_21rocsparse_index_base_b,"axG",@progbits,_ZN9rocsparseL20bsrxmvn_17_32_kernelILj21Efli18rocsparse_bfloat16S1_fEEvT2_20rocsparse_direction_NS_24const_host_device_scalarIT0_EES2_PKS2_PKT1_SB_S8_PKT3_PKT4_S6_PT5_21rocsparse_index_base_b,comdat
.Lfunc_end356:
	.size	_ZN9rocsparseL20bsrxmvn_17_32_kernelILj21Efli18rocsparse_bfloat16S1_fEEvT2_20rocsparse_direction_NS_24const_host_device_scalarIT0_EES2_PKS2_PKT1_SB_S8_PKT3_PKT4_S6_PT5_21rocsparse_index_base_b, .Lfunc_end356-_ZN9rocsparseL20bsrxmvn_17_32_kernelILj21Efli18rocsparse_bfloat16S1_fEEvT2_20rocsparse_direction_NS_24const_host_device_scalarIT0_EES2_PKS2_PKT1_SB_S8_PKT3_PKT4_S6_PT5_21rocsparse_index_base_b
                                        ; -- End function
	.section	.AMDGPU.csdata,"",@progbits
; Kernel info:
; codeLenInByte = 1652
; NumSgprs: 26
; NumVgprs: 12
; ScratchSize: 0
; MemoryBound: 0
; FloatMode: 240
; IeeeMode: 1
; LDSByteSize: 1764 bytes/workgroup (compile time only)
; SGPRBlocks: 3
; VGPRBlocks: 1
; NumSGPRsForWavesPerEU: 26
; NumVGPRsForWavesPerEU: 12
; Occupancy: 14
; WaveLimiterHint : 1
; COMPUTE_PGM_RSRC2:SCRATCH_EN: 0
; COMPUTE_PGM_RSRC2:USER_SGPR: 15
; COMPUTE_PGM_RSRC2:TRAP_HANDLER: 0
; COMPUTE_PGM_RSRC2:TGID_X_EN: 1
; COMPUTE_PGM_RSRC2:TGID_Y_EN: 0
; COMPUTE_PGM_RSRC2:TGID_Z_EN: 0
; COMPUTE_PGM_RSRC2:TIDIG_COMP_CNT: 0
	.section	.text._ZN9rocsparseL20bsrxmvn_17_32_kernelILj22Efli18rocsparse_bfloat16S1_fEEvT2_20rocsparse_direction_NS_24const_host_device_scalarIT0_EES2_PKS2_PKT1_SB_S8_PKT3_PKT4_S6_PT5_21rocsparse_index_base_b,"axG",@progbits,_ZN9rocsparseL20bsrxmvn_17_32_kernelILj22Efli18rocsparse_bfloat16S1_fEEvT2_20rocsparse_direction_NS_24const_host_device_scalarIT0_EES2_PKS2_PKT1_SB_S8_PKT3_PKT4_S6_PT5_21rocsparse_index_base_b,comdat
	.globl	_ZN9rocsparseL20bsrxmvn_17_32_kernelILj22Efli18rocsparse_bfloat16S1_fEEvT2_20rocsparse_direction_NS_24const_host_device_scalarIT0_EES2_PKS2_PKT1_SB_S8_PKT3_PKT4_S6_PT5_21rocsparse_index_base_b ; -- Begin function _ZN9rocsparseL20bsrxmvn_17_32_kernelILj22Efli18rocsparse_bfloat16S1_fEEvT2_20rocsparse_direction_NS_24const_host_device_scalarIT0_EES2_PKS2_PKT1_SB_S8_PKT3_PKT4_S6_PT5_21rocsparse_index_base_b
	.p2align	8
	.type	_ZN9rocsparseL20bsrxmvn_17_32_kernelILj22Efli18rocsparse_bfloat16S1_fEEvT2_20rocsparse_direction_NS_24const_host_device_scalarIT0_EES2_PKS2_PKT1_SB_S8_PKT3_PKT4_S6_PT5_21rocsparse_index_base_b,@function
_ZN9rocsparseL20bsrxmvn_17_32_kernelILj22Efli18rocsparse_bfloat16S1_fEEvT2_20rocsparse_direction_NS_24const_host_device_scalarIT0_EES2_PKS2_PKT1_SB_S8_PKT3_PKT4_S6_PT5_21rocsparse_index_base_b: ; @_ZN9rocsparseL20bsrxmvn_17_32_kernelILj22Efli18rocsparse_bfloat16S1_fEEvT2_20rocsparse_direction_NS_24const_host_device_scalarIT0_EES2_PKS2_PKT1_SB_S8_PKT3_PKT4_S6_PT5_21rocsparse_index_base_b
; %bb.0:
	s_clause 0x2
	s_load_b64 s[16:17], s[0:1], 0x58
	s_load_b64 s[12:13], s[0:1], 0x8
	;; [unrolled: 1-line block ×3, first 2 shown]
	s_mov_b32 s10, s15
	s_waitcnt lgkmcnt(0)
	s_bitcmp1_b32 s17, 0
	s_cselect_b32 s2, -1, 0
	s_delay_alu instid0(SALU_CYCLE_1)
	s_and_b32 vcc_lo, exec_lo, s2
	s_xor_b32 s2, s2, -1
	s_cbranch_vccnz .LBB357_2
; %bb.1:
	s_load_b32 s12, s[12:13], 0x0
.LBB357_2:
	s_and_not1_b32 vcc_lo, exec_lo, s2
	s_cbranch_vccnz .LBB357_4
; %bb.3:
	s_load_b32 s8, s[8:9], 0x0
.LBB357_4:
	s_waitcnt lgkmcnt(0)
	v_cmp_neq_f32_e64 s2, s12, 0
	v_cmp_neq_f32_e64 s3, s8, 1.0
	s_delay_alu instid0(VALU_DEP_1) | instskip(NEXT) | instid1(SALU_CYCLE_1)
	s_or_b32 s2, s2, s3
	s_and_not1_b32 vcc_lo, exec_lo, s2
	s_cbranch_vccnz .LBB357_42
; %bb.5:
	s_clause 0x1
	s_load_b128 s[4:7], s[0:1], 0x18
	s_load_b64 s[14:15], s[0:1], 0x28
	s_waitcnt lgkmcnt(0)
	s_cmp_eq_u64 s[4:5], 0
	s_cbranch_scc1 .LBB357_7
; %bb.6:
	s_ashr_i32 s11, s10, 31
	s_delay_alu instid0(SALU_CYCLE_1) | instskip(NEXT) | instid1(SALU_CYCLE_1)
	s_lshl_b64 s[2:3], s[10:11], 2
	s_add_u32 s2, s4, s2
	s_addc_u32 s3, s5, s3
	s_load_b32 s2, s[2:3], 0x0
	s_waitcnt lgkmcnt(0)
	s_sub_i32 s10, s2, s16
.LBB357_7:
	s_load_b32 s3, s[0:1], 0x4
	v_mul_u32_u24_e32 v1, 0xba3, v0
	v_mov_b32_e32 v6, 0
	s_delay_alu instid0(VALU_DEP_2) | instskip(NEXT) | instid1(VALU_DEP_1)
	v_lshrrev_b32_e32 v1, 16, v1
	v_mul_lo_u16 v2, v1, 22
	s_delay_alu instid0(VALU_DEP_1)
	v_sub_nc_u16 v7, v0, v2
	s_waitcnt lgkmcnt(0)
	s_cmp_eq_u32 s3, 1
	s_cselect_b32 s2, -1, 0
	s_cmp_lg_u32 s3, 1
	s_cselect_b32 s3, -1, 0
	s_ashr_i32 s11, s10, 31
	s_delay_alu instid0(SALU_CYCLE_1) | instskip(NEXT) | instid1(SALU_CYCLE_1)
	s_lshl_b64 s[4:5], s[10:11], 3
	s_add_u32 s6, s6, s4
	s_addc_u32 s7, s7, s5
	s_add_u32 s9, s6, 8
	s_addc_u32 s11, s7, 0
	;; [unrolled: 2-line block ×3, first 2 shown]
	s_cmp_eq_u64 s[14:15], 0
	s_load_b64 s[14:15], s[0:1], 0x50
	s_cselect_b32 s5, s11, s5
	s_cselect_b32 s4, s9, s4
	s_load_b64 s[22:23], s[6:7], 0x0
	s_load_b64 s[18:19], s[4:5], 0x0
	s_waitcnt lgkmcnt(0)
	v_cmp_ge_i64_e64 s4, s[22:23], s[18:19]
	s_delay_alu instid0(VALU_DEP_1)
	s_and_b32 vcc_lo, exec_lo, s4
	s_cbranch_vccnz .LBB357_12
; %bb.8:
	v_mul_lo_u16 v2, v1, 12
	v_dual_mov_b32 v6, 0 :: v_dual_and_b32 v3, 0xffff, v0
	s_sub_u32 s18, s18, s16
	s_subb_u32 s19, s19, 0
	s_delay_alu instid0(VALU_DEP_2) | instskip(NEXT) | instid1(VALU_DEP_2)
	v_lshrrev_b16 v2, 8, v2
	v_mul_u32_u24_e32 v3, 0x10f, v3
	s_sub_u32 s20, s22, s16
	s_subb_u32 s21, s23, 0
	s_clause 0x1
	s_load_b128 s[4:7], s[0:1], 0x30
	s_load_b64 s[0:1], s[0:1], 0x40
	v_mul_lo_u16 v2, v2, 22
	v_lshrrev_b32_e32 v8, 17, v3
	s_mul_hi_u32 s9, s20, 0x3c8
	s_mul_i32 s11, s21, 0x3c8
	v_and_b32_e32 v4, 0xffff, v7
	v_sub_nc_u16 v1, v1, v2
	s_add_i32 s9, s9, s11
	v_add_co_u32 v2, s11, s22, v8
	s_delay_alu instid0(VALU_DEP_1) | instskip(NEXT) | instid1(VALU_DEP_3)
	v_add_co_ci_u32_e64 v3, null, s23, 0, s11
	v_and_b32_e32 v1, 0xff, v1
	s_delay_alu instid0(VALU_DEP_3) | instskip(NEXT) | instid1(VALU_DEP_3)
	v_sub_co_u32 v2, vcc_lo, v2, s16
	v_subrev_co_ci_u32_e32 v3, vcc_lo, 0, v3, vcc_lo
	s_delay_alu instid0(VALU_DEP_3) | instskip(SKIP_2) | instid1(VALU_DEP_3)
	v_cndmask_b32_e64 v1, v4, v1, s2
	v_lshlrev_b32_e32 v9, 1, v0
	s_mul_i32 s13, s20, 0x3c8
	v_lshlrev_b64 v[4:5], 2, v[2:3]
	s_waitcnt lgkmcnt(0)
	s_add_u32 s2, s6, s13
	s_addc_u32 s6, s7, s9
	v_add_co_u32 v2, s2, s2, v9
	s_delay_alu instid0(VALU_DEP_1)
	v_add_co_ci_u32_e64 v3, null, s6, 0, s2
	v_add_co_u32 v4, vcc_lo, s4, v4
	v_add_co_ci_u32_e32 v5, vcc_lo, s5, v5, vcc_lo
	s_set_inst_prefetch_distance 0x1
	s_branch .LBB357_10
	.p2align	6
.LBB357_9:                              ;   in Loop: Header=BB357_10 Depth=1
	s_or_b32 exec_lo, exec_lo, s2
	s_add_u32 s20, s20, 1
	s_addc_u32 s21, s21, 0
	v_add_co_u32 v4, vcc_lo, v4, 4
	v_cmp_lt_i64_e64 s2, s[20:21], s[18:19]
	v_add_co_ci_u32_e32 v5, vcc_lo, 0, v5, vcc_lo
	s_delay_alu instid0(VALU_DEP_2)
	s_and_b32 vcc_lo, exec_lo, s2
	s_cbranch_vccz .LBB357_12
.LBB357_10:                             ; =>This Inner Loop Header: Depth=1
	v_add_co_u32 v9, s2, v8, s20
	s_delay_alu instid0(VALU_DEP_1) | instskip(SKIP_1) | instid1(VALU_DEP_1)
	v_add_co_ci_u32_e64 v10, null, 0, s21, s2
	s_mov_b32 s2, exec_lo
	v_cmpx_gt_i64_e64 s[18:19], v[9:10]
	s_cbranch_execz .LBB357_9
; %bb.11:                               ;   in Loop: Header=BB357_10 Depth=1
	global_load_b32 v9, v[4:5], off
	s_waitcnt vmcnt(0)
	v_subrev_nc_u32_e32 v11, s16, v9
	s_delay_alu instid0(VALU_DEP_1) | instskip(NEXT) | instid1(VALU_DEP_1)
	v_mad_u64_u32 v[9:10], null, v11, 22, v[1:2]
	v_ashrrev_i32_e32 v10, 31, v9
	s_delay_alu instid0(VALU_DEP_1) | instskip(NEXT) | instid1(VALU_DEP_1)
	v_lshlrev_b64 v[9:10], 1, v[9:10]
	v_add_co_u32 v9, vcc_lo, s0, v9
	s_delay_alu instid0(VALU_DEP_2)
	v_add_co_ci_u32_e32 v10, vcc_lo, s1, v10, vcc_lo
	global_load_u16 v11, v[2:3], off
	global_load_u16 v9, v[9:10], off
	v_add_co_u32 v2, vcc_lo, 0x3c8, v2
	v_add_co_ci_u32_e32 v3, vcc_lo, 0, v3, vcc_lo
	s_waitcnt vmcnt(1)
	v_lshlrev_b32_e32 v10, 16, v11
	s_waitcnt vmcnt(0)
	v_lshlrev_b32_e32 v9, 16, v9
	s_delay_alu instid0(VALU_DEP_1)
	v_fmac_f32_e32 v6, v10, v9
	s_branch .LBB357_9
.LBB357_12:
	s_set_inst_prefetch_distance 0x2
	v_lshlrev_b32_e32 v1, 2, v0
	s_and_b32 vcc_lo, exec_lo, s3
	ds_store_b32 v1, v6
	s_waitcnt lgkmcnt(0)
	s_barrier
	buffer_gl0_inv
	s_cbranch_vccz .LBB357_24
; %bb.13:
	s_mov_b32 s0, exec_lo
	v_cmpx_gt_u16_e32 6, v7
	s_cbranch_execz .LBB357_15
; %bb.14:
	ds_load_2addr_b32 v[2:3], v1 offset1:16
	s_waitcnt lgkmcnt(0)
	v_add_f32_e32 v2, v3, v2
	ds_store_b32 v1, v2
.LBB357_15:
	s_or_b32 exec_lo, exec_lo, s0
	s_delay_alu instid0(SALU_CYCLE_1)
	s_mov_b32 s0, exec_lo
	s_waitcnt lgkmcnt(0)
	s_barrier
	buffer_gl0_inv
	v_cmpx_gt_u16_e32 8, v7
	s_cbranch_execz .LBB357_17
; %bb.16:
	ds_load_2addr_b32 v[2:3], v1 offset1:8
	s_waitcnt lgkmcnt(0)
	v_add_f32_e32 v2, v3, v2
	ds_store_b32 v1, v2
.LBB357_17:
	s_or_b32 exec_lo, exec_lo, s0
	s_delay_alu instid0(SALU_CYCLE_1)
	s_mov_b32 s0, exec_lo
	s_waitcnt lgkmcnt(0)
	s_barrier
	buffer_gl0_inv
	v_cmpx_gt_u16_e32 4, v7
	s_cbranch_execz .LBB357_19
; %bb.18:
	ds_load_2addr_b32 v[2:3], v1 offset1:4
	s_waitcnt lgkmcnt(0)
	v_add_f32_e32 v2, v3, v2
	ds_store_b32 v1, v2
.LBB357_19:
	s_or_b32 exec_lo, exec_lo, s0
	s_delay_alu instid0(SALU_CYCLE_1)
	s_mov_b32 s0, exec_lo
	s_waitcnt lgkmcnt(0)
	s_barrier
	buffer_gl0_inv
	v_cmpx_gt_u16_e32 2, v7
	s_cbranch_execz .LBB357_21
; %bb.20:
	ds_load_2addr_b32 v[2:3], v1 offset1:2
	s_waitcnt lgkmcnt(0)
	v_add_f32_e32 v2, v3, v2
	ds_store_b32 v1, v2
.LBB357_21:
	s_or_b32 exec_lo, exec_lo, s0
	s_mov_b32 s1, 0
	s_mov_b32 s0, 0
	s_mov_b32 s2, exec_lo
	s_waitcnt lgkmcnt(0)
	s_barrier
	buffer_gl0_inv
                                        ; implicit-def: $vgpr2
                                        ; implicit-def: $vgpr3
	v_cmpx_gt_u32_e32 22, v0
	s_xor_b32 s2, exec_lo, s2
; %bb.22:
	v_mul_u32_u24_e32 v2, 22, v0
	v_mad_u32_u24 v3, 0x54, v0, v1
	s_mov_b32 s0, exec_lo
	s_delay_alu instid0(VALU_DEP_2)
	v_or_b32_e32 v2, 1, v2
; %bb.23:
	s_or_b32 exec_lo, exec_lo, s2
	s_delay_alu instid0(SALU_CYCLE_1)
	s_and_b32 vcc_lo, exec_lo, s1
	s_cbranch_vccnz .LBB357_25
	s_branch .LBB357_36
.LBB357_24:
	s_mov_b32 s0, 0
                                        ; implicit-def: $vgpr2
                                        ; implicit-def: $vgpr3
	s_cbranch_execz .LBB357_36
.LBB357_25:
	s_mov_b32 s1, exec_lo
	v_cmpx_gt_u32_e32 0x84, v0
	s_cbranch_execz .LBB357_27
; %bb.26:
	ds_load_b32 v2, v1 offset:1408
	ds_load_b32 v3, v1
	s_waitcnt lgkmcnt(0)
	v_add_f32_e32 v2, v2, v3
	ds_store_b32 v1, v2
.LBB357_27:
	s_or_b32 exec_lo, exec_lo, s1
	s_delay_alu instid0(SALU_CYCLE_1)
	s_mov_b32 s1, exec_lo
	s_waitcnt lgkmcnt(0)
	s_barrier
	buffer_gl0_inv
	v_cmpx_gt_u32_e32 0xb0, v0
	s_cbranch_execz .LBB357_29
; %bb.28:
	ds_load_2addr_b32 v[2:3], v1 offset1:176
	s_waitcnt lgkmcnt(0)
	v_add_f32_e32 v2, v3, v2
	ds_store_b32 v1, v2
.LBB357_29:
	s_or_b32 exec_lo, exec_lo, s1
	s_delay_alu instid0(SALU_CYCLE_1)
	s_mov_b32 s1, exec_lo
	s_waitcnt lgkmcnt(0)
	s_barrier
	buffer_gl0_inv
	v_cmpx_gt_u32_e32 0x58, v0
	s_cbranch_execz .LBB357_31
; %bb.30:
	ds_load_2addr_b32 v[2:3], v1 offset1:88
	s_waitcnt lgkmcnt(0)
	v_add_f32_e32 v2, v3, v2
	ds_store_b32 v1, v2
.LBB357_31:
	s_or_b32 exec_lo, exec_lo, s1
	s_delay_alu instid0(SALU_CYCLE_1)
	s_mov_b32 s1, exec_lo
	s_waitcnt lgkmcnt(0)
	s_barrier
	buffer_gl0_inv
	v_cmpx_gt_u32_e32 44, v0
	s_cbranch_execz .LBB357_33
; %bb.32:
	ds_load_2addr_b32 v[2:3], v1 offset1:44
	s_waitcnt lgkmcnt(0)
	v_add_f32_e32 v2, v3, v2
	ds_store_b32 v1, v2
.LBB357_33:
	s_or_b32 exec_lo, exec_lo, s1
	s_delay_alu instid0(SALU_CYCLE_1)
	s_mov_b32 s1, exec_lo
	s_waitcnt lgkmcnt(0)
	buffer_gl0_inv
                                        ; implicit-def: $vgpr2
	v_cmpx_gt_u32_e32 22, v0
; %bb.34:
	v_add_nc_u32_e32 v2, 22, v0
	s_or_b32 s0, s0, exec_lo
                                        ; implicit-def: $vgpr6
; %bb.35:
	s_or_b32 exec_lo, exec_lo, s1
	v_mov_b32_e32 v3, v1
.LBB357_36:
	s_and_saveexec_b32 s1, s0
	s_cbranch_execz .LBB357_38
; %bb.37:
	v_lshlrev_b32_e32 v1, 2, v2
	ds_load_b32 v2, v3
	ds_load_b32 v1, v1
	s_waitcnt lgkmcnt(0)
	v_add_f32_e32 v6, v2, v1
.LBB357_38:
	s_or_b32 exec_lo, exec_lo, s1
	s_delay_alu instid0(SALU_CYCLE_1)
	s_mov_b32 s0, exec_lo
	v_cmpx_gt_u32_e32 22, v0
	s_cbranch_execz .LBB357_42
; %bb.39:
	v_cmp_eq_f32_e64 s0, s8, 0
	v_mul_f32_e32 v1, s12, v6
	s_delay_alu instid0(VALU_DEP_2)
	s_and_b32 vcc_lo, exec_lo, s0
	s_mov_b32 s0, 0
	s_cbranch_vccz .LBB357_43
; %bb.40:
	s_delay_alu instid0(VALU_DEP_1) | instskip(SKIP_1) | instid1(VALU_DEP_1)
	v_mad_u64_u32 v[2:3], null, s10, 22, v[0:1]
	v_mov_b32_e32 v3, 0
	v_lshlrev_b64 v[2:3], 2, v[2:3]
	s_delay_alu instid0(VALU_DEP_1) | instskip(NEXT) | instid1(VALU_DEP_2)
	v_add_co_u32 v2, vcc_lo, s14, v2
	v_add_co_ci_u32_e32 v3, vcc_lo, s15, v3, vcc_lo
	global_store_b32 v[2:3], v1, off
	s_and_not1_b32 vcc_lo, exec_lo, s0
	s_cbranch_vccnz .LBB357_42
.LBB357_41:
	v_mad_u64_u32 v[2:3], null, s10, 22, v[0:1]
	v_mov_b32_e32 v3, 0
	s_delay_alu instid0(VALU_DEP_1) | instskip(NEXT) | instid1(VALU_DEP_1)
	v_lshlrev_b64 v[2:3], 2, v[2:3]
	v_add_co_u32 v2, vcc_lo, s14, v2
	s_delay_alu instid0(VALU_DEP_2)
	v_add_co_ci_u32_e32 v3, vcc_lo, s15, v3, vcc_lo
	global_load_b32 v0, v[2:3], off
	s_waitcnt vmcnt(0)
	v_fmac_f32_e32 v1, s8, v0
	global_store_b32 v[2:3], v1, off
.LBB357_42:
	s_nop 0
	s_sendmsg sendmsg(MSG_DEALLOC_VGPRS)
	s_endpgm
.LBB357_43:
	s_branch .LBB357_41
	.section	.rodata,"a",@progbits
	.p2align	6, 0x0
	.amdhsa_kernel _ZN9rocsparseL20bsrxmvn_17_32_kernelILj22Efli18rocsparse_bfloat16S1_fEEvT2_20rocsparse_direction_NS_24const_host_device_scalarIT0_EES2_PKS2_PKT1_SB_S8_PKT3_PKT4_S6_PT5_21rocsparse_index_base_b
		.amdhsa_group_segment_fixed_size 1936
		.amdhsa_private_segment_fixed_size 0
		.amdhsa_kernarg_size 96
		.amdhsa_user_sgpr_count 15
		.amdhsa_user_sgpr_dispatch_ptr 0
		.amdhsa_user_sgpr_queue_ptr 0
		.amdhsa_user_sgpr_kernarg_segment_ptr 1
		.amdhsa_user_sgpr_dispatch_id 0
		.amdhsa_user_sgpr_private_segment_size 0
		.amdhsa_wavefront_size32 1
		.amdhsa_uses_dynamic_stack 0
		.amdhsa_enable_private_segment 0
		.amdhsa_system_sgpr_workgroup_id_x 1
		.amdhsa_system_sgpr_workgroup_id_y 0
		.amdhsa_system_sgpr_workgroup_id_z 0
		.amdhsa_system_sgpr_workgroup_info 0
		.amdhsa_system_vgpr_workitem_id 0
		.amdhsa_next_free_vgpr 12
		.amdhsa_next_free_sgpr 24
		.amdhsa_reserve_vcc 1
		.amdhsa_float_round_mode_32 0
		.amdhsa_float_round_mode_16_64 0
		.amdhsa_float_denorm_mode_32 3
		.amdhsa_float_denorm_mode_16_64 3
		.amdhsa_dx10_clamp 1
		.amdhsa_ieee_mode 1
		.amdhsa_fp16_overflow 0
		.amdhsa_workgroup_processor_mode 1
		.amdhsa_memory_ordered 1
		.amdhsa_forward_progress 0
		.amdhsa_shared_vgpr_count 0
		.amdhsa_exception_fp_ieee_invalid_op 0
		.amdhsa_exception_fp_denorm_src 0
		.amdhsa_exception_fp_ieee_div_zero 0
		.amdhsa_exception_fp_ieee_overflow 0
		.amdhsa_exception_fp_ieee_underflow 0
		.amdhsa_exception_fp_ieee_inexact 0
		.amdhsa_exception_int_div_zero 0
	.end_amdhsa_kernel
	.section	.text._ZN9rocsparseL20bsrxmvn_17_32_kernelILj22Efli18rocsparse_bfloat16S1_fEEvT2_20rocsparse_direction_NS_24const_host_device_scalarIT0_EES2_PKS2_PKT1_SB_S8_PKT3_PKT4_S6_PT5_21rocsparse_index_base_b,"axG",@progbits,_ZN9rocsparseL20bsrxmvn_17_32_kernelILj22Efli18rocsparse_bfloat16S1_fEEvT2_20rocsparse_direction_NS_24const_host_device_scalarIT0_EES2_PKS2_PKT1_SB_S8_PKT3_PKT4_S6_PT5_21rocsparse_index_base_b,comdat
.Lfunc_end357:
	.size	_ZN9rocsparseL20bsrxmvn_17_32_kernelILj22Efli18rocsparse_bfloat16S1_fEEvT2_20rocsparse_direction_NS_24const_host_device_scalarIT0_EES2_PKS2_PKT1_SB_S8_PKT3_PKT4_S6_PT5_21rocsparse_index_base_b, .Lfunc_end357-_ZN9rocsparseL20bsrxmvn_17_32_kernelILj22Efli18rocsparse_bfloat16S1_fEEvT2_20rocsparse_direction_NS_24const_host_device_scalarIT0_EES2_PKS2_PKT1_SB_S8_PKT3_PKT4_S6_PT5_21rocsparse_index_base_b
                                        ; -- End function
	.section	.AMDGPU.csdata,"",@progbits
; Kernel info:
; codeLenInByte = 1656
; NumSgprs: 26
; NumVgprs: 12
; ScratchSize: 0
; MemoryBound: 0
; FloatMode: 240
; IeeeMode: 1
; LDSByteSize: 1936 bytes/workgroup (compile time only)
; SGPRBlocks: 3
; VGPRBlocks: 1
; NumSGPRsForWavesPerEU: 26
; NumVGPRsForWavesPerEU: 12
; Occupancy: 16
; WaveLimiterHint : 1
; COMPUTE_PGM_RSRC2:SCRATCH_EN: 0
; COMPUTE_PGM_RSRC2:USER_SGPR: 15
; COMPUTE_PGM_RSRC2:TRAP_HANDLER: 0
; COMPUTE_PGM_RSRC2:TGID_X_EN: 1
; COMPUTE_PGM_RSRC2:TGID_Y_EN: 0
; COMPUTE_PGM_RSRC2:TGID_Z_EN: 0
; COMPUTE_PGM_RSRC2:TIDIG_COMP_CNT: 0
	.section	.text._ZN9rocsparseL20bsrxmvn_17_32_kernelILj23Efli18rocsparse_bfloat16S1_fEEvT2_20rocsparse_direction_NS_24const_host_device_scalarIT0_EES2_PKS2_PKT1_SB_S8_PKT3_PKT4_S6_PT5_21rocsparse_index_base_b,"axG",@progbits,_ZN9rocsparseL20bsrxmvn_17_32_kernelILj23Efli18rocsparse_bfloat16S1_fEEvT2_20rocsparse_direction_NS_24const_host_device_scalarIT0_EES2_PKS2_PKT1_SB_S8_PKT3_PKT4_S6_PT5_21rocsparse_index_base_b,comdat
	.globl	_ZN9rocsparseL20bsrxmvn_17_32_kernelILj23Efli18rocsparse_bfloat16S1_fEEvT2_20rocsparse_direction_NS_24const_host_device_scalarIT0_EES2_PKS2_PKT1_SB_S8_PKT3_PKT4_S6_PT5_21rocsparse_index_base_b ; -- Begin function _ZN9rocsparseL20bsrxmvn_17_32_kernelILj23Efli18rocsparse_bfloat16S1_fEEvT2_20rocsparse_direction_NS_24const_host_device_scalarIT0_EES2_PKS2_PKT1_SB_S8_PKT3_PKT4_S6_PT5_21rocsparse_index_base_b
	.p2align	8
	.type	_ZN9rocsparseL20bsrxmvn_17_32_kernelILj23Efli18rocsparse_bfloat16S1_fEEvT2_20rocsparse_direction_NS_24const_host_device_scalarIT0_EES2_PKS2_PKT1_SB_S8_PKT3_PKT4_S6_PT5_21rocsparse_index_base_b,@function
_ZN9rocsparseL20bsrxmvn_17_32_kernelILj23Efli18rocsparse_bfloat16S1_fEEvT2_20rocsparse_direction_NS_24const_host_device_scalarIT0_EES2_PKS2_PKT1_SB_S8_PKT3_PKT4_S6_PT5_21rocsparse_index_base_b: ; @_ZN9rocsparseL20bsrxmvn_17_32_kernelILj23Efli18rocsparse_bfloat16S1_fEEvT2_20rocsparse_direction_NS_24const_host_device_scalarIT0_EES2_PKS2_PKT1_SB_S8_PKT3_PKT4_S6_PT5_21rocsparse_index_base_b
; %bb.0:
	s_mov_b32 s10, s15
	s_clause 0x2
	s_load_b64 s[14:15], s[0:1], 0x58
	s_load_b64 s[12:13], s[0:1], 0x8
	;; [unrolled: 1-line block ×3, first 2 shown]
	s_waitcnt lgkmcnt(0)
	s_bitcmp1_b32 s15, 0
	s_cselect_b32 s2, -1, 0
	s_delay_alu instid0(SALU_CYCLE_1)
	s_and_b32 vcc_lo, exec_lo, s2
	s_xor_b32 s2, s2, -1
	s_cbranch_vccnz .LBB358_2
; %bb.1:
	s_load_b32 s12, s[12:13], 0x0
.LBB358_2:
	s_and_not1_b32 vcc_lo, exec_lo, s2
	s_cbranch_vccnz .LBB358_4
; %bb.3:
	s_load_b32 s8, s[8:9], 0x0
.LBB358_4:
	s_waitcnt lgkmcnt(0)
	v_cmp_neq_f32_e64 s2, s12, 0
	v_cmp_neq_f32_e64 s3, s8, 1.0
	s_delay_alu instid0(VALU_DEP_1) | instskip(NEXT) | instid1(SALU_CYCLE_1)
	s_or_b32 s2, s2, s3
	s_and_not1_b32 vcc_lo, exec_lo, s2
	s_cbranch_vccnz .LBB358_42
; %bb.5:
	s_clause 0x1
	s_load_b128 s[4:7], s[0:1], 0x18
	s_load_b64 s[16:17], s[0:1], 0x28
	s_waitcnt lgkmcnt(0)
	s_cmp_eq_u64 s[4:5], 0
	s_cbranch_scc1 .LBB358_7
; %bb.6:
	s_ashr_i32 s11, s10, 31
	s_delay_alu instid0(SALU_CYCLE_1) | instskip(NEXT) | instid1(SALU_CYCLE_1)
	s_lshl_b64 s[2:3], s[10:11], 2
	s_add_u32 s2, s4, s2
	s_addc_u32 s3, s5, s3
	s_load_b32 s2, s[2:3], 0x0
	s_waitcnt lgkmcnt(0)
	s_sub_i32 s10, s2, s14
.LBB358_7:
	s_load_b32 s3, s[0:1], 0x4
	v_mul_u32_u24_e32 v1, 0xb22, v0
	v_mov_b32_e32 v6, 0
	s_delay_alu instid0(VALU_DEP_2) | instskip(NEXT) | instid1(VALU_DEP_1)
	v_lshrrev_b32_e32 v1, 16, v1
	v_mul_lo_u16 v2, v1, 23
	s_delay_alu instid0(VALU_DEP_1)
	v_sub_nc_u16 v7, v0, v2
	s_waitcnt lgkmcnt(0)
	s_cmp_eq_u32 s3, 1
	s_cselect_b32 s2, -1, 0
	s_cmp_lg_u32 s3, 1
	s_cselect_b32 s3, -1, 0
	s_ashr_i32 s11, s10, 31
	s_delay_alu instid0(SALU_CYCLE_1) | instskip(NEXT) | instid1(SALU_CYCLE_1)
	s_lshl_b64 s[4:5], s[10:11], 3
	s_add_u32 s6, s6, s4
	s_addc_u32 s7, s7, s5
	s_add_u32 s9, s6, 8
	s_addc_u32 s11, s7, 0
	;; [unrolled: 2-line block ×3, first 2 shown]
	s_cmp_eq_u64 s[16:17], 0
	s_cselect_b32 s5, s11, s5
	s_cselect_b32 s4, s9, s4
	s_load_b64 s[18:19], s[6:7], 0x0
	s_load_b64 s[6:7], s[4:5], 0x0
	;; [unrolled: 1-line block ×3, first 2 shown]
	s_waitcnt lgkmcnt(0)
	v_cmp_ge_i64_e64 s9, s[18:19], s[6:7]
	s_delay_alu instid0(VALU_DEP_1)
	s_and_b32 vcc_lo, exec_lo, s9
	s_cbranch_vccnz .LBB358_12
; %bb.8:
	v_and_b32_e32 v1, 0xffff, v1
	v_cmp_lt_u32_e32 vcc_lo, 0x210, v0
	s_clause 0x1
	s_load_b128 s[20:23], s[0:1], 0x30
	s_load_b64 s[0:1], s[0:1], 0x40
	s_sub_u32 s6, s6, s14
	s_subb_u32 s7, s7, 0
	v_subrev_nc_u32_e32 v3, 23, v1
	v_cndmask_b32_e64 v8, 0, 1, vcc_lo
	v_cmp_gt_u32_e32 vcc_lo, 0x211, v0
	v_and_b32_e32 v2, 0xffff, v7
	s_sub_u32 s16, s18, s14
	s_subb_u32 s17, s19, 0
	s_mul_hi_u32 s9, s16, 0x422
	v_cndmask_b32_e32 v1, v3, v1, vcc_lo
	s_mul_i32 s11, s17, 0x422
	v_lshlrev_b32_e32 v6, 1, v0
	s_add_i32 s9, s9, s11
	s_delay_alu instid0(VALU_DEP_2) | instskip(SKIP_1) | instid1(VALU_DEP_1)
	v_cndmask_b32_e64 v1, v2, v1, s2
	v_add_co_u32 v2, s2, s18, v8
	v_add_co_ci_u32_e64 v3, null, s19, 0, s2
	s_mul_i32 s2, s16, 0x422
	s_delay_alu instid0(VALU_DEP_2) | instskip(NEXT) | instid1(VALU_DEP_2)
	v_sub_co_u32 v2, vcc_lo, v2, s14
	v_subrev_co_ci_u32_e32 v3, vcc_lo, 0, v3, vcc_lo
	s_waitcnt lgkmcnt(0)
	s_add_u32 s2, s22, s2
	s_addc_u32 s9, s23, s9
	s_delay_alu instid0(VALU_DEP_1) | instskip(SKIP_1) | instid1(VALU_DEP_1)
	v_lshlrev_b64 v[4:5], 2, v[2:3]
	v_add_co_u32 v2, s2, s2, v6
	v_add_co_ci_u32_e64 v3, null, s9, 0, s2
	v_mov_b32_e32 v6, 0
	s_delay_alu instid0(VALU_DEP_4)
	v_add_co_u32 v4, vcc_lo, s20, v4
	v_add_co_ci_u32_e32 v5, vcc_lo, s21, v5, vcc_lo
	s_set_inst_prefetch_distance 0x1
	s_branch .LBB358_10
	.p2align	6
.LBB358_9:                              ;   in Loop: Header=BB358_10 Depth=1
	s_or_b32 exec_lo, exec_lo, s2
	s_add_u32 s16, s16, 1
	s_addc_u32 s17, s17, 0
	v_add_co_u32 v4, vcc_lo, v4, 4
	v_cmp_lt_i64_e64 s2, s[16:17], s[6:7]
	v_add_co_ci_u32_e32 v5, vcc_lo, 0, v5, vcc_lo
	s_delay_alu instid0(VALU_DEP_2)
	s_and_b32 vcc_lo, exec_lo, s2
	s_cbranch_vccz .LBB358_12
.LBB358_10:                             ; =>This Inner Loop Header: Depth=1
	v_add_co_u32 v9, s2, v8, s16
	s_delay_alu instid0(VALU_DEP_1) | instskip(SKIP_1) | instid1(VALU_DEP_1)
	v_add_co_ci_u32_e64 v10, null, 0, s17, s2
	s_mov_b32 s2, exec_lo
	v_cmpx_gt_i64_e64 s[6:7], v[9:10]
	s_cbranch_execz .LBB358_9
; %bb.11:                               ;   in Loop: Header=BB358_10 Depth=1
	global_load_b32 v9, v[4:5], off
	s_waitcnt vmcnt(0)
	v_subrev_nc_u32_e32 v11, s14, v9
	s_delay_alu instid0(VALU_DEP_1) | instskip(NEXT) | instid1(VALU_DEP_1)
	v_mad_u64_u32 v[9:10], null, v11, 23, v[1:2]
	v_ashrrev_i32_e32 v10, 31, v9
	s_delay_alu instid0(VALU_DEP_1) | instskip(NEXT) | instid1(VALU_DEP_1)
	v_lshlrev_b64 v[9:10], 1, v[9:10]
	v_add_co_u32 v9, vcc_lo, s0, v9
	s_delay_alu instid0(VALU_DEP_2)
	v_add_co_ci_u32_e32 v10, vcc_lo, s1, v10, vcc_lo
	global_load_u16 v11, v[2:3], off
	global_load_u16 v9, v[9:10], off
	v_add_co_u32 v2, vcc_lo, 0x422, v2
	v_add_co_ci_u32_e32 v3, vcc_lo, 0, v3, vcc_lo
	s_waitcnt vmcnt(1)
	v_lshlrev_b32_e32 v10, 16, v11
	s_waitcnt vmcnt(0)
	v_lshlrev_b32_e32 v9, 16, v9
	s_delay_alu instid0(VALU_DEP_1)
	v_fmac_f32_e32 v6, v10, v9
	s_branch .LBB358_9
.LBB358_12:
	s_set_inst_prefetch_distance 0x2
	v_lshlrev_b32_e32 v1, 2, v0
	s_and_b32 vcc_lo, exec_lo, s3
	ds_store_b32 v1, v6
	s_waitcnt lgkmcnt(0)
	s_barrier
	buffer_gl0_inv
	s_cbranch_vccz .LBB358_24
; %bb.13:
	s_mov_b32 s0, exec_lo
	v_cmpx_gt_u16_e32 7, v7
	s_cbranch_execz .LBB358_15
; %bb.14:
	ds_load_2addr_b32 v[2:3], v1 offset1:16
	s_waitcnt lgkmcnt(0)
	v_add_f32_e32 v2, v3, v2
	ds_store_b32 v1, v2
.LBB358_15:
	s_or_b32 exec_lo, exec_lo, s0
	s_delay_alu instid0(SALU_CYCLE_1)
	s_mov_b32 s0, exec_lo
	s_waitcnt lgkmcnt(0)
	s_barrier
	buffer_gl0_inv
	v_cmpx_gt_u16_e32 8, v7
	s_cbranch_execz .LBB358_17
; %bb.16:
	ds_load_2addr_b32 v[2:3], v1 offset1:8
	s_waitcnt lgkmcnt(0)
	v_add_f32_e32 v2, v3, v2
	ds_store_b32 v1, v2
.LBB358_17:
	s_or_b32 exec_lo, exec_lo, s0
	s_delay_alu instid0(SALU_CYCLE_1)
	s_mov_b32 s0, exec_lo
	s_waitcnt lgkmcnt(0)
	s_barrier
	buffer_gl0_inv
	;; [unrolled: 14-line block ×3, first 2 shown]
	v_cmpx_gt_u16_e32 2, v7
	s_cbranch_execz .LBB358_21
; %bb.20:
	ds_load_2addr_b32 v[2:3], v1 offset1:2
	s_waitcnt lgkmcnt(0)
	v_add_f32_e32 v2, v3, v2
	ds_store_b32 v1, v2
.LBB358_21:
	s_or_b32 exec_lo, exec_lo, s0
	s_mov_b32 s1, 0
	s_mov_b32 s0, 0
	s_mov_b32 s2, exec_lo
	s_waitcnt lgkmcnt(0)
	s_barrier
	buffer_gl0_inv
                                        ; implicit-def: $vgpr2
                                        ; implicit-def: $vgpr3
	v_cmpx_gt_u32_e32 23, v0
	s_xor_b32 s2, exec_lo, s2
; %bb.22:
	v_mad_u32_u24 v2, v0, 23, 1
	v_mad_u32_u24 v3, 0x58, v0, v1
	s_mov_b32 s0, exec_lo
; %bb.23:
	s_or_b32 exec_lo, exec_lo, s2
	s_delay_alu instid0(SALU_CYCLE_1)
	s_and_b32 vcc_lo, exec_lo, s1
	s_cbranch_vccnz .LBB358_25
	s_branch .LBB358_36
.LBB358_24:
	s_mov_b32 s0, 0
                                        ; implicit-def: $vgpr2
                                        ; implicit-def: $vgpr3
	s_cbranch_execz .LBB358_36
.LBB358_25:
	s_mov_b32 s1, exec_lo
	v_cmpx_gt_u32_e32 0xa1, v0
	s_cbranch_execz .LBB358_27
; %bb.26:
	ds_load_b32 v2, v1 offset:1472
	ds_load_b32 v3, v1
	s_waitcnt lgkmcnt(0)
	v_add_f32_e32 v2, v2, v3
	ds_store_b32 v1, v2
.LBB358_27:
	s_or_b32 exec_lo, exec_lo, s1
	s_delay_alu instid0(SALU_CYCLE_1)
	s_mov_b32 s1, exec_lo
	s_waitcnt lgkmcnt(0)
	s_barrier
	buffer_gl0_inv
	v_cmpx_gt_u32_e32 0xb8, v0
	s_cbranch_execz .LBB358_29
; %bb.28:
	ds_load_2addr_b32 v[2:3], v1 offset1:184
	s_waitcnt lgkmcnt(0)
	v_add_f32_e32 v2, v3, v2
	ds_store_b32 v1, v2
.LBB358_29:
	s_or_b32 exec_lo, exec_lo, s1
	s_delay_alu instid0(SALU_CYCLE_1)
	s_mov_b32 s1, exec_lo
	s_waitcnt lgkmcnt(0)
	s_barrier
	buffer_gl0_inv
	v_cmpx_gt_u32_e32 0x5c, v0
	s_cbranch_execz .LBB358_31
; %bb.30:
	ds_load_2addr_b32 v[2:3], v1 offset1:92
	s_waitcnt lgkmcnt(0)
	v_add_f32_e32 v2, v3, v2
	ds_store_b32 v1, v2
.LBB358_31:
	;; [unrolled: 14-line block ×3, first 2 shown]
	s_or_b32 exec_lo, exec_lo, s1
	s_delay_alu instid0(SALU_CYCLE_1)
	s_mov_b32 s1, exec_lo
	s_waitcnt lgkmcnt(0)
	buffer_gl0_inv
                                        ; implicit-def: $vgpr2
	v_cmpx_gt_u32_e32 23, v0
; %bb.34:
	v_add_nc_u32_e32 v2, 23, v0
	s_or_b32 s0, s0, exec_lo
                                        ; implicit-def: $vgpr6
; %bb.35:
	s_or_b32 exec_lo, exec_lo, s1
	v_mov_b32_e32 v3, v1
.LBB358_36:
	s_and_saveexec_b32 s1, s0
	s_cbranch_execz .LBB358_38
; %bb.37:
	v_lshlrev_b32_e32 v1, 2, v2
	ds_load_b32 v2, v3
	ds_load_b32 v1, v1
	s_waitcnt lgkmcnt(0)
	v_add_f32_e32 v6, v2, v1
.LBB358_38:
	s_or_b32 exec_lo, exec_lo, s1
	s_delay_alu instid0(SALU_CYCLE_1)
	s_mov_b32 s0, exec_lo
	v_cmpx_gt_u32_e32 23, v0
	s_cbranch_execz .LBB358_42
; %bb.39:
	v_cmp_eq_f32_e64 s0, s8, 0
	v_mul_f32_e32 v1, s12, v6
	s_delay_alu instid0(VALU_DEP_2)
	s_and_b32 vcc_lo, exec_lo, s0
	s_mov_b32 s0, 0
	s_cbranch_vccz .LBB358_43
; %bb.40:
	s_delay_alu instid0(VALU_DEP_1) | instskip(SKIP_1) | instid1(VALU_DEP_1)
	v_mad_u64_u32 v[2:3], null, s10, 23, v[0:1]
	v_mov_b32_e32 v3, 0
	v_lshlrev_b64 v[2:3], 2, v[2:3]
	s_delay_alu instid0(VALU_DEP_1) | instskip(NEXT) | instid1(VALU_DEP_2)
	v_add_co_u32 v2, vcc_lo, s4, v2
	v_add_co_ci_u32_e32 v3, vcc_lo, s5, v3, vcc_lo
	global_store_b32 v[2:3], v1, off
	s_and_not1_b32 vcc_lo, exec_lo, s0
	s_cbranch_vccnz .LBB358_42
.LBB358_41:
	v_mad_u64_u32 v[2:3], null, s10, 23, v[0:1]
	v_mov_b32_e32 v3, 0
	s_delay_alu instid0(VALU_DEP_1) | instskip(NEXT) | instid1(VALU_DEP_1)
	v_lshlrev_b64 v[2:3], 2, v[2:3]
	v_add_co_u32 v2, vcc_lo, s4, v2
	s_delay_alu instid0(VALU_DEP_2)
	v_add_co_ci_u32_e32 v3, vcc_lo, s5, v3, vcc_lo
	global_load_b32 v0, v[2:3], off
	s_waitcnt vmcnt(0)
	v_fmac_f32_e32 v1, s8, v0
	global_store_b32 v[2:3], v1, off
.LBB358_42:
	s_nop 0
	s_sendmsg sendmsg(MSG_DEALLOC_VGPRS)
	s_endpgm
.LBB358_43:
	s_branch .LBB358_41
	.section	.rodata,"a",@progbits
	.p2align	6, 0x0
	.amdhsa_kernel _ZN9rocsparseL20bsrxmvn_17_32_kernelILj23Efli18rocsparse_bfloat16S1_fEEvT2_20rocsparse_direction_NS_24const_host_device_scalarIT0_EES2_PKS2_PKT1_SB_S8_PKT3_PKT4_S6_PT5_21rocsparse_index_base_b
		.amdhsa_group_segment_fixed_size 2116
		.amdhsa_private_segment_fixed_size 0
		.amdhsa_kernarg_size 96
		.amdhsa_user_sgpr_count 15
		.amdhsa_user_sgpr_dispatch_ptr 0
		.amdhsa_user_sgpr_queue_ptr 0
		.amdhsa_user_sgpr_kernarg_segment_ptr 1
		.amdhsa_user_sgpr_dispatch_id 0
		.amdhsa_user_sgpr_private_segment_size 0
		.amdhsa_wavefront_size32 1
		.amdhsa_uses_dynamic_stack 0
		.amdhsa_enable_private_segment 0
		.amdhsa_system_sgpr_workgroup_id_x 1
		.amdhsa_system_sgpr_workgroup_id_y 0
		.amdhsa_system_sgpr_workgroup_id_z 0
		.amdhsa_system_sgpr_workgroup_info 0
		.amdhsa_system_vgpr_workitem_id 0
		.amdhsa_next_free_vgpr 12
		.amdhsa_next_free_sgpr 24
		.amdhsa_reserve_vcc 1
		.amdhsa_float_round_mode_32 0
		.amdhsa_float_round_mode_16_64 0
		.amdhsa_float_denorm_mode_32 3
		.amdhsa_float_denorm_mode_16_64 3
		.amdhsa_dx10_clamp 1
		.amdhsa_ieee_mode 1
		.amdhsa_fp16_overflow 0
		.amdhsa_workgroup_processor_mode 1
		.amdhsa_memory_ordered 1
		.amdhsa_forward_progress 0
		.amdhsa_shared_vgpr_count 0
		.amdhsa_exception_fp_ieee_invalid_op 0
		.amdhsa_exception_fp_denorm_src 0
		.amdhsa_exception_fp_ieee_div_zero 0
		.amdhsa_exception_fp_ieee_overflow 0
		.amdhsa_exception_fp_ieee_underflow 0
		.amdhsa_exception_fp_ieee_inexact 0
		.amdhsa_exception_int_div_zero 0
	.end_amdhsa_kernel
	.section	.text._ZN9rocsparseL20bsrxmvn_17_32_kernelILj23Efli18rocsparse_bfloat16S1_fEEvT2_20rocsparse_direction_NS_24const_host_device_scalarIT0_EES2_PKS2_PKT1_SB_S8_PKT3_PKT4_S6_PT5_21rocsparse_index_base_b,"axG",@progbits,_ZN9rocsparseL20bsrxmvn_17_32_kernelILj23Efli18rocsparse_bfloat16S1_fEEvT2_20rocsparse_direction_NS_24const_host_device_scalarIT0_EES2_PKS2_PKT1_SB_S8_PKT3_PKT4_S6_PT5_21rocsparse_index_base_b,comdat
.Lfunc_end358:
	.size	_ZN9rocsparseL20bsrxmvn_17_32_kernelILj23Efli18rocsparse_bfloat16S1_fEEvT2_20rocsparse_direction_NS_24const_host_device_scalarIT0_EES2_PKS2_PKT1_SB_S8_PKT3_PKT4_S6_PT5_21rocsparse_index_base_b, .Lfunc_end358-_ZN9rocsparseL20bsrxmvn_17_32_kernelILj23Efli18rocsparse_bfloat16S1_fEEvT2_20rocsparse_direction_NS_24const_host_device_scalarIT0_EES2_PKS2_PKT1_SB_S8_PKT3_PKT4_S6_PT5_21rocsparse_index_base_b
                                        ; -- End function
	.section	.AMDGPU.csdata,"",@progbits
; Kernel info:
; codeLenInByte = 1628
; NumSgprs: 26
; NumVgprs: 12
; ScratchSize: 0
; MemoryBound: 0
; FloatMode: 240
; IeeeMode: 1
; LDSByteSize: 2116 bytes/workgroup (compile time only)
; SGPRBlocks: 3
; VGPRBlocks: 1
; NumSGPRsForWavesPerEU: 26
; NumVGPRsForWavesPerEU: 12
; Occupancy: 13
; WaveLimiterHint : 1
; COMPUTE_PGM_RSRC2:SCRATCH_EN: 0
; COMPUTE_PGM_RSRC2:USER_SGPR: 15
; COMPUTE_PGM_RSRC2:TRAP_HANDLER: 0
; COMPUTE_PGM_RSRC2:TGID_X_EN: 1
; COMPUTE_PGM_RSRC2:TGID_Y_EN: 0
; COMPUTE_PGM_RSRC2:TGID_Z_EN: 0
; COMPUTE_PGM_RSRC2:TIDIG_COMP_CNT: 0
	.section	.text._ZN9rocsparseL20bsrxmvn_17_32_kernelILj24Efli18rocsparse_bfloat16S1_fEEvT2_20rocsparse_direction_NS_24const_host_device_scalarIT0_EES2_PKS2_PKT1_SB_S8_PKT3_PKT4_S6_PT5_21rocsparse_index_base_b,"axG",@progbits,_ZN9rocsparseL20bsrxmvn_17_32_kernelILj24Efli18rocsparse_bfloat16S1_fEEvT2_20rocsparse_direction_NS_24const_host_device_scalarIT0_EES2_PKS2_PKT1_SB_S8_PKT3_PKT4_S6_PT5_21rocsparse_index_base_b,comdat
	.globl	_ZN9rocsparseL20bsrxmvn_17_32_kernelILj24Efli18rocsparse_bfloat16S1_fEEvT2_20rocsparse_direction_NS_24const_host_device_scalarIT0_EES2_PKS2_PKT1_SB_S8_PKT3_PKT4_S6_PT5_21rocsparse_index_base_b ; -- Begin function _ZN9rocsparseL20bsrxmvn_17_32_kernelILj24Efli18rocsparse_bfloat16S1_fEEvT2_20rocsparse_direction_NS_24const_host_device_scalarIT0_EES2_PKS2_PKT1_SB_S8_PKT3_PKT4_S6_PT5_21rocsparse_index_base_b
	.p2align	8
	.type	_ZN9rocsparseL20bsrxmvn_17_32_kernelILj24Efli18rocsparse_bfloat16S1_fEEvT2_20rocsparse_direction_NS_24const_host_device_scalarIT0_EES2_PKS2_PKT1_SB_S8_PKT3_PKT4_S6_PT5_21rocsparse_index_base_b,@function
_ZN9rocsparseL20bsrxmvn_17_32_kernelILj24Efli18rocsparse_bfloat16S1_fEEvT2_20rocsparse_direction_NS_24const_host_device_scalarIT0_EES2_PKS2_PKT1_SB_S8_PKT3_PKT4_S6_PT5_21rocsparse_index_base_b: ; @_ZN9rocsparseL20bsrxmvn_17_32_kernelILj24Efli18rocsparse_bfloat16S1_fEEvT2_20rocsparse_direction_NS_24const_host_device_scalarIT0_EES2_PKS2_PKT1_SB_S8_PKT3_PKT4_S6_PT5_21rocsparse_index_base_b
; %bb.0:
	s_mov_b32 s10, s15
	s_clause 0x2
	s_load_b64 s[14:15], s[0:1], 0x58
	s_load_b64 s[12:13], s[0:1], 0x8
	;; [unrolled: 1-line block ×3, first 2 shown]
	s_waitcnt lgkmcnt(0)
	s_bitcmp1_b32 s15, 0
	s_cselect_b32 s2, -1, 0
	s_delay_alu instid0(SALU_CYCLE_1)
	s_and_b32 vcc_lo, exec_lo, s2
	s_xor_b32 s2, s2, -1
	s_cbranch_vccnz .LBB359_2
; %bb.1:
	s_load_b32 s12, s[12:13], 0x0
.LBB359_2:
	s_and_not1_b32 vcc_lo, exec_lo, s2
	s_cbranch_vccnz .LBB359_4
; %bb.3:
	s_load_b32 s8, s[8:9], 0x0
.LBB359_4:
	s_waitcnt lgkmcnt(0)
	v_cmp_neq_f32_e64 s2, s12, 0
	v_cmp_neq_f32_e64 s3, s8, 1.0
	s_delay_alu instid0(VALU_DEP_1) | instskip(NEXT) | instid1(SALU_CYCLE_1)
	s_or_b32 s2, s2, s3
	s_and_not1_b32 vcc_lo, exec_lo, s2
	s_cbranch_vccnz .LBB359_42
; %bb.5:
	s_clause 0x1
	s_load_b128 s[4:7], s[0:1], 0x18
	s_load_b64 s[16:17], s[0:1], 0x28
	s_waitcnt lgkmcnt(0)
	s_cmp_eq_u64 s[4:5], 0
	s_cbranch_scc1 .LBB359_7
; %bb.6:
	s_ashr_i32 s11, s10, 31
	s_delay_alu instid0(SALU_CYCLE_1) | instskip(NEXT) | instid1(SALU_CYCLE_1)
	s_lshl_b64 s[2:3], s[10:11], 2
	s_add_u32 s2, s4, s2
	s_addc_u32 s3, s5, s3
	s_load_b32 s2, s[2:3], 0x0
	s_waitcnt lgkmcnt(0)
	s_sub_i32 s10, s2, s14
.LBB359_7:
	s_load_b32 s3, s[0:1], 0x4
	v_mul_u32_u24_e32 v1, 0xaab, v0
	v_mov_b32_e32 v6, 0
	s_delay_alu instid0(VALU_DEP_2) | instskip(NEXT) | instid1(VALU_DEP_1)
	v_lshrrev_b32_e32 v1, 16, v1
	v_mul_lo_u16 v2, v1, 24
	s_delay_alu instid0(VALU_DEP_1)
	v_sub_nc_u16 v7, v0, v2
	s_waitcnt lgkmcnt(0)
	s_cmp_eq_u32 s3, 1
	s_cselect_b32 s2, -1, 0
	s_cmp_lg_u32 s3, 1
	s_cselect_b32 s3, -1, 0
	s_ashr_i32 s11, s10, 31
	s_delay_alu instid0(SALU_CYCLE_1) | instskip(NEXT) | instid1(SALU_CYCLE_1)
	s_lshl_b64 s[4:5], s[10:11], 3
	s_add_u32 s6, s6, s4
	s_addc_u32 s7, s7, s5
	s_add_u32 s9, s6, 8
	s_addc_u32 s11, s7, 0
	;; [unrolled: 2-line block ×3, first 2 shown]
	s_cmp_eq_u64 s[16:17], 0
	s_cselect_b32 s5, s11, s5
	s_cselect_b32 s4, s9, s4
	s_load_b64 s[18:19], s[6:7], 0x0
	s_load_b64 s[6:7], s[4:5], 0x0
	;; [unrolled: 1-line block ×3, first 2 shown]
	s_waitcnt lgkmcnt(0)
	v_cmp_ge_i64_e64 s9, s[18:19], s[6:7]
	s_delay_alu instid0(VALU_DEP_1)
	s_and_b32 vcc_lo, exec_lo, s9
	s_cbranch_vccnz .LBB359_12
; %bb.8:
	v_and_b32_e32 v1, 0xffff, v1
	v_cmp_lt_u32_e32 vcc_lo, 0x23f, v0
	s_clause 0x1
	s_load_b128 s[20:23], s[0:1], 0x30
	s_load_b64 s[0:1], s[0:1], 0x40
	s_sub_u32 s6, s6, s14
	s_subb_u32 s7, s7, 0
	v_subrev_nc_u32_e32 v3, 24, v1
	v_cndmask_b32_e64 v8, 0, 1, vcc_lo
	v_cmp_gt_u32_e32 vcc_lo, 0x240, v0
	v_and_b32_e32 v2, 0xffff, v7
	s_sub_u32 s16, s18, s14
	s_subb_u32 s17, s19, 0
	s_mul_hi_u32 s9, s16, 0x480
	v_cndmask_b32_e32 v1, v3, v1, vcc_lo
	s_mul_i32 s11, s17, 0x480
	v_lshlrev_b32_e32 v6, 1, v0
	s_add_i32 s9, s9, s11
	s_delay_alu instid0(VALU_DEP_2) | instskip(SKIP_1) | instid1(VALU_DEP_1)
	v_cndmask_b32_e64 v1, v2, v1, s2
	v_add_co_u32 v2, s2, s18, v8
	v_add_co_ci_u32_e64 v3, null, s19, 0, s2
	s_mul_i32 s2, s16, 0x480
	s_delay_alu instid0(VALU_DEP_2) | instskip(NEXT) | instid1(VALU_DEP_2)
	v_sub_co_u32 v2, vcc_lo, v2, s14
	v_subrev_co_ci_u32_e32 v3, vcc_lo, 0, v3, vcc_lo
	s_waitcnt lgkmcnt(0)
	s_add_u32 s2, s22, s2
	s_addc_u32 s9, s23, s9
	s_delay_alu instid0(VALU_DEP_1) | instskip(SKIP_1) | instid1(VALU_DEP_1)
	v_lshlrev_b64 v[4:5], 2, v[2:3]
	v_add_co_u32 v2, s2, s2, v6
	v_add_co_ci_u32_e64 v3, null, s9, 0, s2
	v_mov_b32_e32 v6, 0
	s_delay_alu instid0(VALU_DEP_4)
	v_add_co_u32 v4, vcc_lo, s20, v4
	v_add_co_ci_u32_e32 v5, vcc_lo, s21, v5, vcc_lo
	s_set_inst_prefetch_distance 0x1
	s_branch .LBB359_10
	.p2align	6
.LBB359_9:                              ;   in Loop: Header=BB359_10 Depth=1
	s_or_b32 exec_lo, exec_lo, s2
	s_add_u32 s16, s16, 1
	s_addc_u32 s17, s17, 0
	v_add_co_u32 v4, vcc_lo, v4, 4
	v_cmp_lt_i64_e64 s2, s[16:17], s[6:7]
	v_add_co_ci_u32_e32 v5, vcc_lo, 0, v5, vcc_lo
	s_delay_alu instid0(VALU_DEP_2)
	s_and_b32 vcc_lo, exec_lo, s2
	s_cbranch_vccz .LBB359_12
.LBB359_10:                             ; =>This Inner Loop Header: Depth=1
	v_add_co_u32 v9, s2, v8, s16
	s_delay_alu instid0(VALU_DEP_1) | instskip(SKIP_1) | instid1(VALU_DEP_1)
	v_add_co_ci_u32_e64 v10, null, 0, s17, s2
	s_mov_b32 s2, exec_lo
	v_cmpx_gt_i64_e64 s[6:7], v[9:10]
	s_cbranch_execz .LBB359_9
; %bb.11:                               ;   in Loop: Header=BB359_10 Depth=1
	global_load_b32 v9, v[4:5], off
	s_waitcnt vmcnt(0)
	v_subrev_nc_u32_e32 v11, s14, v9
	s_delay_alu instid0(VALU_DEP_1) | instskip(NEXT) | instid1(VALU_DEP_1)
	v_mad_u64_u32 v[9:10], null, v11, 24, v[1:2]
	v_ashrrev_i32_e32 v10, 31, v9
	s_delay_alu instid0(VALU_DEP_1) | instskip(NEXT) | instid1(VALU_DEP_1)
	v_lshlrev_b64 v[9:10], 1, v[9:10]
	v_add_co_u32 v9, vcc_lo, s0, v9
	s_delay_alu instid0(VALU_DEP_2)
	v_add_co_ci_u32_e32 v10, vcc_lo, s1, v10, vcc_lo
	global_load_u16 v11, v[2:3], off
	global_load_u16 v9, v[9:10], off
	v_add_co_u32 v2, vcc_lo, 0x480, v2
	v_add_co_ci_u32_e32 v3, vcc_lo, 0, v3, vcc_lo
	s_waitcnt vmcnt(1)
	v_lshlrev_b32_e32 v10, 16, v11
	s_waitcnt vmcnt(0)
	v_lshlrev_b32_e32 v9, 16, v9
	s_delay_alu instid0(VALU_DEP_1)
	v_fmac_f32_e32 v6, v10, v9
	s_branch .LBB359_9
.LBB359_12:
	s_set_inst_prefetch_distance 0x2
	v_lshlrev_b32_e32 v1, 2, v0
	s_and_b32 vcc_lo, exec_lo, s3
	ds_store_b32 v1, v6
	s_waitcnt lgkmcnt(0)
	s_barrier
	buffer_gl0_inv
	s_cbranch_vccz .LBB359_24
; %bb.13:
	v_cmp_gt_u16_e32 vcc_lo, 8, v7
	s_and_saveexec_b32 s0, vcc_lo
	s_cbranch_execz .LBB359_15
; %bb.14:
	ds_load_2addr_b32 v[2:3], v1 offset1:16
	s_waitcnt lgkmcnt(0)
	v_add_f32_e32 v2, v3, v2
	ds_store_b32 v1, v2
.LBB359_15:
	s_or_b32 exec_lo, exec_lo, s0
	s_waitcnt lgkmcnt(0)
	s_barrier
	buffer_gl0_inv
	s_and_saveexec_b32 s0, vcc_lo
	s_cbranch_execz .LBB359_17
; %bb.16:
	ds_load_2addr_b32 v[2:3], v1 offset1:8
	s_waitcnt lgkmcnt(0)
	v_add_f32_e32 v2, v3, v2
	ds_store_b32 v1, v2
.LBB359_17:
	s_or_b32 exec_lo, exec_lo, s0
	s_delay_alu instid0(SALU_CYCLE_1)
	s_mov_b32 s0, exec_lo
	s_waitcnt lgkmcnt(0)
	s_barrier
	buffer_gl0_inv
	v_cmpx_gt_u16_e32 4, v7
	s_cbranch_execz .LBB359_19
; %bb.18:
	ds_load_2addr_b32 v[2:3], v1 offset1:4
	s_waitcnt lgkmcnt(0)
	v_add_f32_e32 v2, v3, v2
	ds_store_b32 v1, v2
.LBB359_19:
	s_or_b32 exec_lo, exec_lo, s0
	s_delay_alu instid0(SALU_CYCLE_1)
	s_mov_b32 s0, exec_lo
	s_waitcnt lgkmcnt(0)
	s_barrier
	buffer_gl0_inv
	v_cmpx_gt_u16_e32 2, v7
	s_cbranch_execz .LBB359_21
; %bb.20:
	ds_load_2addr_b32 v[2:3], v1 offset1:2
	s_waitcnt lgkmcnt(0)
	v_add_f32_e32 v2, v3, v2
	ds_store_b32 v1, v2
.LBB359_21:
	s_or_b32 exec_lo, exec_lo, s0
	s_mov_b32 s1, 0
	s_mov_b32 s0, 0
	s_mov_b32 s2, exec_lo
	s_waitcnt lgkmcnt(0)
	s_barrier
	buffer_gl0_inv
                                        ; implicit-def: $vgpr2
                                        ; implicit-def: $vgpr3
	v_cmpx_gt_u32_e32 24, v0
	s_xor_b32 s2, exec_lo, s2
; %bb.22:
	v_mul_u32_u24_e32 v2, 24, v0
	v_mad_u32_u24 v3, 0x5c, v0, v1
	s_mov_b32 s0, exec_lo
	s_delay_alu instid0(VALU_DEP_2)
	v_or_b32_e32 v2, 1, v2
; %bb.23:
	s_or_b32 exec_lo, exec_lo, s2
	s_delay_alu instid0(SALU_CYCLE_1)
	s_and_b32 vcc_lo, exec_lo, s1
	s_cbranch_vccnz .LBB359_25
	s_branch .LBB359_36
.LBB359_24:
	s_mov_b32 s0, 0
                                        ; implicit-def: $vgpr2
                                        ; implicit-def: $vgpr3
	s_cbranch_execz .LBB359_36
.LBB359_25:
	v_cmp_gt_u32_e32 vcc_lo, 0xc0, v0
	s_and_saveexec_b32 s1, vcc_lo
	s_cbranch_execz .LBB359_27
; %bb.26:
	ds_load_2addr_stride64_b32 v[2:3], v1 offset1:6
	s_waitcnt lgkmcnt(0)
	v_add_f32_e32 v2, v3, v2
	ds_store_b32 v1, v2
.LBB359_27:
	s_or_b32 exec_lo, exec_lo, s1
	s_waitcnt lgkmcnt(0)
	s_barrier
	buffer_gl0_inv
	s_and_saveexec_b32 s1, vcc_lo
	s_cbranch_execz .LBB359_29
; %bb.28:
	ds_load_2addr_stride64_b32 v[2:3], v1 offset1:3
	s_waitcnt lgkmcnt(0)
	v_add_f32_e32 v2, v3, v2
	ds_store_b32 v1, v2
.LBB359_29:
	s_or_b32 exec_lo, exec_lo, s1
	s_delay_alu instid0(SALU_CYCLE_1)
	s_mov_b32 s1, exec_lo
	s_waitcnt lgkmcnt(0)
	s_barrier
	buffer_gl0_inv
	v_cmpx_gt_u32_e32 0x60, v0
	s_cbranch_execz .LBB359_31
; %bb.30:
	ds_load_2addr_b32 v[2:3], v1 offset1:96
	s_waitcnt lgkmcnt(0)
	v_add_f32_e32 v2, v3, v2
	ds_store_b32 v1, v2
.LBB359_31:
	s_or_b32 exec_lo, exec_lo, s1
	s_delay_alu instid0(SALU_CYCLE_1)
	s_mov_b32 s1, exec_lo
	s_waitcnt lgkmcnt(0)
	s_barrier
	buffer_gl0_inv
	v_cmpx_gt_u32_e32 48, v0
	s_cbranch_execz .LBB359_33
; %bb.32:
	ds_load_2addr_b32 v[2:3], v1 offset1:48
	s_waitcnt lgkmcnt(0)
	v_add_f32_e32 v2, v3, v2
	ds_store_b32 v1, v2
.LBB359_33:
	s_or_b32 exec_lo, exec_lo, s1
	s_delay_alu instid0(SALU_CYCLE_1)
	s_mov_b32 s1, exec_lo
	s_waitcnt lgkmcnt(0)
	buffer_gl0_inv
                                        ; implicit-def: $vgpr2
	v_cmpx_gt_u32_e32 24, v0
; %bb.34:
	v_add_nc_u32_e32 v2, 24, v0
	s_or_b32 s0, s0, exec_lo
                                        ; implicit-def: $vgpr6
; %bb.35:
	s_or_b32 exec_lo, exec_lo, s1
	v_mov_b32_e32 v3, v1
.LBB359_36:
	s_and_saveexec_b32 s1, s0
	s_cbranch_execz .LBB359_38
; %bb.37:
	v_lshlrev_b32_e32 v1, 2, v2
	ds_load_b32 v2, v3
	ds_load_b32 v1, v1
	s_waitcnt lgkmcnt(0)
	v_add_f32_e32 v6, v2, v1
.LBB359_38:
	s_or_b32 exec_lo, exec_lo, s1
	s_delay_alu instid0(SALU_CYCLE_1)
	s_mov_b32 s0, exec_lo
	v_cmpx_gt_u32_e32 24, v0
	s_cbranch_execz .LBB359_42
; %bb.39:
	v_cmp_eq_f32_e64 s0, s8, 0
	v_mul_f32_e32 v1, s12, v6
	s_delay_alu instid0(VALU_DEP_2)
	s_and_b32 vcc_lo, exec_lo, s0
	s_mov_b32 s0, 0
	s_cbranch_vccz .LBB359_43
; %bb.40:
	s_delay_alu instid0(VALU_DEP_1) | instskip(SKIP_1) | instid1(VALU_DEP_1)
	v_mad_u64_u32 v[2:3], null, s10, 24, v[0:1]
	v_mov_b32_e32 v3, 0
	v_lshlrev_b64 v[2:3], 2, v[2:3]
	s_delay_alu instid0(VALU_DEP_1) | instskip(NEXT) | instid1(VALU_DEP_2)
	v_add_co_u32 v2, vcc_lo, s4, v2
	v_add_co_ci_u32_e32 v3, vcc_lo, s5, v3, vcc_lo
	global_store_b32 v[2:3], v1, off
	s_and_not1_b32 vcc_lo, exec_lo, s0
	s_cbranch_vccnz .LBB359_42
.LBB359_41:
	v_mad_u64_u32 v[2:3], null, s10, 24, v[0:1]
	v_mov_b32_e32 v3, 0
	s_delay_alu instid0(VALU_DEP_1) | instskip(NEXT) | instid1(VALU_DEP_1)
	v_lshlrev_b64 v[2:3], 2, v[2:3]
	v_add_co_u32 v2, vcc_lo, s4, v2
	s_delay_alu instid0(VALU_DEP_2)
	v_add_co_ci_u32_e32 v3, vcc_lo, s5, v3, vcc_lo
	global_load_b32 v0, v[2:3], off
	s_waitcnt vmcnt(0)
	v_fmac_f32_e32 v1, s8, v0
	global_store_b32 v[2:3], v1, off
.LBB359_42:
	s_nop 0
	s_sendmsg sendmsg(MSG_DEALLOC_VGPRS)
	s_endpgm
.LBB359_43:
	s_branch .LBB359_41
	.section	.rodata,"a",@progbits
	.p2align	6, 0x0
	.amdhsa_kernel _ZN9rocsparseL20bsrxmvn_17_32_kernelILj24Efli18rocsparse_bfloat16S1_fEEvT2_20rocsparse_direction_NS_24const_host_device_scalarIT0_EES2_PKS2_PKT1_SB_S8_PKT3_PKT4_S6_PT5_21rocsparse_index_base_b
		.amdhsa_group_segment_fixed_size 2304
		.amdhsa_private_segment_fixed_size 0
		.amdhsa_kernarg_size 96
		.amdhsa_user_sgpr_count 15
		.amdhsa_user_sgpr_dispatch_ptr 0
		.amdhsa_user_sgpr_queue_ptr 0
		.amdhsa_user_sgpr_kernarg_segment_ptr 1
		.amdhsa_user_sgpr_dispatch_id 0
		.amdhsa_user_sgpr_private_segment_size 0
		.amdhsa_wavefront_size32 1
		.amdhsa_uses_dynamic_stack 0
		.amdhsa_enable_private_segment 0
		.amdhsa_system_sgpr_workgroup_id_x 1
		.amdhsa_system_sgpr_workgroup_id_y 0
		.amdhsa_system_sgpr_workgroup_id_z 0
		.amdhsa_system_sgpr_workgroup_info 0
		.amdhsa_system_vgpr_workitem_id 0
		.amdhsa_next_free_vgpr 12
		.amdhsa_next_free_sgpr 24
		.amdhsa_reserve_vcc 1
		.amdhsa_float_round_mode_32 0
		.amdhsa_float_round_mode_16_64 0
		.amdhsa_float_denorm_mode_32 3
		.amdhsa_float_denorm_mode_16_64 3
		.amdhsa_dx10_clamp 1
		.amdhsa_ieee_mode 1
		.amdhsa_fp16_overflow 0
		.amdhsa_workgroup_processor_mode 1
		.amdhsa_memory_ordered 1
		.amdhsa_forward_progress 0
		.amdhsa_shared_vgpr_count 0
		.amdhsa_exception_fp_ieee_invalid_op 0
		.amdhsa_exception_fp_denorm_src 0
		.amdhsa_exception_fp_ieee_div_zero 0
		.amdhsa_exception_fp_ieee_overflow 0
		.amdhsa_exception_fp_ieee_underflow 0
		.amdhsa_exception_fp_ieee_inexact 0
		.amdhsa_exception_int_div_zero 0
	.end_amdhsa_kernel
	.section	.text._ZN9rocsparseL20bsrxmvn_17_32_kernelILj24Efli18rocsparse_bfloat16S1_fEEvT2_20rocsparse_direction_NS_24const_host_device_scalarIT0_EES2_PKS2_PKT1_SB_S8_PKT3_PKT4_S6_PT5_21rocsparse_index_base_b,"axG",@progbits,_ZN9rocsparseL20bsrxmvn_17_32_kernelILj24Efli18rocsparse_bfloat16S1_fEEvT2_20rocsparse_direction_NS_24const_host_device_scalarIT0_EES2_PKS2_PKT1_SB_S8_PKT3_PKT4_S6_PT5_21rocsparse_index_base_b,comdat
.Lfunc_end359:
	.size	_ZN9rocsparseL20bsrxmvn_17_32_kernelILj24Efli18rocsparse_bfloat16S1_fEEvT2_20rocsparse_direction_NS_24const_host_device_scalarIT0_EES2_PKS2_PKT1_SB_S8_PKT3_PKT4_S6_PT5_21rocsparse_index_base_b, .Lfunc_end359-_ZN9rocsparseL20bsrxmvn_17_32_kernelILj24Efli18rocsparse_bfloat16S1_fEEvT2_20rocsparse_direction_NS_24const_host_device_scalarIT0_EES2_PKS2_PKT1_SB_S8_PKT3_PKT4_S6_PT5_21rocsparse_index_base_b
                                        ; -- End function
	.section	.AMDGPU.csdata,"",@progbits
; Kernel info:
; codeLenInByte = 1604
; NumSgprs: 26
; NumVgprs: 12
; ScratchSize: 0
; MemoryBound: 0
; FloatMode: 240
; IeeeMode: 1
; LDSByteSize: 2304 bytes/workgroup (compile time only)
; SGPRBlocks: 3
; VGPRBlocks: 1
; NumSGPRsForWavesPerEU: 26
; NumVGPRsForWavesPerEU: 12
; Occupancy: 14
; WaveLimiterHint : 1
; COMPUTE_PGM_RSRC2:SCRATCH_EN: 0
; COMPUTE_PGM_RSRC2:USER_SGPR: 15
; COMPUTE_PGM_RSRC2:TRAP_HANDLER: 0
; COMPUTE_PGM_RSRC2:TGID_X_EN: 1
; COMPUTE_PGM_RSRC2:TGID_Y_EN: 0
; COMPUTE_PGM_RSRC2:TGID_Z_EN: 0
; COMPUTE_PGM_RSRC2:TIDIG_COMP_CNT: 0
	.section	.text._ZN9rocsparseL20bsrxmvn_17_32_kernelILj25Efli18rocsparse_bfloat16S1_fEEvT2_20rocsparse_direction_NS_24const_host_device_scalarIT0_EES2_PKS2_PKT1_SB_S8_PKT3_PKT4_S6_PT5_21rocsparse_index_base_b,"axG",@progbits,_ZN9rocsparseL20bsrxmvn_17_32_kernelILj25Efli18rocsparse_bfloat16S1_fEEvT2_20rocsparse_direction_NS_24const_host_device_scalarIT0_EES2_PKS2_PKT1_SB_S8_PKT3_PKT4_S6_PT5_21rocsparse_index_base_b,comdat
	.globl	_ZN9rocsparseL20bsrxmvn_17_32_kernelILj25Efli18rocsparse_bfloat16S1_fEEvT2_20rocsparse_direction_NS_24const_host_device_scalarIT0_EES2_PKS2_PKT1_SB_S8_PKT3_PKT4_S6_PT5_21rocsparse_index_base_b ; -- Begin function _ZN9rocsparseL20bsrxmvn_17_32_kernelILj25Efli18rocsparse_bfloat16S1_fEEvT2_20rocsparse_direction_NS_24const_host_device_scalarIT0_EES2_PKS2_PKT1_SB_S8_PKT3_PKT4_S6_PT5_21rocsparse_index_base_b
	.p2align	8
	.type	_ZN9rocsparseL20bsrxmvn_17_32_kernelILj25Efli18rocsparse_bfloat16S1_fEEvT2_20rocsparse_direction_NS_24const_host_device_scalarIT0_EES2_PKS2_PKT1_SB_S8_PKT3_PKT4_S6_PT5_21rocsparse_index_base_b,@function
_ZN9rocsparseL20bsrxmvn_17_32_kernelILj25Efli18rocsparse_bfloat16S1_fEEvT2_20rocsparse_direction_NS_24const_host_device_scalarIT0_EES2_PKS2_PKT1_SB_S8_PKT3_PKT4_S6_PT5_21rocsparse_index_base_b: ; @_ZN9rocsparseL20bsrxmvn_17_32_kernelILj25Efli18rocsparse_bfloat16S1_fEEvT2_20rocsparse_direction_NS_24const_host_device_scalarIT0_EES2_PKS2_PKT1_SB_S8_PKT3_PKT4_S6_PT5_21rocsparse_index_base_b
; %bb.0:
	s_mov_b32 s10, s15
	s_clause 0x2
	s_load_b64 s[14:15], s[0:1], 0x58
	s_load_b64 s[12:13], s[0:1], 0x8
	;; [unrolled: 1-line block ×3, first 2 shown]
	s_waitcnt lgkmcnt(0)
	s_bitcmp1_b32 s15, 0
	s_cselect_b32 s2, -1, 0
	s_delay_alu instid0(SALU_CYCLE_1)
	s_and_b32 vcc_lo, exec_lo, s2
	s_xor_b32 s2, s2, -1
	s_cbranch_vccnz .LBB360_2
; %bb.1:
	s_load_b32 s12, s[12:13], 0x0
.LBB360_2:
	s_and_not1_b32 vcc_lo, exec_lo, s2
	s_cbranch_vccnz .LBB360_4
; %bb.3:
	s_load_b32 s8, s[8:9], 0x0
.LBB360_4:
	s_waitcnt lgkmcnt(0)
	v_cmp_neq_f32_e64 s2, s12, 0
	v_cmp_neq_f32_e64 s3, s8, 1.0
	s_delay_alu instid0(VALU_DEP_1) | instskip(NEXT) | instid1(SALU_CYCLE_1)
	s_or_b32 s2, s2, s3
	s_and_not1_b32 vcc_lo, exec_lo, s2
	s_cbranch_vccnz .LBB360_42
; %bb.5:
	s_clause 0x1
	s_load_b128 s[4:7], s[0:1], 0x18
	s_load_b64 s[16:17], s[0:1], 0x28
	s_waitcnt lgkmcnt(0)
	s_cmp_eq_u64 s[4:5], 0
	s_cbranch_scc1 .LBB360_7
; %bb.6:
	s_ashr_i32 s11, s10, 31
	s_delay_alu instid0(SALU_CYCLE_1) | instskip(NEXT) | instid1(SALU_CYCLE_1)
	s_lshl_b64 s[2:3], s[10:11], 2
	s_add_u32 s2, s4, s2
	s_addc_u32 s3, s5, s3
	s_load_b32 s2, s[2:3], 0x0
	s_waitcnt lgkmcnt(0)
	s_sub_i32 s10, s2, s14
.LBB360_7:
	s_load_b32 s3, s[0:1], 0x4
	v_mul_u32_u24_e32 v1, 0xa3e, v0
	v_mov_b32_e32 v6, 0
	s_delay_alu instid0(VALU_DEP_2) | instskip(NEXT) | instid1(VALU_DEP_1)
	v_lshrrev_b32_e32 v1, 16, v1
	v_mul_lo_u16 v2, v1, 25
	s_delay_alu instid0(VALU_DEP_1)
	v_sub_nc_u16 v7, v0, v2
	s_waitcnt lgkmcnt(0)
	s_cmp_eq_u32 s3, 1
	s_cselect_b32 s2, -1, 0
	s_cmp_lg_u32 s3, 1
	s_cselect_b32 s3, -1, 0
	s_ashr_i32 s11, s10, 31
	s_delay_alu instid0(SALU_CYCLE_1) | instskip(NEXT) | instid1(SALU_CYCLE_1)
	s_lshl_b64 s[4:5], s[10:11], 3
	s_add_u32 s6, s6, s4
	s_addc_u32 s7, s7, s5
	s_add_u32 s9, s6, 8
	s_addc_u32 s11, s7, 0
	;; [unrolled: 2-line block ×3, first 2 shown]
	s_cmp_eq_u64 s[16:17], 0
	s_cselect_b32 s5, s11, s5
	s_cselect_b32 s4, s9, s4
	s_load_b64 s[18:19], s[6:7], 0x0
	s_load_b64 s[6:7], s[4:5], 0x0
	;; [unrolled: 1-line block ×3, first 2 shown]
	s_waitcnt lgkmcnt(0)
	v_cmp_ge_i64_e64 s9, s[18:19], s[6:7]
	s_delay_alu instid0(VALU_DEP_1)
	s_and_b32 vcc_lo, exec_lo, s9
	s_cbranch_vccnz .LBB360_12
; %bb.8:
	v_and_b32_e32 v1, 0xffff, v1
	v_cmp_lt_u32_e32 vcc_lo, 0x270, v0
	s_clause 0x1
	s_load_b128 s[20:23], s[0:1], 0x30
	s_load_b64 s[0:1], s[0:1], 0x40
	s_sub_u32 s6, s6, s14
	s_subb_u32 s7, s7, 0
	v_subrev_nc_u32_e32 v3, 25, v1
	v_cndmask_b32_e64 v8, 0, 1, vcc_lo
	v_cmp_gt_u32_e32 vcc_lo, 0x271, v0
	v_and_b32_e32 v2, 0xffff, v7
	s_sub_u32 s16, s18, s14
	s_subb_u32 s17, s19, 0
	s_mul_hi_u32 s9, s16, 0x4e2
	v_cndmask_b32_e32 v1, v3, v1, vcc_lo
	s_mul_i32 s11, s17, 0x4e2
	v_lshlrev_b32_e32 v6, 1, v0
	s_add_i32 s9, s9, s11
	s_delay_alu instid0(VALU_DEP_2) | instskip(SKIP_1) | instid1(VALU_DEP_1)
	v_cndmask_b32_e64 v1, v2, v1, s2
	v_add_co_u32 v2, s2, s18, v8
	v_add_co_ci_u32_e64 v3, null, s19, 0, s2
	s_mul_i32 s2, s16, 0x4e2
	s_delay_alu instid0(VALU_DEP_2) | instskip(NEXT) | instid1(VALU_DEP_2)
	v_sub_co_u32 v2, vcc_lo, v2, s14
	v_subrev_co_ci_u32_e32 v3, vcc_lo, 0, v3, vcc_lo
	s_waitcnt lgkmcnt(0)
	s_add_u32 s2, s22, s2
	s_addc_u32 s9, s23, s9
	s_delay_alu instid0(VALU_DEP_1) | instskip(SKIP_1) | instid1(VALU_DEP_1)
	v_lshlrev_b64 v[4:5], 2, v[2:3]
	v_add_co_u32 v2, s2, s2, v6
	v_add_co_ci_u32_e64 v3, null, s9, 0, s2
	v_mov_b32_e32 v6, 0
	s_delay_alu instid0(VALU_DEP_4)
	v_add_co_u32 v4, vcc_lo, s20, v4
	v_add_co_ci_u32_e32 v5, vcc_lo, s21, v5, vcc_lo
	s_set_inst_prefetch_distance 0x1
	s_branch .LBB360_10
	.p2align	6
.LBB360_9:                              ;   in Loop: Header=BB360_10 Depth=1
	s_or_b32 exec_lo, exec_lo, s2
	s_add_u32 s16, s16, 1
	s_addc_u32 s17, s17, 0
	v_add_co_u32 v4, vcc_lo, v4, 4
	v_cmp_lt_i64_e64 s2, s[16:17], s[6:7]
	v_add_co_ci_u32_e32 v5, vcc_lo, 0, v5, vcc_lo
	s_delay_alu instid0(VALU_DEP_2)
	s_and_b32 vcc_lo, exec_lo, s2
	s_cbranch_vccz .LBB360_12
.LBB360_10:                             ; =>This Inner Loop Header: Depth=1
	v_add_co_u32 v9, s2, v8, s16
	s_delay_alu instid0(VALU_DEP_1) | instskip(SKIP_1) | instid1(VALU_DEP_1)
	v_add_co_ci_u32_e64 v10, null, 0, s17, s2
	s_mov_b32 s2, exec_lo
	v_cmpx_gt_i64_e64 s[6:7], v[9:10]
	s_cbranch_execz .LBB360_9
; %bb.11:                               ;   in Loop: Header=BB360_10 Depth=1
	global_load_b32 v9, v[4:5], off
	s_waitcnt vmcnt(0)
	v_subrev_nc_u32_e32 v11, s14, v9
	s_delay_alu instid0(VALU_DEP_1) | instskip(NEXT) | instid1(VALU_DEP_1)
	v_mad_u64_u32 v[9:10], null, v11, 25, v[1:2]
	v_ashrrev_i32_e32 v10, 31, v9
	s_delay_alu instid0(VALU_DEP_1) | instskip(NEXT) | instid1(VALU_DEP_1)
	v_lshlrev_b64 v[9:10], 1, v[9:10]
	v_add_co_u32 v9, vcc_lo, s0, v9
	s_delay_alu instid0(VALU_DEP_2)
	v_add_co_ci_u32_e32 v10, vcc_lo, s1, v10, vcc_lo
	global_load_u16 v11, v[2:3], off
	global_load_u16 v9, v[9:10], off
	v_add_co_u32 v2, vcc_lo, 0x4e2, v2
	v_add_co_ci_u32_e32 v3, vcc_lo, 0, v3, vcc_lo
	s_waitcnt vmcnt(1)
	v_lshlrev_b32_e32 v10, 16, v11
	s_waitcnt vmcnt(0)
	v_lshlrev_b32_e32 v9, 16, v9
	s_delay_alu instid0(VALU_DEP_1)
	v_fmac_f32_e32 v6, v10, v9
	s_branch .LBB360_9
.LBB360_12:
	s_set_inst_prefetch_distance 0x2
	v_lshlrev_b32_e32 v1, 2, v0
	s_and_b32 vcc_lo, exec_lo, s3
	ds_store_b32 v1, v6
	s_waitcnt lgkmcnt(0)
	s_barrier
	buffer_gl0_inv
	s_cbranch_vccz .LBB360_24
; %bb.13:
	s_mov_b32 s0, exec_lo
	v_cmpx_gt_u16_e32 9, v7
	s_cbranch_execz .LBB360_15
; %bb.14:
	ds_load_2addr_b32 v[2:3], v1 offset1:16
	s_waitcnt lgkmcnt(0)
	v_add_f32_e32 v2, v3, v2
	ds_store_b32 v1, v2
.LBB360_15:
	s_or_b32 exec_lo, exec_lo, s0
	s_delay_alu instid0(SALU_CYCLE_1)
	s_mov_b32 s0, exec_lo
	s_waitcnt lgkmcnt(0)
	s_barrier
	buffer_gl0_inv
	v_cmpx_gt_u16_e32 8, v7
	s_cbranch_execz .LBB360_17
; %bb.16:
	ds_load_2addr_b32 v[2:3], v1 offset1:8
	s_waitcnt lgkmcnt(0)
	v_add_f32_e32 v2, v3, v2
	ds_store_b32 v1, v2
.LBB360_17:
	s_or_b32 exec_lo, exec_lo, s0
	s_delay_alu instid0(SALU_CYCLE_1)
	s_mov_b32 s0, exec_lo
	s_waitcnt lgkmcnt(0)
	s_barrier
	buffer_gl0_inv
	;; [unrolled: 14-line block ×3, first 2 shown]
	v_cmpx_gt_u16_e32 2, v7
	s_cbranch_execz .LBB360_21
; %bb.20:
	ds_load_2addr_b32 v[2:3], v1 offset1:2
	s_waitcnt lgkmcnt(0)
	v_add_f32_e32 v2, v3, v2
	ds_store_b32 v1, v2
.LBB360_21:
	s_or_b32 exec_lo, exec_lo, s0
	s_mov_b32 s1, 0
	s_mov_b32 s0, 0
	s_mov_b32 s2, exec_lo
	s_waitcnt lgkmcnt(0)
	s_barrier
	buffer_gl0_inv
                                        ; implicit-def: $vgpr2
                                        ; implicit-def: $vgpr3
	v_cmpx_gt_u32_e32 25, v0
	s_xor_b32 s2, exec_lo, s2
; %bb.22:
	v_mad_u32_u24 v2, v0, 25, 1
	v_mad_u32_u24 v3, 0x60, v0, v1
	s_mov_b32 s0, exec_lo
; %bb.23:
	s_or_b32 exec_lo, exec_lo, s2
	s_delay_alu instid0(SALU_CYCLE_1)
	s_and_b32 vcc_lo, exec_lo, s1
	s_cbranch_vccnz .LBB360_25
	s_branch .LBB360_36
.LBB360_24:
	s_mov_b32 s0, 0
                                        ; implicit-def: $vgpr2
                                        ; implicit-def: $vgpr3
	s_cbranch_execz .LBB360_36
.LBB360_25:
	s_mov_b32 s1, exec_lo
	v_cmpx_gt_u32_e32 0xe1, v0
	s_cbranch_execz .LBB360_27
; %bb.26:
	ds_load_b32 v2, v1 offset:1600
	ds_load_b32 v3, v1
	s_waitcnt lgkmcnt(0)
	v_add_f32_e32 v2, v2, v3
	ds_store_b32 v1, v2
.LBB360_27:
	s_or_b32 exec_lo, exec_lo, s1
	s_delay_alu instid0(SALU_CYCLE_1)
	s_mov_b32 s1, exec_lo
	s_waitcnt lgkmcnt(0)
	s_barrier
	buffer_gl0_inv
	v_cmpx_gt_u32_e32 0xc8, v0
	s_cbranch_execz .LBB360_29
; %bb.28:
	ds_load_2addr_b32 v[2:3], v1 offset1:200
	s_waitcnt lgkmcnt(0)
	v_add_f32_e32 v2, v3, v2
	ds_store_b32 v1, v2
.LBB360_29:
	s_or_b32 exec_lo, exec_lo, s1
	s_delay_alu instid0(SALU_CYCLE_1)
	s_mov_b32 s1, exec_lo
	s_waitcnt lgkmcnt(0)
	s_barrier
	buffer_gl0_inv
	v_cmpx_gt_u32_e32 0x64, v0
	s_cbranch_execz .LBB360_31
; %bb.30:
	ds_load_2addr_b32 v[2:3], v1 offset1:100
	s_waitcnt lgkmcnt(0)
	v_add_f32_e32 v2, v3, v2
	ds_store_b32 v1, v2
.LBB360_31:
	;; [unrolled: 14-line block ×3, first 2 shown]
	s_or_b32 exec_lo, exec_lo, s1
	s_delay_alu instid0(SALU_CYCLE_1)
	s_mov_b32 s1, exec_lo
	s_waitcnt lgkmcnt(0)
	buffer_gl0_inv
                                        ; implicit-def: $vgpr2
	v_cmpx_gt_u32_e32 25, v0
; %bb.34:
	v_add_nc_u32_e32 v2, 25, v0
	s_or_b32 s0, s0, exec_lo
                                        ; implicit-def: $vgpr6
; %bb.35:
	s_or_b32 exec_lo, exec_lo, s1
	v_mov_b32_e32 v3, v1
.LBB360_36:
	s_and_saveexec_b32 s1, s0
	s_cbranch_execz .LBB360_38
; %bb.37:
	v_lshlrev_b32_e32 v1, 2, v2
	ds_load_b32 v2, v3
	ds_load_b32 v1, v1
	s_waitcnt lgkmcnt(0)
	v_add_f32_e32 v6, v2, v1
.LBB360_38:
	s_or_b32 exec_lo, exec_lo, s1
	s_delay_alu instid0(SALU_CYCLE_1)
	s_mov_b32 s0, exec_lo
	v_cmpx_gt_u32_e32 25, v0
	s_cbranch_execz .LBB360_42
; %bb.39:
	v_cmp_eq_f32_e64 s0, s8, 0
	v_mul_f32_e32 v1, s12, v6
	s_delay_alu instid0(VALU_DEP_2)
	s_and_b32 vcc_lo, exec_lo, s0
	s_mov_b32 s0, 0
	s_cbranch_vccz .LBB360_43
; %bb.40:
	s_delay_alu instid0(VALU_DEP_1) | instskip(SKIP_1) | instid1(VALU_DEP_1)
	v_mad_u64_u32 v[2:3], null, s10, 25, v[0:1]
	v_mov_b32_e32 v3, 0
	v_lshlrev_b64 v[2:3], 2, v[2:3]
	s_delay_alu instid0(VALU_DEP_1) | instskip(NEXT) | instid1(VALU_DEP_2)
	v_add_co_u32 v2, vcc_lo, s4, v2
	v_add_co_ci_u32_e32 v3, vcc_lo, s5, v3, vcc_lo
	global_store_b32 v[2:3], v1, off
	s_and_not1_b32 vcc_lo, exec_lo, s0
	s_cbranch_vccnz .LBB360_42
.LBB360_41:
	v_mad_u64_u32 v[2:3], null, s10, 25, v[0:1]
	v_mov_b32_e32 v3, 0
	s_delay_alu instid0(VALU_DEP_1) | instskip(NEXT) | instid1(VALU_DEP_1)
	v_lshlrev_b64 v[2:3], 2, v[2:3]
	v_add_co_u32 v2, vcc_lo, s4, v2
	s_delay_alu instid0(VALU_DEP_2)
	v_add_co_ci_u32_e32 v3, vcc_lo, s5, v3, vcc_lo
	global_load_b32 v0, v[2:3], off
	s_waitcnt vmcnt(0)
	v_fmac_f32_e32 v1, s8, v0
	global_store_b32 v[2:3], v1, off
.LBB360_42:
	s_nop 0
	s_sendmsg sendmsg(MSG_DEALLOC_VGPRS)
	s_endpgm
.LBB360_43:
	s_branch .LBB360_41
	.section	.rodata,"a",@progbits
	.p2align	6, 0x0
	.amdhsa_kernel _ZN9rocsparseL20bsrxmvn_17_32_kernelILj25Efli18rocsparse_bfloat16S1_fEEvT2_20rocsparse_direction_NS_24const_host_device_scalarIT0_EES2_PKS2_PKT1_SB_S8_PKT3_PKT4_S6_PT5_21rocsparse_index_base_b
		.amdhsa_group_segment_fixed_size 2500
		.amdhsa_private_segment_fixed_size 0
		.amdhsa_kernarg_size 96
		.amdhsa_user_sgpr_count 15
		.amdhsa_user_sgpr_dispatch_ptr 0
		.amdhsa_user_sgpr_queue_ptr 0
		.amdhsa_user_sgpr_kernarg_segment_ptr 1
		.amdhsa_user_sgpr_dispatch_id 0
		.amdhsa_user_sgpr_private_segment_size 0
		.amdhsa_wavefront_size32 1
		.amdhsa_uses_dynamic_stack 0
		.amdhsa_enable_private_segment 0
		.amdhsa_system_sgpr_workgroup_id_x 1
		.amdhsa_system_sgpr_workgroup_id_y 0
		.amdhsa_system_sgpr_workgroup_id_z 0
		.amdhsa_system_sgpr_workgroup_info 0
		.amdhsa_system_vgpr_workitem_id 0
		.amdhsa_next_free_vgpr 12
		.amdhsa_next_free_sgpr 24
		.amdhsa_reserve_vcc 1
		.amdhsa_float_round_mode_32 0
		.amdhsa_float_round_mode_16_64 0
		.amdhsa_float_denorm_mode_32 3
		.amdhsa_float_denorm_mode_16_64 3
		.amdhsa_dx10_clamp 1
		.amdhsa_ieee_mode 1
		.amdhsa_fp16_overflow 0
		.amdhsa_workgroup_processor_mode 1
		.amdhsa_memory_ordered 1
		.amdhsa_forward_progress 0
		.amdhsa_shared_vgpr_count 0
		.amdhsa_exception_fp_ieee_invalid_op 0
		.amdhsa_exception_fp_denorm_src 0
		.amdhsa_exception_fp_ieee_div_zero 0
		.amdhsa_exception_fp_ieee_overflow 0
		.amdhsa_exception_fp_ieee_underflow 0
		.amdhsa_exception_fp_ieee_inexact 0
		.amdhsa_exception_int_div_zero 0
	.end_amdhsa_kernel
	.section	.text._ZN9rocsparseL20bsrxmvn_17_32_kernelILj25Efli18rocsparse_bfloat16S1_fEEvT2_20rocsparse_direction_NS_24const_host_device_scalarIT0_EES2_PKS2_PKT1_SB_S8_PKT3_PKT4_S6_PT5_21rocsparse_index_base_b,"axG",@progbits,_ZN9rocsparseL20bsrxmvn_17_32_kernelILj25Efli18rocsparse_bfloat16S1_fEEvT2_20rocsparse_direction_NS_24const_host_device_scalarIT0_EES2_PKS2_PKT1_SB_S8_PKT3_PKT4_S6_PT5_21rocsparse_index_base_b,comdat
.Lfunc_end360:
	.size	_ZN9rocsparseL20bsrxmvn_17_32_kernelILj25Efli18rocsparse_bfloat16S1_fEEvT2_20rocsparse_direction_NS_24const_host_device_scalarIT0_EES2_PKS2_PKT1_SB_S8_PKT3_PKT4_S6_PT5_21rocsparse_index_base_b, .Lfunc_end360-_ZN9rocsparseL20bsrxmvn_17_32_kernelILj25Efli18rocsparse_bfloat16S1_fEEvT2_20rocsparse_direction_NS_24const_host_device_scalarIT0_EES2_PKS2_PKT1_SB_S8_PKT3_PKT4_S6_PT5_21rocsparse_index_base_b
                                        ; -- End function
	.section	.AMDGPU.csdata,"",@progbits
; Kernel info:
; codeLenInByte = 1628
; NumSgprs: 26
; NumVgprs: 12
; ScratchSize: 0
; MemoryBound: 0
; FloatMode: 240
; IeeeMode: 1
; LDSByteSize: 2500 bytes/workgroup (compile time only)
; SGPRBlocks: 3
; VGPRBlocks: 1
; NumSGPRsForWavesPerEU: 26
; NumVGPRsForWavesPerEU: 12
; Occupancy: 15
; WaveLimiterHint : 1
; COMPUTE_PGM_RSRC2:SCRATCH_EN: 0
; COMPUTE_PGM_RSRC2:USER_SGPR: 15
; COMPUTE_PGM_RSRC2:TRAP_HANDLER: 0
; COMPUTE_PGM_RSRC2:TGID_X_EN: 1
; COMPUTE_PGM_RSRC2:TGID_Y_EN: 0
; COMPUTE_PGM_RSRC2:TGID_Z_EN: 0
; COMPUTE_PGM_RSRC2:TIDIG_COMP_CNT: 0
	.section	.text._ZN9rocsparseL20bsrxmvn_17_32_kernelILj26Efli18rocsparse_bfloat16S1_fEEvT2_20rocsparse_direction_NS_24const_host_device_scalarIT0_EES2_PKS2_PKT1_SB_S8_PKT3_PKT4_S6_PT5_21rocsparse_index_base_b,"axG",@progbits,_ZN9rocsparseL20bsrxmvn_17_32_kernelILj26Efli18rocsparse_bfloat16S1_fEEvT2_20rocsparse_direction_NS_24const_host_device_scalarIT0_EES2_PKS2_PKT1_SB_S8_PKT3_PKT4_S6_PT5_21rocsparse_index_base_b,comdat
	.globl	_ZN9rocsparseL20bsrxmvn_17_32_kernelILj26Efli18rocsparse_bfloat16S1_fEEvT2_20rocsparse_direction_NS_24const_host_device_scalarIT0_EES2_PKS2_PKT1_SB_S8_PKT3_PKT4_S6_PT5_21rocsparse_index_base_b ; -- Begin function _ZN9rocsparseL20bsrxmvn_17_32_kernelILj26Efli18rocsparse_bfloat16S1_fEEvT2_20rocsparse_direction_NS_24const_host_device_scalarIT0_EES2_PKS2_PKT1_SB_S8_PKT3_PKT4_S6_PT5_21rocsparse_index_base_b
	.p2align	8
	.type	_ZN9rocsparseL20bsrxmvn_17_32_kernelILj26Efli18rocsparse_bfloat16S1_fEEvT2_20rocsparse_direction_NS_24const_host_device_scalarIT0_EES2_PKS2_PKT1_SB_S8_PKT3_PKT4_S6_PT5_21rocsparse_index_base_b,@function
_ZN9rocsparseL20bsrxmvn_17_32_kernelILj26Efli18rocsparse_bfloat16S1_fEEvT2_20rocsparse_direction_NS_24const_host_device_scalarIT0_EES2_PKS2_PKT1_SB_S8_PKT3_PKT4_S6_PT5_21rocsparse_index_base_b: ; @_ZN9rocsparseL20bsrxmvn_17_32_kernelILj26Efli18rocsparse_bfloat16S1_fEEvT2_20rocsparse_direction_NS_24const_host_device_scalarIT0_EES2_PKS2_PKT1_SB_S8_PKT3_PKT4_S6_PT5_21rocsparse_index_base_b
; %bb.0:
	s_mov_b32 s10, s15
	s_clause 0x2
	s_load_b64 s[14:15], s[0:1], 0x58
	s_load_b64 s[12:13], s[0:1], 0x8
	;; [unrolled: 1-line block ×3, first 2 shown]
	s_waitcnt lgkmcnt(0)
	s_bitcmp1_b32 s15, 0
	s_cselect_b32 s2, -1, 0
	s_delay_alu instid0(SALU_CYCLE_1)
	s_and_b32 vcc_lo, exec_lo, s2
	s_xor_b32 s2, s2, -1
	s_cbranch_vccnz .LBB361_2
; %bb.1:
	s_load_b32 s12, s[12:13], 0x0
.LBB361_2:
	s_and_not1_b32 vcc_lo, exec_lo, s2
	s_cbranch_vccnz .LBB361_4
; %bb.3:
	s_load_b32 s8, s[8:9], 0x0
.LBB361_4:
	s_waitcnt lgkmcnt(0)
	v_cmp_neq_f32_e64 s2, s12, 0
	v_cmp_neq_f32_e64 s3, s8, 1.0
	s_delay_alu instid0(VALU_DEP_1) | instskip(NEXT) | instid1(SALU_CYCLE_1)
	s_or_b32 s2, s2, s3
	s_and_not1_b32 vcc_lo, exec_lo, s2
	s_cbranch_vccnz .LBB361_42
; %bb.5:
	s_clause 0x1
	s_load_b128 s[4:7], s[0:1], 0x18
	s_load_b64 s[16:17], s[0:1], 0x28
	s_waitcnt lgkmcnt(0)
	s_cmp_eq_u64 s[4:5], 0
	s_cbranch_scc1 .LBB361_7
; %bb.6:
	s_ashr_i32 s11, s10, 31
	s_delay_alu instid0(SALU_CYCLE_1) | instskip(NEXT) | instid1(SALU_CYCLE_1)
	s_lshl_b64 s[2:3], s[10:11], 2
	s_add_u32 s2, s4, s2
	s_addc_u32 s3, s5, s3
	s_load_b32 s2, s[2:3], 0x0
	s_waitcnt lgkmcnt(0)
	s_sub_i32 s10, s2, s14
.LBB361_7:
	s_load_b32 s3, s[0:1], 0x4
	v_mul_u32_u24_e32 v1, 0x9d9, v0
	v_mov_b32_e32 v6, 0
	s_delay_alu instid0(VALU_DEP_2) | instskip(NEXT) | instid1(VALU_DEP_1)
	v_lshrrev_b32_e32 v1, 16, v1
	v_mul_lo_u16 v2, v1, 26
	s_delay_alu instid0(VALU_DEP_1)
	v_sub_nc_u16 v7, v0, v2
	s_waitcnt lgkmcnt(0)
	s_cmp_eq_u32 s3, 1
	s_cselect_b32 s2, -1, 0
	s_cmp_lg_u32 s3, 1
	s_cselect_b32 s3, -1, 0
	s_ashr_i32 s11, s10, 31
	s_delay_alu instid0(SALU_CYCLE_1) | instskip(NEXT) | instid1(SALU_CYCLE_1)
	s_lshl_b64 s[4:5], s[10:11], 3
	s_add_u32 s6, s6, s4
	s_addc_u32 s7, s7, s5
	s_add_u32 s9, s6, 8
	s_addc_u32 s11, s7, 0
	;; [unrolled: 2-line block ×3, first 2 shown]
	s_cmp_eq_u64 s[16:17], 0
	s_cselect_b32 s5, s11, s5
	s_cselect_b32 s4, s9, s4
	s_load_b64 s[18:19], s[6:7], 0x0
	s_load_b64 s[6:7], s[4:5], 0x0
	;; [unrolled: 1-line block ×3, first 2 shown]
	s_waitcnt lgkmcnt(0)
	v_cmp_ge_i64_e64 s9, s[18:19], s[6:7]
	s_delay_alu instid0(VALU_DEP_1)
	s_and_b32 vcc_lo, exec_lo, s9
	s_cbranch_vccnz .LBB361_12
; %bb.8:
	v_and_b32_e32 v1, 0xffff, v1
	v_cmp_lt_u32_e32 vcc_lo, 0x2a3, v0
	s_clause 0x1
	s_load_b128 s[20:23], s[0:1], 0x30
	s_load_b64 s[0:1], s[0:1], 0x40
	s_sub_u32 s6, s6, s14
	s_subb_u32 s7, s7, 0
	v_subrev_nc_u32_e32 v3, 26, v1
	v_cndmask_b32_e64 v8, 0, 1, vcc_lo
	v_cmp_gt_u32_e32 vcc_lo, 0x2a4, v0
	v_and_b32_e32 v2, 0xffff, v7
	s_sub_u32 s16, s18, s14
	s_subb_u32 s17, s19, 0
	s_mul_hi_u32 s9, s16, 0x548
	v_cndmask_b32_e32 v1, v3, v1, vcc_lo
	s_mul_i32 s11, s17, 0x548
	v_lshlrev_b32_e32 v6, 1, v0
	s_add_i32 s9, s9, s11
	s_delay_alu instid0(VALU_DEP_2) | instskip(SKIP_1) | instid1(VALU_DEP_1)
	v_cndmask_b32_e64 v1, v2, v1, s2
	v_add_co_u32 v2, s2, s18, v8
	v_add_co_ci_u32_e64 v3, null, s19, 0, s2
	s_mul_i32 s2, s16, 0x548
	s_delay_alu instid0(VALU_DEP_2) | instskip(NEXT) | instid1(VALU_DEP_2)
	v_sub_co_u32 v2, vcc_lo, v2, s14
	v_subrev_co_ci_u32_e32 v3, vcc_lo, 0, v3, vcc_lo
	s_waitcnt lgkmcnt(0)
	s_add_u32 s2, s22, s2
	s_addc_u32 s9, s23, s9
	s_delay_alu instid0(VALU_DEP_1) | instskip(SKIP_1) | instid1(VALU_DEP_1)
	v_lshlrev_b64 v[4:5], 2, v[2:3]
	v_add_co_u32 v2, s2, s2, v6
	v_add_co_ci_u32_e64 v3, null, s9, 0, s2
	v_mov_b32_e32 v6, 0
	s_delay_alu instid0(VALU_DEP_4)
	v_add_co_u32 v4, vcc_lo, s20, v4
	v_add_co_ci_u32_e32 v5, vcc_lo, s21, v5, vcc_lo
	s_set_inst_prefetch_distance 0x1
	s_branch .LBB361_10
	.p2align	6
.LBB361_9:                              ;   in Loop: Header=BB361_10 Depth=1
	s_or_b32 exec_lo, exec_lo, s2
	s_add_u32 s16, s16, 1
	s_addc_u32 s17, s17, 0
	v_add_co_u32 v4, vcc_lo, v4, 4
	v_cmp_lt_i64_e64 s2, s[16:17], s[6:7]
	v_add_co_ci_u32_e32 v5, vcc_lo, 0, v5, vcc_lo
	s_delay_alu instid0(VALU_DEP_2)
	s_and_b32 vcc_lo, exec_lo, s2
	s_cbranch_vccz .LBB361_12
.LBB361_10:                             ; =>This Inner Loop Header: Depth=1
	v_add_co_u32 v9, s2, v8, s16
	s_delay_alu instid0(VALU_DEP_1) | instskip(SKIP_1) | instid1(VALU_DEP_1)
	v_add_co_ci_u32_e64 v10, null, 0, s17, s2
	s_mov_b32 s2, exec_lo
	v_cmpx_gt_i64_e64 s[6:7], v[9:10]
	s_cbranch_execz .LBB361_9
; %bb.11:                               ;   in Loop: Header=BB361_10 Depth=1
	global_load_b32 v9, v[4:5], off
	s_waitcnt vmcnt(0)
	v_subrev_nc_u32_e32 v11, s14, v9
	s_delay_alu instid0(VALU_DEP_1) | instskip(NEXT) | instid1(VALU_DEP_1)
	v_mad_u64_u32 v[9:10], null, v11, 26, v[1:2]
	v_ashrrev_i32_e32 v10, 31, v9
	s_delay_alu instid0(VALU_DEP_1) | instskip(NEXT) | instid1(VALU_DEP_1)
	v_lshlrev_b64 v[9:10], 1, v[9:10]
	v_add_co_u32 v9, vcc_lo, s0, v9
	s_delay_alu instid0(VALU_DEP_2)
	v_add_co_ci_u32_e32 v10, vcc_lo, s1, v10, vcc_lo
	global_load_u16 v11, v[2:3], off
	global_load_u16 v9, v[9:10], off
	v_add_co_u32 v2, vcc_lo, 0x548, v2
	v_add_co_ci_u32_e32 v3, vcc_lo, 0, v3, vcc_lo
	s_waitcnt vmcnt(1)
	v_lshlrev_b32_e32 v10, 16, v11
	s_waitcnt vmcnt(0)
	v_lshlrev_b32_e32 v9, 16, v9
	s_delay_alu instid0(VALU_DEP_1)
	v_fmac_f32_e32 v6, v10, v9
	s_branch .LBB361_9
.LBB361_12:
	s_set_inst_prefetch_distance 0x2
	v_lshlrev_b32_e32 v1, 2, v0
	s_and_b32 vcc_lo, exec_lo, s3
	ds_store_b32 v1, v6
	s_waitcnt lgkmcnt(0)
	s_barrier
	buffer_gl0_inv
	s_cbranch_vccz .LBB361_24
; %bb.13:
	s_mov_b32 s0, exec_lo
	v_cmpx_gt_u16_e32 10, v7
	s_cbranch_execz .LBB361_15
; %bb.14:
	ds_load_2addr_b32 v[2:3], v1 offset1:16
	s_waitcnt lgkmcnt(0)
	v_add_f32_e32 v2, v3, v2
	ds_store_b32 v1, v2
.LBB361_15:
	s_or_b32 exec_lo, exec_lo, s0
	s_delay_alu instid0(SALU_CYCLE_1)
	s_mov_b32 s0, exec_lo
	s_waitcnt lgkmcnt(0)
	s_barrier
	buffer_gl0_inv
	v_cmpx_gt_u16_e32 8, v7
	s_cbranch_execz .LBB361_17
; %bb.16:
	ds_load_2addr_b32 v[2:3], v1 offset1:8
	s_waitcnt lgkmcnt(0)
	v_add_f32_e32 v2, v3, v2
	ds_store_b32 v1, v2
.LBB361_17:
	s_or_b32 exec_lo, exec_lo, s0
	s_delay_alu instid0(SALU_CYCLE_1)
	s_mov_b32 s0, exec_lo
	s_waitcnt lgkmcnt(0)
	s_barrier
	buffer_gl0_inv
	;; [unrolled: 14-line block ×3, first 2 shown]
	v_cmpx_gt_u16_e32 2, v7
	s_cbranch_execz .LBB361_21
; %bb.20:
	ds_load_2addr_b32 v[2:3], v1 offset1:2
	s_waitcnt lgkmcnt(0)
	v_add_f32_e32 v2, v3, v2
	ds_store_b32 v1, v2
.LBB361_21:
	s_or_b32 exec_lo, exec_lo, s0
	s_mov_b32 s1, 0
	s_mov_b32 s0, 0
	s_mov_b32 s2, exec_lo
	s_waitcnt lgkmcnt(0)
	s_barrier
	buffer_gl0_inv
                                        ; implicit-def: $vgpr2
                                        ; implicit-def: $vgpr3
	v_cmpx_gt_u32_e32 26, v0
	s_xor_b32 s2, exec_lo, s2
; %bb.22:
	v_mul_u32_u24_e32 v2, 26, v0
	v_mad_u32_u24 v3, 0x64, v0, v1
	s_mov_b32 s0, exec_lo
	s_delay_alu instid0(VALU_DEP_2)
	v_or_b32_e32 v2, 1, v2
; %bb.23:
	s_or_b32 exec_lo, exec_lo, s2
	s_delay_alu instid0(SALU_CYCLE_1)
	s_and_b32 vcc_lo, exec_lo, s1
	s_cbranch_vccnz .LBB361_25
	s_branch .LBB361_36
.LBB361_24:
	s_mov_b32 s0, 0
                                        ; implicit-def: $vgpr2
                                        ; implicit-def: $vgpr3
	s_cbranch_execz .LBB361_36
.LBB361_25:
	s_mov_b32 s1, exec_lo
	v_cmpx_gt_u32_e32 0x104, v0
	s_cbranch_execz .LBB361_27
; %bb.26:
	ds_load_b32 v2, v1 offset:1664
	ds_load_b32 v3, v1
	s_waitcnt lgkmcnt(0)
	v_add_f32_e32 v2, v2, v3
	ds_store_b32 v1, v2
.LBB361_27:
	s_or_b32 exec_lo, exec_lo, s1
	s_delay_alu instid0(SALU_CYCLE_1)
	s_mov_b32 s1, exec_lo
	s_waitcnt lgkmcnt(0)
	s_barrier
	buffer_gl0_inv
	v_cmpx_gt_u32_e32 0xd0, v0
	s_cbranch_execz .LBB361_29
; %bb.28:
	ds_load_2addr_b32 v[2:3], v1 offset1:208
	s_waitcnt lgkmcnt(0)
	v_add_f32_e32 v2, v3, v2
	ds_store_b32 v1, v2
.LBB361_29:
	s_or_b32 exec_lo, exec_lo, s1
	s_delay_alu instid0(SALU_CYCLE_1)
	s_mov_b32 s1, exec_lo
	s_waitcnt lgkmcnt(0)
	s_barrier
	buffer_gl0_inv
	v_cmpx_gt_u32_e32 0x68, v0
	s_cbranch_execz .LBB361_31
; %bb.30:
	ds_load_2addr_b32 v[2:3], v1 offset1:104
	s_waitcnt lgkmcnt(0)
	v_add_f32_e32 v2, v3, v2
	ds_store_b32 v1, v2
.LBB361_31:
	;; [unrolled: 14-line block ×3, first 2 shown]
	s_or_b32 exec_lo, exec_lo, s1
	s_delay_alu instid0(SALU_CYCLE_1)
	s_mov_b32 s1, exec_lo
	s_waitcnt lgkmcnt(0)
	buffer_gl0_inv
                                        ; implicit-def: $vgpr2
	v_cmpx_gt_u32_e32 26, v0
; %bb.34:
	v_add_nc_u32_e32 v2, 26, v0
	s_or_b32 s0, s0, exec_lo
                                        ; implicit-def: $vgpr6
; %bb.35:
	s_or_b32 exec_lo, exec_lo, s1
	v_mov_b32_e32 v3, v1
.LBB361_36:
	s_and_saveexec_b32 s1, s0
	s_cbranch_execz .LBB361_38
; %bb.37:
	v_lshlrev_b32_e32 v1, 2, v2
	ds_load_b32 v2, v3
	ds_load_b32 v1, v1
	s_waitcnt lgkmcnt(0)
	v_add_f32_e32 v6, v2, v1
.LBB361_38:
	s_or_b32 exec_lo, exec_lo, s1
	s_delay_alu instid0(SALU_CYCLE_1)
	s_mov_b32 s0, exec_lo
	v_cmpx_gt_u32_e32 26, v0
	s_cbranch_execz .LBB361_42
; %bb.39:
	v_cmp_eq_f32_e64 s0, s8, 0
	v_mul_f32_e32 v1, s12, v6
	s_delay_alu instid0(VALU_DEP_2)
	s_and_b32 vcc_lo, exec_lo, s0
	s_mov_b32 s0, 0
	s_cbranch_vccz .LBB361_43
; %bb.40:
	s_delay_alu instid0(VALU_DEP_1) | instskip(SKIP_1) | instid1(VALU_DEP_1)
	v_mad_u64_u32 v[2:3], null, s10, 26, v[0:1]
	v_mov_b32_e32 v3, 0
	v_lshlrev_b64 v[2:3], 2, v[2:3]
	s_delay_alu instid0(VALU_DEP_1) | instskip(NEXT) | instid1(VALU_DEP_2)
	v_add_co_u32 v2, vcc_lo, s4, v2
	v_add_co_ci_u32_e32 v3, vcc_lo, s5, v3, vcc_lo
	global_store_b32 v[2:3], v1, off
	s_and_not1_b32 vcc_lo, exec_lo, s0
	s_cbranch_vccnz .LBB361_42
.LBB361_41:
	v_mad_u64_u32 v[2:3], null, s10, 26, v[0:1]
	v_mov_b32_e32 v3, 0
	s_delay_alu instid0(VALU_DEP_1) | instskip(NEXT) | instid1(VALU_DEP_1)
	v_lshlrev_b64 v[2:3], 2, v[2:3]
	v_add_co_u32 v2, vcc_lo, s4, v2
	s_delay_alu instid0(VALU_DEP_2)
	v_add_co_ci_u32_e32 v3, vcc_lo, s5, v3, vcc_lo
	global_load_b32 v0, v[2:3], off
	s_waitcnt vmcnt(0)
	v_fmac_f32_e32 v1, s8, v0
	global_store_b32 v[2:3], v1, off
.LBB361_42:
	s_nop 0
	s_sendmsg sendmsg(MSG_DEALLOC_VGPRS)
	s_endpgm
.LBB361_43:
	s_branch .LBB361_41
	.section	.rodata,"a",@progbits
	.p2align	6, 0x0
	.amdhsa_kernel _ZN9rocsparseL20bsrxmvn_17_32_kernelILj26Efli18rocsparse_bfloat16S1_fEEvT2_20rocsparse_direction_NS_24const_host_device_scalarIT0_EES2_PKS2_PKT1_SB_S8_PKT3_PKT4_S6_PT5_21rocsparse_index_base_b
		.amdhsa_group_segment_fixed_size 2704
		.amdhsa_private_segment_fixed_size 0
		.amdhsa_kernarg_size 96
		.amdhsa_user_sgpr_count 15
		.amdhsa_user_sgpr_dispatch_ptr 0
		.amdhsa_user_sgpr_queue_ptr 0
		.amdhsa_user_sgpr_kernarg_segment_ptr 1
		.amdhsa_user_sgpr_dispatch_id 0
		.amdhsa_user_sgpr_private_segment_size 0
		.amdhsa_wavefront_size32 1
		.amdhsa_uses_dynamic_stack 0
		.amdhsa_enable_private_segment 0
		.amdhsa_system_sgpr_workgroup_id_x 1
		.amdhsa_system_sgpr_workgroup_id_y 0
		.amdhsa_system_sgpr_workgroup_id_z 0
		.amdhsa_system_sgpr_workgroup_info 0
		.amdhsa_system_vgpr_workitem_id 0
		.amdhsa_next_free_vgpr 12
		.amdhsa_next_free_sgpr 24
		.amdhsa_reserve_vcc 1
		.amdhsa_float_round_mode_32 0
		.amdhsa_float_round_mode_16_64 0
		.amdhsa_float_denorm_mode_32 3
		.amdhsa_float_denorm_mode_16_64 3
		.amdhsa_dx10_clamp 1
		.amdhsa_ieee_mode 1
		.amdhsa_fp16_overflow 0
		.amdhsa_workgroup_processor_mode 1
		.amdhsa_memory_ordered 1
		.amdhsa_forward_progress 0
		.amdhsa_shared_vgpr_count 0
		.amdhsa_exception_fp_ieee_invalid_op 0
		.amdhsa_exception_fp_denorm_src 0
		.amdhsa_exception_fp_ieee_div_zero 0
		.amdhsa_exception_fp_ieee_overflow 0
		.amdhsa_exception_fp_ieee_underflow 0
		.amdhsa_exception_fp_ieee_inexact 0
		.amdhsa_exception_int_div_zero 0
	.end_amdhsa_kernel
	.section	.text._ZN9rocsparseL20bsrxmvn_17_32_kernelILj26Efli18rocsparse_bfloat16S1_fEEvT2_20rocsparse_direction_NS_24const_host_device_scalarIT0_EES2_PKS2_PKT1_SB_S8_PKT3_PKT4_S6_PT5_21rocsparse_index_base_b,"axG",@progbits,_ZN9rocsparseL20bsrxmvn_17_32_kernelILj26Efli18rocsparse_bfloat16S1_fEEvT2_20rocsparse_direction_NS_24const_host_device_scalarIT0_EES2_PKS2_PKT1_SB_S8_PKT3_PKT4_S6_PT5_21rocsparse_index_base_b,comdat
.Lfunc_end361:
	.size	_ZN9rocsparseL20bsrxmvn_17_32_kernelILj26Efli18rocsparse_bfloat16S1_fEEvT2_20rocsparse_direction_NS_24const_host_device_scalarIT0_EES2_PKS2_PKT1_SB_S8_PKT3_PKT4_S6_PT5_21rocsparse_index_base_b, .Lfunc_end361-_ZN9rocsparseL20bsrxmvn_17_32_kernelILj26Efli18rocsparse_bfloat16S1_fEEvT2_20rocsparse_direction_NS_24const_host_device_scalarIT0_EES2_PKS2_PKT1_SB_S8_PKT3_PKT4_S6_PT5_21rocsparse_index_base_b
                                        ; -- End function
	.section	.AMDGPU.csdata,"",@progbits
; Kernel info:
; codeLenInByte = 1632
; NumSgprs: 26
; NumVgprs: 12
; ScratchSize: 0
; MemoryBound: 0
; FloatMode: 240
; IeeeMode: 1
; LDSByteSize: 2704 bytes/workgroup (compile time only)
; SGPRBlocks: 3
; VGPRBlocks: 1
; NumSGPRsForWavesPerEU: 26
; NumVGPRsForWavesPerEU: 12
; Occupancy: 11
; WaveLimiterHint : 1
; COMPUTE_PGM_RSRC2:SCRATCH_EN: 0
; COMPUTE_PGM_RSRC2:USER_SGPR: 15
; COMPUTE_PGM_RSRC2:TRAP_HANDLER: 0
; COMPUTE_PGM_RSRC2:TGID_X_EN: 1
; COMPUTE_PGM_RSRC2:TGID_Y_EN: 0
; COMPUTE_PGM_RSRC2:TGID_Z_EN: 0
; COMPUTE_PGM_RSRC2:TIDIG_COMP_CNT: 0
	.section	.text._ZN9rocsparseL20bsrxmvn_17_32_kernelILj27Efli18rocsparse_bfloat16S1_fEEvT2_20rocsparse_direction_NS_24const_host_device_scalarIT0_EES2_PKS2_PKT1_SB_S8_PKT3_PKT4_S6_PT5_21rocsparse_index_base_b,"axG",@progbits,_ZN9rocsparseL20bsrxmvn_17_32_kernelILj27Efli18rocsparse_bfloat16S1_fEEvT2_20rocsparse_direction_NS_24const_host_device_scalarIT0_EES2_PKS2_PKT1_SB_S8_PKT3_PKT4_S6_PT5_21rocsparse_index_base_b,comdat
	.globl	_ZN9rocsparseL20bsrxmvn_17_32_kernelILj27Efli18rocsparse_bfloat16S1_fEEvT2_20rocsparse_direction_NS_24const_host_device_scalarIT0_EES2_PKS2_PKT1_SB_S8_PKT3_PKT4_S6_PT5_21rocsparse_index_base_b ; -- Begin function _ZN9rocsparseL20bsrxmvn_17_32_kernelILj27Efli18rocsparse_bfloat16S1_fEEvT2_20rocsparse_direction_NS_24const_host_device_scalarIT0_EES2_PKS2_PKT1_SB_S8_PKT3_PKT4_S6_PT5_21rocsparse_index_base_b
	.p2align	8
	.type	_ZN9rocsparseL20bsrxmvn_17_32_kernelILj27Efli18rocsparse_bfloat16S1_fEEvT2_20rocsparse_direction_NS_24const_host_device_scalarIT0_EES2_PKS2_PKT1_SB_S8_PKT3_PKT4_S6_PT5_21rocsparse_index_base_b,@function
_ZN9rocsparseL20bsrxmvn_17_32_kernelILj27Efli18rocsparse_bfloat16S1_fEEvT2_20rocsparse_direction_NS_24const_host_device_scalarIT0_EES2_PKS2_PKT1_SB_S8_PKT3_PKT4_S6_PT5_21rocsparse_index_base_b: ; @_ZN9rocsparseL20bsrxmvn_17_32_kernelILj27Efli18rocsparse_bfloat16S1_fEEvT2_20rocsparse_direction_NS_24const_host_device_scalarIT0_EES2_PKS2_PKT1_SB_S8_PKT3_PKT4_S6_PT5_21rocsparse_index_base_b
; %bb.0:
	s_mov_b32 s10, s15
	s_clause 0x2
	s_load_b64 s[14:15], s[0:1], 0x58
	s_load_b64 s[12:13], s[0:1], 0x8
	;; [unrolled: 1-line block ×3, first 2 shown]
	s_waitcnt lgkmcnt(0)
	s_bitcmp1_b32 s15, 0
	s_cselect_b32 s2, -1, 0
	s_delay_alu instid0(SALU_CYCLE_1)
	s_and_b32 vcc_lo, exec_lo, s2
	s_xor_b32 s2, s2, -1
	s_cbranch_vccnz .LBB362_2
; %bb.1:
	s_load_b32 s12, s[12:13], 0x0
.LBB362_2:
	s_and_not1_b32 vcc_lo, exec_lo, s2
	s_cbranch_vccnz .LBB362_4
; %bb.3:
	s_load_b32 s8, s[8:9], 0x0
.LBB362_4:
	s_waitcnt lgkmcnt(0)
	v_cmp_neq_f32_e64 s2, s12, 0
	v_cmp_neq_f32_e64 s3, s8, 1.0
	s_delay_alu instid0(VALU_DEP_1) | instskip(NEXT) | instid1(SALU_CYCLE_1)
	s_or_b32 s2, s2, s3
	s_and_not1_b32 vcc_lo, exec_lo, s2
	s_cbranch_vccnz .LBB362_42
; %bb.5:
	s_clause 0x1
	s_load_b128 s[4:7], s[0:1], 0x18
	s_load_b64 s[16:17], s[0:1], 0x28
	s_waitcnt lgkmcnt(0)
	s_cmp_eq_u64 s[4:5], 0
	s_cbranch_scc1 .LBB362_7
; %bb.6:
	s_ashr_i32 s11, s10, 31
	s_delay_alu instid0(SALU_CYCLE_1) | instskip(NEXT) | instid1(SALU_CYCLE_1)
	s_lshl_b64 s[2:3], s[10:11], 2
	s_add_u32 s2, s4, s2
	s_addc_u32 s3, s5, s3
	s_load_b32 s2, s[2:3], 0x0
	s_waitcnt lgkmcnt(0)
	s_sub_i32 s10, s2, s14
.LBB362_7:
	s_load_b32 s3, s[0:1], 0x4
	v_mul_u32_u24_e32 v1, 0x97c, v0
	v_mov_b32_e32 v6, 0
	s_delay_alu instid0(VALU_DEP_2) | instskip(NEXT) | instid1(VALU_DEP_1)
	v_lshrrev_b32_e32 v1, 16, v1
	v_mul_lo_u16 v2, v1, 27
	s_delay_alu instid0(VALU_DEP_1)
	v_sub_nc_u16 v7, v0, v2
	s_waitcnt lgkmcnt(0)
	s_cmp_eq_u32 s3, 1
	s_cselect_b32 s2, -1, 0
	s_cmp_lg_u32 s3, 1
	s_cselect_b32 s3, -1, 0
	s_ashr_i32 s11, s10, 31
	s_delay_alu instid0(SALU_CYCLE_1) | instskip(NEXT) | instid1(SALU_CYCLE_1)
	s_lshl_b64 s[4:5], s[10:11], 3
	s_add_u32 s6, s6, s4
	s_addc_u32 s7, s7, s5
	s_add_u32 s9, s6, 8
	s_addc_u32 s11, s7, 0
	;; [unrolled: 2-line block ×3, first 2 shown]
	s_cmp_eq_u64 s[16:17], 0
	s_cselect_b32 s5, s11, s5
	s_cselect_b32 s4, s9, s4
	s_load_b64 s[18:19], s[6:7], 0x0
	s_load_b64 s[6:7], s[4:5], 0x0
	;; [unrolled: 1-line block ×3, first 2 shown]
	s_waitcnt lgkmcnt(0)
	v_cmp_ge_i64_e64 s9, s[18:19], s[6:7]
	s_delay_alu instid0(VALU_DEP_1)
	s_and_b32 vcc_lo, exec_lo, s9
	s_cbranch_vccnz .LBB362_12
; %bb.8:
	v_and_b32_e32 v1, 0xffff, v1
	v_cmp_lt_u32_e32 vcc_lo, 0x2d8, v0
	s_clause 0x1
	s_load_b128 s[20:23], s[0:1], 0x30
	s_load_b64 s[0:1], s[0:1], 0x40
	s_sub_u32 s6, s6, s14
	s_subb_u32 s7, s7, 0
	v_subrev_nc_u32_e32 v3, 27, v1
	v_cndmask_b32_e64 v8, 0, 1, vcc_lo
	v_cmp_gt_u32_e32 vcc_lo, 0x2d9, v0
	v_and_b32_e32 v2, 0xffff, v7
	s_sub_u32 s16, s18, s14
	s_subb_u32 s17, s19, 0
	s_mul_hi_u32 s9, s16, 0x5b2
	v_cndmask_b32_e32 v1, v3, v1, vcc_lo
	s_mul_i32 s11, s17, 0x5b2
	v_lshlrev_b32_e32 v6, 1, v0
	s_add_i32 s9, s9, s11
	s_delay_alu instid0(VALU_DEP_2) | instskip(SKIP_1) | instid1(VALU_DEP_1)
	v_cndmask_b32_e64 v1, v2, v1, s2
	v_add_co_u32 v2, s2, s18, v8
	v_add_co_ci_u32_e64 v3, null, s19, 0, s2
	s_mul_i32 s2, s16, 0x5b2
	s_delay_alu instid0(VALU_DEP_2) | instskip(NEXT) | instid1(VALU_DEP_2)
	v_sub_co_u32 v2, vcc_lo, v2, s14
	v_subrev_co_ci_u32_e32 v3, vcc_lo, 0, v3, vcc_lo
	s_waitcnt lgkmcnt(0)
	s_add_u32 s2, s22, s2
	s_addc_u32 s9, s23, s9
	s_delay_alu instid0(VALU_DEP_1) | instskip(SKIP_1) | instid1(VALU_DEP_1)
	v_lshlrev_b64 v[4:5], 2, v[2:3]
	v_add_co_u32 v2, s2, s2, v6
	v_add_co_ci_u32_e64 v3, null, s9, 0, s2
	v_mov_b32_e32 v6, 0
	s_delay_alu instid0(VALU_DEP_4)
	v_add_co_u32 v4, vcc_lo, s20, v4
	v_add_co_ci_u32_e32 v5, vcc_lo, s21, v5, vcc_lo
	s_set_inst_prefetch_distance 0x1
	s_branch .LBB362_10
	.p2align	6
.LBB362_9:                              ;   in Loop: Header=BB362_10 Depth=1
	s_or_b32 exec_lo, exec_lo, s2
	s_add_u32 s16, s16, 1
	s_addc_u32 s17, s17, 0
	v_add_co_u32 v4, vcc_lo, v4, 4
	v_cmp_lt_i64_e64 s2, s[16:17], s[6:7]
	v_add_co_ci_u32_e32 v5, vcc_lo, 0, v5, vcc_lo
	s_delay_alu instid0(VALU_DEP_2)
	s_and_b32 vcc_lo, exec_lo, s2
	s_cbranch_vccz .LBB362_12
.LBB362_10:                             ; =>This Inner Loop Header: Depth=1
	v_add_co_u32 v9, s2, v8, s16
	s_delay_alu instid0(VALU_DEP_1) | instskip(SKIP_1) | instid1(VALU_DEP_1)
	v_add_co_ci_u32_e64 v10, null, 0, s17, s2
	s_mov_b32 s2, exec_lo
	v_cmpx_gt_i64_e64 s[6:7], v[9:10]
	s_cbranch_execz .LBB362_9
; %bb.11:                               ;   in Loop: Header=BB362_10 Depth=1
	global_load_b32 v9, v[4:5], off
	s_waitcnt vmcnt(0)
	v_subrev_nc_u32_e32 v11, s14, v9
	s_delay_alu instid0(VALU_DEP_1) | instskip(NEXT) | instid1(VALU_DEP_1)
	v_mad_u64_u32 v[9:10], null, v11, 27, v[1:2]
	v_ashrrev_i32_e32 v10, 31, v9
	s_delay_alu instid0(VALU_DEP_1) | instskip(NEXT) | instid1(VALU_DEP_1)
	v_lshlrev_b64 v[9:10], 1, v[9:10]
	v_add_co_u32 v9, vcc_lo, s0, v9
	s_delay_alu instid0(VALU_DEP_2)
	v_add_co_ci_u32_e32 v10, vcc_lo, s1, v10, vcc_lo
	global_load_u16 v11, v[2:3], off
	global_load_u16 v9, v[9:10], off
	v_add_co_u32 v2, vcc_lo, 0x5b2, v2
	v_add_co_ci_u32_e32 v3, vcc_lo, 0, v3, vcc_lo
	s_waitcnt vmcnt(1)
	v_lshlrev_b32_e32 v10, 16, v11
	s_waitcnt vmcnt(0)
	v_lshlrev_b32_e32 v9, 16, v9
	s_delay_alu instid0(VALU_DEP_1)
	v_fmac_f32_e32 v6, v10, v9
	s_branch .LBB362_9
.LBB362_12:
	s_set_inst_prefetch_distance 0x2
	v_lshlrev_b32_e32 v1, 2, v0
	s_and_b32 vcc_lo, exec_lo, s3
	ds_store_b32 v1, v6
	s_waitcnt lgkmcnt(0)
	s_barrier
	buffer_gl0_inv
	s_cbranch_vccz .LBB362_24
; %bb.13:
	s_mov_b32 s0, exec_lo
	v_cmpx_gt_u16_e32 11, v7
	s_cbranch_execz .LBB362_15
; %bb.14:
	ds_load_2addr_b32 v[2:3], v1 offset1:16
	s_waitcnt lgkmcnt(0)
	v_add_f32_e32 v2, v3, v2
	ds_store_b32 v1, v2
.LBB362_15:
	s_or_b32 exec_lo, exec_lo, s0
	s_delay_alu instid0(SALU_CYCLE_1)
	s_mov_b32 s0, exec_lo
	s_waitcnt lgkmcnt(0)
	s_barrier
	buffer_gl0_inv
	v_cmpx_gt_u16_e32 8, v7
	s_cbranch_execz .LBB362_17
; %bb.16:
	ds_load_2addr_b32 v[2:3], v1 offset1:8
	s_waitcnt lgkmcnt(0)
	v_add_f32_e32 v2, v3, v2
	ds_store_b32 v1, v2
.LBB362_17:
	s_or_b32 exec_lo, exec_lo, s0
	s_delay_alu instid0(SALU_CYCLE_1)
	s_mov_b32 s0, exec_lo
	s_waitcnt lgkmcnt(0)
	s_barrier
	buffer_gl0_inv
	;; [unrolled: 14-line block ×3, first 2 shown]
	v_cmpx_gt_u16_e32 2, v7
	s_cbranch_execz .LBB362_21
; %bb.20:
	ds_load_2addr_b32 v[2:3], v1 offset1:2
	s_waitcnt lgkmcnt(0)
	v_add_f32_e32 v2, v3, v2
	ds_store_b32 v1, v2
.LBB362_21:
	s_or_b32 exec_lo, exec_lo, s0
	s_mov_b32 s1, 0
	s_mov_b32 s0, 0
	s_mov_b32 s2, exec_lo
	s_waitcnt lgkmcnt(0)
	s_barrier
	buffer_gl0_inv
                                        ; implicit-def: $vgpr2
                                        ; implicit-def: $vgpr3
	v_cmpx_gt_u32_e32 27, v0
	s_xor_b32 s2, exec_lo, s2
; %bb.22:
	v_mad_u32_u24 v2, v0, 27, 1
	v_mad_u32_u24 v3, 0x68, v0, v1
	s_mov_b32 s0, exec_lo
; %bb.23:
	s_or_b32 exec_lo, exec_lo, s2
	s_delay_alu instid0(SALU_CYCLE_1)
	s_and_b32 vcc_lo, exec_lo, s1
	s_cbranch_vccnz .LBB362_25
	s_branch .LBB362_36
.LBB362_24:
	s_mov_b32 s0, 0
                                        ; implicit-def: $vgpr2
                                        ; implicit-def: $vgpr3
	s_cbranch_execz .LBB362_36
.LBB362_25:
	s_mov_b32 s1, exec_lo
	v_cmpx_gt_u32_e32 0x129, v0
	s_cbranch_execz .LBB362_27
; %bb.26:
	ds_load_b32 v2, v1 offset:1728
	ds_load_b32 v3, v1
	s_waitcnt lgkmcnt(0)
	v_add_f32_e32 v2, v2, v3
	ds_store_b32 v1, v2
.LBB362_27:
	s_or_b32 exec_lo, exec_lo, s1
	s_delay_alu instid0(SALU_CYCLE_1)
	s_mov_b32 s1, exec_lo
	s_waitcnt lgkmcnt(0)
	s_barrier
	buffer_gl0_inv
	v_cmpx_gt_u32_e32 0xd8, v0
	s_cbranch_execz .LBB362_29
; %bb.28:
	ds_load_2addr_b32 v[2:3], v1 offset1:216
	s_waitcnt lgkmcnt(0)
	v_add_f32_e32 v2, v3, v2
	ds_store_b32 v1, v2
.LBB362_29:
	s_or_b32 exec_lo, exec_lo, s1
	s_delay_alu instid0(SALU_CYCLE_1)
	s_mov_b32 s1, exec_lo
	s_waitcnt lgkmcnt(0)
	s_barrier
	buffer_gl0_inv
	v_cmpx_gt_u32_e32 0x6c, v0
	s_cbranch_execz .LBB362_31
; %bb.30:
	ds_load_2addr_b32 v[2:3], v1 offset1:108
	s_waitcnt lgkmcnt(0)
	v_add_f32_e32 v2, v3, v2
	ds_store_b32 v1, v2
.LBB362_31:
	;; [unrolled: 14-line block ×3, first 2 shown]
	s_or_b32 exec_lo, exec_lo, s1
	s_delay_alu instid0(SALU_CYCLE_1)
	s_mov_b32 s1, exec_lo
	s_waitcnt lgkmcnt(0)
	buffer_gl0_inv
                                        ; implicit-def: $vgpr2
	v_cmpx_gt_u32_e32 27, v0
; %bb.34:
	v_add_nc_u32_e32 v2, 27, v0
	s_or_b32 s0, s0, exec_lo
                                        ; implicit-def: $vgpr6
; %bb.35:
	s_or_b32 exec_lo, exec_lo, s1
	v_mov_b32_e32 v3, v1
.LBB362_36:
	s_and_saveexec_b32 s1, s0
	s_cbranch_execz .LBB362_38
; %bb.37:
	v_lshlrev_b32_e32 v1, 2, v2
	ds_load_b32 v2, v3
	ds_load_b32 v1, v1
	s_waitcnt lgkmcnt(0)
	v_add_f32_e32 v6, v2, v1
.LBB362_38:
	s_or_b32 exec_lo, exec_lo, s1
	s_delay_alu instid0(SALU_CYCLE_1)
	s_mov_b32 s0, exec_lo
	v_cmpx_gt_u32_e32 27, v0
	s_cbranch_execz .LBB362_42
; %bb.39:
	v_cmp_eq_f32_e64 s0, s8, 0
	v_mul_f32_e32 v1, s12, v6
	s_delay_alu instid0(VALU_DEP_2)
	s_and_b32 vcc_lo, exec_lo, s0
	s_mov_b32 s0, 0
	s_cbranch_vccz .LBB362_43
; %bb.40:
	s_delay_alu instid0(VALU_DEP_1) | instskip(SKIP_1) | instid1(VALU_DEP_1)
	v_mad_u64_u32 v[2:3], null, s10, 27, v[0:1]
	v_mov_b32_e32 v3, 0
	v_lshlrev_b64 v[2:3], 2, v[2:3]
	s_delay_alu instid0(VALU_DEP_1) | instskip(NEXT) | instid1(VALU_DEP_2)
	v_add_co_u32 v2, vcc_lo, s4, v2
	v_add_co_ci_u32_e32 v3, vcc_lo, s5, v3, vcc_lo
	global_store_b32 v[2:3], v1, off
	s_and_not1_b32 vcc_lo, exec_lo, s0
	s_cbranch_vccnz .LBB362_42
.LBB362_41:
	v_mad_u64_u32 v[2:3], null, s10, 27, v[0:1]
	v_mov_b32_e32 v3, 0
	s_delay_alu instid0(VALU_DEP_1) | instskip(NEXT) | instid1(VALU_DEP_1)
	v_lshlrev_b64 v[2:3], 2, v[2:3]
	v_add_co_u32 v2, vcc_lo, s4, v2
	s_delay_alu instid0(VALU_DEP_2)
	v_add_co_ci_u32_e32 v3, vcc_lo, s5, v3, vcc_lo
	global_load_b32 v0, v[2:3], off
	s_waitcnt vmcnt(0)
	v_fmac_f32_e32 v1, s8, v0
	global_store_b32 v[2:3], v1, off
.LBB362_42:
	s_nop 0
	s_sendmsg sendmsg(MSG_DEALLOC_VGPRS)
	s_endpgm
.LBB362_43:
	s_branch .LBB362_41
	.section	.rodata,"a",@progbits
	.p2align	6, 0x0
	.amdhsa_kernel _ZN9rocsparseL20bsrxmvn_17_32_kernelILj27Efli18rocsparse_bfloat16S1_fEEvT2_20rocsparse_direction_NS_24const_host_device_scalarIT0_EES2_PKS2_PKT1_SB_S8_PKT3_PKT4_S6_PT5_21rocsparse_index_base_b
		.amdhsa_group_segment_fixed_size 2916
		.amdhsa_private_segment_fixed_size 0
		.amdhsa_kernarg_size 96
		.amdhsa_user_sgpr_count 15
		.amdhsa_user_sgpr_dispatch_ptr 0
		.amdhsa_user_sgpr_queue_ptr 0
		.amdhsa_user_sgpr_kernarg_segment_ptr 1
		.amdhsa_user_sgpr_dispatch_id 0
		.amdhsa_user_sgpr_private_segment_size 0
		.amdhsa_wavefront_size32 1
		.amdhsa_uses_dynamic_stack 0
		.amdhsa_enable_private_segment 0
		.amdhsa_system_sgpr_workgroup_id_x 1
		.amdhsa_system_sgpr_workgroup_id_y 0
		.amdhsa_system_sgpr_workgroup_id_z 0
		.amdhsa_system_sgpr_workgroup_info 0
		.amdhsa_system_vgpr_workitem_id 0
		.amdhsa_next_free_vgpr 12
		.amdhsa_next_free_sgpr 24
		.amdhsa_reserve_vcc 1
		.amdhsa_float_round_mode_32 0
		.amdhsa_float_round_mode_16_64 0
		.amdhsa_float_denorm_mode_32 3
		.amdhsa_float_denorm_mode_16_64 3
		.amdhsa_dx10_clamp 1
		.amdhsa_ieee_mode 1
		.amdhsa_fp16_overflow 0
		.amdhsa_workgroup_processor_mode 1
		.amdhsa_memory_ordered 1
		.amdhsa_forward_progress 0
		.amdhsa_shared_vgpr_count 0
		.amdhsa_exception_fp_ieee_invalid_op 0
		.amdhsa_exception_fp_denorm_src 0
		.amdhsa_exception_fp_ieee_div_zero 0
		.amdhsa_exception_fp_ieee_overflow 0
		.amdhsa_exception_fp_ieee_underflow 0
		.amdhsa_exception_fp_ieee_inexact 0
		.amdhsa_exception_int_div_zero 0
	.end_amdhsa_kernel
	.section	.text._ZN9rocsparseL20bsrxmvn_17_32_kernelILj27Efli18rocsparse_bfloat16S1_fEEvT2_20rocsparse_direction_NS_24const_host_device_scalarIT0_EES2_PKS2_PKT1_SB_S8_PKT3_PKT4_S6_PT5_21rocsparse_index_base_b,"axG",@progbits,_ZN9rocsparseL20bsrxmvn_17_32_kernelILj27Efli18rocsparse_bfloat16S1_fEEvT2_20rocsparse_direction_NS_24const_host_device_scalarIT0_EES2_PKS2_PKT1_SB_S8_PKT3_PKT4_S6_PT5_21rocsparse_index_base_b,comdat
.Lfunc_end362:
	.size	_ZN9rocsparseL20bsrxmvn_17_32_kernelILj27Efli18rocsparse_bfloat16S1_fEEvT2_20rocsparse_direction_NS_24const_host_device_scalarIT0_EES2_PKS2_PKT1_SB_S8_PKT3_PKT4_S6_PT5_21rocsparse_index_base_b, .Lfunc_end362-_ZN9rocsparseL20bsrxmvn_17_32_kernelILj27Efli18rocsparse_bfloat16S1_fEEvT2_20rocsparse_direction_NS_24const_host_device_scalarIT0_EES2_PKS2_PKT1_SB_S8_PKT3_PKT4_S6_PT5_21rocsparse_index_base_b
                                        ; -- End function
	.section	.AMDGPU.csdata,"",@progbits
; Kernel info:
; codeLenInByte = 1628
; NumSgprs: 26
; NumVgprs: 12
; ScratchSize: 0
; MemoryBound: 0
; FloatMode: 240
; IeeeMode: 1
; LDSByteSize: 2916 bytes/workgroup (compile time only)
; SGPRBlocks: 3
; VGPRBlocks: 1
; NumSGPRsForWavesPerEU: 26
; NumVGPRsForWavesPerEU: 12
; Occupancy: 12
; WaveLimiterHint : 1
; COMPUTE_PGM_RSRC2:SCRATCH_EN: 0
; COMPUTE_PGM_RSRC2:USER_SGPR: 15
; COMPUTE_PGM_RSRC2:TRAP_HANDLER: 0
; COMPUTE_PGM_RSRC2:TGID_X_EN: 1
; COMPUTE_PGM_RSRC2:TGID_Y_EN: 0
; COMPUTE_PGM_RSRC2:TGID_Z_EN: 0
; COMPUTE_PGM_RSRC2:TIDIG_COMP_CNT: 0
	.section	.text._ZN9rocsparseL20bsrxmvn_17_32_kernelILj28Efli18rocsparse_bfloat16S1_fEEvT2_20rocsparse_direction_NS_24const_host_device_scalarIT0_EES2_PKS2_PKT1_SB_S8_PKT3_PKT4_S6_PT5_21rocsparse_index_base_b,"axG",@progbits,_ZN9rocsparseL20bsrxmvn_17_32_kernelILj28Efli18rocsparse_bfloat16S1_fEEvT2_20rocsparse_direction_NS_24const_host_device_scalarIT0_EES2_PKS2_PKT1_SB_S8_PKT3_PKT4_S6_PT5_21rocsparse_index_base_b,comdat
	.globl	_ZN9rocsparseL20bsrxmvn_17_32_kernelILj28Efli18rocsparse_bfloat16S1_fEEvT2_20rocsparse_direction_NS_24const_host_device_scalarIT0_EES2_PKS2_PKT1_SB_S8_PKT3_PKT4_S6_PT5_21rocsparse_index_base_b ; -- Begin function _ZN9rocsparseL20bsrxmvn_17_32_kernelILj28Efli18rocsparse_bfloat16S1_fEEvT2_20rocsparse_direction_NS_24const_host_device_scalarIT0_EES2_PKS2_PKT1_SB_S8_PKT3_PKT4_S6_PT5_21rocsparse_index_base_b
	.p2align	8
	.type	_ZN9rocsparseL20bsrxmvn_17_32_kernelILj28Efli18rocsparse_bfloat16S1_fEEvT2_20rocsparse_direction_NS_24const_host_device_scalarIT0_EES2_PKS2_PKT1_SB_S8_PKT3_PKT4_S6_PT5_21rocsparse_index_base_b,@function
_ZN9rocsparseL20bsrxmvn_17_32_kernelILj28Efli18rocsparse_bfloat16S1_fEEvT2_20rocsparse_direction_NS_24const_host_device_scalarIT0_EES2_PKS2_PKT1_SB_S8_PKT3_PKT4_S6_PT5_21rocsparse_index_base_b: ; @_ZN9rocsparseL20bsrxmvn_17_32_kernelILj28Efli18rocsparse_bfloat16S1_fEEvT2_20rocsparse_direction_NS_24const_host_device_scalarIT0_EES2_PKS2_PKT1_SB_S8_PKT3_PKT4_S6_PT5_21rocsparse_index_base_b
; %bb.0:
	s_mov_b32 s10, s15
	s_clause 0x2
	s_load_b64 s[14:15], s[0:1], 0x58
	s_load_b64 s[12:13], s[0:1], 0x8
	;; [unrolled: 1-line block ×3, first 2 shown]
	s_waitcnt lgkmcnt(0)
	s_bitcmp1_b32 s15, 0
	s_cselect_b32 s2, -1, 0
	s_delay_alu instid0(SALU_CYCLE_1)
	s_and_b32 vcc_lo, exec_lo, s2
	s_xor_b32 s2, s2, -1
	s_cbranch_vccnz .LBB363_2
; %bb.1:
	s_load_b32 s12, s[12:13], 0x0
.LBB363_2:
	s_and_not1_b32 vcc_lo, exec_lo, s2
	s_cbranch_vccnz .LBB363_4
; %bb.3:
	s_load_b32 s8, s[8:9], 0x0
.LBB363_4:
	s_waitcnt lgkmcnt(0)
	v_cmp_neq_f32_e64 s2, s12, 0
	v_cmp_neq_f32_e64 s3, s8, 1.0
	s_delay_alu instid0(VALU_DEP_1) | instskip(NEXT) | instid1(SALU_CYCLE_1)
	s_or_b32 s2, s2, s3
	s_and_not1_b32 vcc_lo, exec_lo, s2
	s_cbranch_vccnz .LBB363_42
; %bb.5:
	s_clause 0x1
	s_load_b128 s[4:7], s[0:1], 0x18
	s_load_b64 s[16:17], s[0:1], 0x28
	s_waitcnt lgkmcnt(0)
	s_cmp_eq_u64 s[4:5], 0
	s_cbranch_scc1 .LBB363_7
; %bb.6:
	s_ashr_i32 s11, s10, 31
	s_delay_alu instid0(SALU_CYCLE_1) | instskip(NEXT) | instid1(SALU_CYCLE_1)
	s_lshl_b64 s[2:3], s[10:11], 2
	s_add_u32 s2, s4, s2
	s_addc_u32 s3, s5, s3
	s_load_b32 s2, s[2:3], 0x0
	s_waitcnt lgkmcnt(0)
	s_sub_i32 s10, s2, s14
.LBB363_7:
	s_load_b32 s3, s[0:1], 0x4
	v_mul_u32_u24_e32 v1, 0x925, v0
	v_mov_b32_e32 v6, 0
	s_delay_alu instid0(VALU_DEP_2) | instskip(NEXT) | instid1(VALU_DEP_1)
	v_lshrrev_b32_e32 v1, 16, v1
	v_mul_lo_u16 v2, v1, 28
	s_delay_alu instid0(VALU_DEP_1)
	v_sub_nc_u16 v7, v0, v2
	s_waitcnt lgkmcnt(0)
	s_cmp_eq_u32 s3, 1
	s_cselect_b32 s2, -1, 0
	s_cmp_lg_u32 s3, 1
	s_cselect_b32 s3, -1, 0
	s_ashr_i32 s11, s10, 31
	s_delay_alu instid0(SALU_CYCLE_1) | instskip(NEXT) | instid1(SALU_CYCLE_1)
	s_lshl_b64 s[4:5], s[10:11], 3
	s_add_u32 s6, s6, s4
	s_addc_u32 s7, s7, s5
	s_add_u32 s9, s6, 8
	s_addc_u32 s11, s7, 0
	;; [unrolled: 2-line block ×3, first 2 shown]
	s_cmp_eq_u64 s[16:17], 0
	s_cselect_b32 s5, s11, s5
	s_cselect_b32 s4, s9, s4
	s_load_b64 s[18:19], s[6:7], 0x0
	s_load_b64 s[6:7], s[4:5], 0x0
	s_load_b64 s[4:5], s[0:1], 0x50
	s_waitcnt lgkmcnt(0)
	v_cmp_ge_i64_e64 s9, s[18:19], s[6:7]
	s_delay_alu instid0(VALU_DEP_1)
	s_and_b32 vcc_lo, exec_lo, s9
	s_cbranch_vccnz .LBB363_12
; %bb.8:
	v_and_b32_e32 v1, 0xffff, v1
	v_cmp_lt_u32_e32 vcc_lo, 0x30f, v0
	s_clause 0x1
	s_load_b128 s[20:23], s[0:1], 0x30
	s_load_b64 s[0:1], s[0:1], 0x40
	s_sub_u32 s6, s6, s14
	s_subb_u32 s7, s7, 0
	v_subrev_nc_u32_e32 v3, 28, v1
	v_cndmask_b32_e64 v8, 0, 1, vcc_lo
	v_cmp_gt_u32_e32 vcc_lo, 0x310, v0
	v_and_b32_e32 v2, 0xffff, v7
	s_sub_u32 s16, s18, s14
	s_subb_u32 s17, s19, 0
	s_mul_hi_u32 s9, s16, 0x620
	v_cndmask_b32_e32 v1, v3, v1, vcc_lo
	s_mul_i32 s11, s17, 0x620
	v_lshlrev_b32_e32 v6, 1, v0
	s_add_i32 s9, s9, s11
	s_delay_alu instid0(VALU_DEP_2) | instskip(SKIP_1) | instid1(VALU_DEP_1)
	v_cndmask_b32_e64 v1, v2, v1, s2
	v_add_co_u32 v2, s2, s18, v8
	v_add_co_ci_u32_e64 v3, null, s19, 0, s2
	s_mul_i32 s2, s16, 0x620
	s_delay_alu instid0(VALU_DEP_2) | instskip(NEXT) | instid1(VALU_DEP_2)
	v_sub_co_u32 v2, vcc_lo, v2, s14
	v_subrev_co_ci_u32_e32 v3, vcc_lo, 0, v3, vcc_lo
	s_waitcnt lgkmcnt(0)
	s_add_u32 s2, s22, s2
	s_addc_u32 s9, s23, s9
	s_delay_alu instid0(VALU_DEP_1) | instskip(SKIP_1) | instid1(VALU_DEP_1)
	v_lshlrev_b64 v[4:5], 2, v[2:3]
	v_add_co_u32 v2, s2, s2, v6
	v_add_co_ci_u32_e64 v3, null, s9, 0, s2
	v_mov_b32_e32 v6, 0
	s_delay_alu instid0(VALU_DEP_4)
	v_add_co_u32 v4, vcc_lo, s20, v4
	v_add_co_ci_u32_e32 v5, vcc_lo, s21, v5, vcc_lo
	s_set_inst_prefetch_distance 0x1
	s_branch .LBB363_10
	.p2align	6
.LBB363_9:                              ;   in Loop: Header=BB363_10 Depth=1
	s_or_b32 exec_lo, exec_lo, s2
	s_add_u32 s16, s16, 1
	s_addc_u32 s17, s17, 0
	v_add_co_u32 v4, vcc_lo, v4, 4
	v_cmp_lt_i64_e64 s2, s[16:17], s[6:7]
	v_add_co_ci_u32_e32 v5, vcc_lo, 0, v5, vcc_lo
	s_delay_alu instid0(VALU_DEP_2)
	s_and_b32 vcc_lo, exec_lo, s2
	s_cbranch_vccz .LBB363_12
.LBB363_10:                             ; =>This Inner Loop Header: Depth=1
	v_add_co_u32 v9, s2, v8, s16
	s_delay_alu instid0(VALU_DEP_1) | instskip(SKIP_1) | instid1(VALU_DEP_1)
	v_add_co_ci_u32_e64 v10, null, 0, s17, s2
	s_mov_b32 s2, exec_lo
	v_cmpx_gt_i64_e64 s[6:7], v[9:10]
	s_cbranch_execz .LBB363_9
; %bb.11:                               ;   in Loop: Header=BB363_10 Depth=1
	global_load_b32 v9, v[4:5], off
	s_waitcnt vmcnt(0)
	v_subrev_nc_u32_e32 v11, s14, v9
	s_delay_alu instid0(VALU_DEP_1) | instskip(NEXT) | instid1(VALU_DEP_1)
	v_mad_u64_u32 v[9:10], null, v11, 28, v[1:2]
	v_ashrrev_i32_e32 v10, 31, v9
	s_delay_alu instid0(VALU_DEP_1) | instskip(NEXT) | instid1(VALU_DEP_1)
	v_lshlrev_b64 v[9:10], 1, v[9:10]
	v_add_co_u32 v9, vcc_lo, s0, v9
	s_delay_alu instid0(VALU_DEP_2)
	v_add_co_ci_u32_e32 v10, vcc_lo, s1, v10, vcc_lo
	global_load_u16 v11, v[2:3], off
	global_load_u16 v9, v[9:10], off
	v_add_co_u32 v2, vcc_lo, 0x620, v2
	v_add_co_ci_u32_e32 v3, vcc_lo, 0, v3, vcc_lo
	s_waitcnt vmcnt(1)
	v_lshlrev_b32_e32 v10, 16, v11
	s_waitcnt vmcnt(0)
	v_lshlrev_b32_e32 v9, 16, v9
	s_delay_alu instid0(VALU_DEP_1)
	v_fmac_f32_e32 v6, v10, v9
	s_branch .LBB363_9
.LBB363_12:
	s_set_inst_prefetch_distance 0x2
	v_lshlrev_b32_e32 v1, 2, v0
	s_and_b32 vcc_lo, exec_lo, s3
	ds_store_b32 v1, v6
	s_waitcnt lgkmcnt(0)
	s_barrier
	buffer_gl0_inv
	s_cbranch_vccz .LBB363_24
; %bb.13:
	s_mov_b32 s0, exec_lo
	v_cmpx_gt_u16_e32 12, v7
	s_cbranch_execz .LBB363_15
; %bb.14:
	ds_load_2addr_b32 v[2:3], v1 offset1:16
	s_waitcnt lgkmcnt(0)
	v_add_f32_e32 v2, v3, v2
	ds_store_b32 v1, v2
.LBB363_15:
	s_or_b32 exec_lo, exec_lo, s0
	s_delay_alu instid0(SALU_CYCLE_1)
	s_mov_b32 s0, exec_lo
	s_waitcnt lgkmcnt(0)
	s_barrier
	buffer_gl0_inv
	v_cmpx_gt_u16_e32 8, v7
	s_cbranch_execz .LBB363_17
; %bb.16:
	ds_load_2addr_b32 v[2:3], v1 offset1:8
	s_waitcnt lgkmcnt(0)
	v_add_f32_e32 v2, v3, v2
	ds_store_b32 v1, v2
.LBB363_17:
	s_or_b32 exec_lo, exec_lo, s0
	s_delay_alu instid0(SALU_CYCLE_1)
	s_mov_b32 s0, exec_lo
	s_waitcnt lgkmcnt(0)
	s_barrier
	buffer_gl0_inv
	;; [unrolled: 14-line block ×3, first 2 shown]
	v_cmpx_gt_u16_e32 2, v7
	s_cbranch_execz .LBB363_21
; %bb.20:
	ds_load_2addr_b32 v[2:3], v1 offset1:2
	s_waitcnt lgkmcnt(0)
	v_add_f32_e32 v2, v3, v2
	ds_store_b32 v1, v2
.LBB363_21:
	s_or_b32 exec_lo, exec_lo, s0
	s_mov_b32 s1, 0
	s_mov_b32 s0, 0
	s_mov_b32 s2, exec_lo
	s_waitcnt lgkmcnt(0)
	s_barrier
	buffer_gl0_inv
                                        ; implicit-def: $vgpr2
                                        ; implicit-def: $vgpr3
	v_cmpx_gt_u32_e32 28, v0
	s_xor_b32 s2, exec_lo, s2
; %bb.22:
	v_mul_u32_u24_e32 v2, 28, v0
	v_mad_u32_u24 v3, 0x6c, v0, v1
	s_mov_b32 s0, exec_lo
	s_delay_alu instid0(VALU_DEP_2)
	v_or_b32_e32 v2, 1, v2
; %bb.23:
	s_or_b32 exec_lo, exec_lo, s2
	s_delay_alu instid0(SALU_CYCLE_1)
	s_and_b32 vcc_lo, exec_lo, s1
	s_cbranch_vccnz .LBB363_25
	s_branch .LBB363_36
.LBB363_24:
	s_mov_b32 s0, 0
                                        ; implicit-def: $vgpr2
                                        ; implicit-def: $vgpr3
	s_cbranch_execz .LBB363_36
.LBB363_25:
	s_mov_b32 s1, exec_lo
	v_cmpx_gt_u32_e32 0x150, v0
	s_cbranch_execz .LBB363_27
; %bb.26:
	ds_load_2addr_stride64_b32 v[2:3], v1 offset1:7
	s_waitcnt lgkmcnt(0)
	v_add_f32_e32 v2, v3, v2
	ds_store_b32 v1, v2
.LBB363_27:
	s_or_b32 exec_lo, exec_lo, s1
	s_delay_alu instid0(SALU_CYCLE_1)
	s_mov_b32 s1, exec_lo
	s_waitcnt lgkmcnt(0)
	s_barrier
	buffer_gl0_inv
	v_cmpx_gt_u32_e32 0xe0, v0
	s_cbranch_execz .LBB363_29
; %bb.28:
	ds_load_2addr_b32 v[2:3], v1 offset1:224
	s_waitcnt lgkmcnt(0)
	v_add_f32_e32 v2, v3, v2
	ds_store_b32 v1, v2
.LBB363_29:
	s_or_b32 exec_lo, exec_lo, s1
	s_delay_alu instid0(SALU_CYCLE_1)
	s_mov_b32 s1, exec_lo
	s_waitcnt lgkmcnt(0)
	s_barrier
	buffer_gl0_inv
	v_cmpx_gt_u32_e32 0x70, v0
	s_cbranch_execz .LBB363_31
; %bb.30:
	ds_load_2addr_b32 v[2:3], v1 offset1:112
	s_waitcnt lgkmcnt(0)
	v_add_f32_e32 v2, v3, v2
	ds_store_b32 v1, v2
.LBB363_31:
	s_or_b32 exec_lo, exec_lo, s1
	s_delay_alu instid0(SALU_CYCLE_1)
	s_mov_b32 s1, exec_lo
	s_waitcnt lgkmcnt(0)
	s_barrier
	buffer_gl0_inv
	v_cmpx_gt_u32_e32 56, v0
	s_cbranch_execz .LBB363_33
; %bb.32:
	ds_load_2addr_b32 v[2:3], v1 offset1:56
	s_waitcnt lgkmcnt(0)
	v_add_f32_e32 v2, v3, v2
	ds_store_b32 v1, v2
.LBB363_33:
	s_or_b32 exec_lo, exec_lo, s1
	s_delay_alu instid0(SALU_CYCLE_1)
	s_mov_b32 s1, exec_lo
	s_waitcnt lgkmcnt(0)
	buffer_gl0_inv
                                        ; implicit-def: $vgpr2
	v_cmpx_gt_u32_e32 28, v0
; %bb.34:
	v_add_nc_u32_e32 v2, 28, v0
	s_or_b32 s0, s0, exec_lo
                                        ; implicit-def: $vgpr6
; %bb.35:
	s_or_b32 exec_lo, exec_lo, s1
	v_mov_b32_e32 v3, v1
.LBB363_36:
	s_and_saveexec_b32 s1, s0
	s_cbranch_execz .LBB363_38
; %bb.37:
	v_lshlrev_b32_e32 v1, 2, v2
	ds_load_b32 v2, v3
	ds_load_b32 v1, v1
	s_waitcnt lgkmcnt(0)
	v_add_f32_e32 v6, v2, v1
.LBB363_38:
	s_or_b32 exec_lo, exec_lo, s1
	s_delay_alu instid0(SALU_CYCLE_1)
	s_mov_b32 s0, exec_lo
	v_cmpx_gt_u32_e32 28, v0
	s_cbranch_execz .LBB363_42
; %bb.39:
	v_cmp_eq_f32_e64 s0, s8, 0
	v_mul_f32_e32 v1, s12, v6
	s_delay_alu instid0(VALU_DEP_2)
	s_and_b32 vcc_lo, exec_lo, s0
	s_mov_b32 s0, 0
	s_cbranch_vccz .LBB363_43
; %bb.40:
	s_delay_alu instid0(VALU_DEP_1) | instskip(SKIP_1) | instid1(VALU_DEP_1)
	v_mad_u64_u32 v[2:3], null, s10, 28, v[0:1]
	v_mov_b32_e32 v3, 0
	v_lshlrev_b64 v[2:3], 2, v[2:3]
	s_delay_alu instid0(VALU_DEP_1) | instskip(NEXT) | instid1(VALU_DEP_2)
	v_add_co_u32 v2, vcc_lo, s4, v2
	v_add_co_ci_u32_e32 v3, vcc_lo, s5, v3, vcc_lo
	global_store_b32 v[2:3], v1, off
	s_and_not1_b32 vcc_lo, exec_lo, s0
	s_cbranch_vccnz .LBB363_42
.LBB363_41:
	v_mad_u64_u32 v[2:3], null, s10, 28, v[0:1]
	v_mov_b32_e32 v3, 0
	s_delay_alu instid0(VALU_DEP_1) | instskip(NEXT) | instid1(VALU_DEP_1)
	v_lshlrev_b64 v[2:3], 2, v[2:3]
	v_add_co_u32 v2, vcc_lo, s4, v2
	s_delay_alu instid0(VALU_DEP_2)
	v_add_co_ci_u32_e32 v3, vcc_lo, s5, v3, vcc_lo
	global_load_b32 v0, v[2:3], off
	s_waitcnt vmcnt(0)
	v_fmac_f32_e32 v1, s8, v0
	global_store_b32 v[2:3], v1, off
.LBB363_42:
	s_nop 0
	s_sendmsg sendmsg(MSG_DEALLOC_VGPRS)
	s_endpgm
.LBB363_43:
	s_branch .LBB363_41
	.section	.rodata,"a",@progbits
	.p2align	6, 0x0
	.amdhsa_kernel _ZN9rocsparseL20bsrxmvn_17_32_kernelILj28Efli18rocsparse_bfloat16S1_fEEvT2_20rocsparse_direction_NS_24const_host_device_scalarIT0_EES2_PKS2_PKT1_SB_S8_PKT3_PKT4_S6_PT5_21rocsparse_index_base_b
		.amdhsa_group_segment_fixed_size 3136
		.amdhsa_private_segment_fixed_size 0
		.amdhsa_kernarg_size 96
		.amdhsa_user_sgpr_count 15
		.amdhsa_user_sgpr_dispatch_ptr 0
		.amdhsa_user_sgpr_queue_ptr 0
		.amdhsa_user_sgpr_kernarg_segment_ptr 1
		.amdhsa_user_sgpr_dispatch_id 0
		.amdhsa_user_sgpr_private_segment_size 0
		.amdhsa_wavefront_size32 1
		.amdhsa_uses_dynamic_stack 0
		.amdhsa_enable_private_segment 0
		.amdhsa_system_sgpr_workgroup_id_x 1
		.amdhsa_system_sgpr_workgroup_id_y 0
		.amdhsa_system_sgpr_workgroup_id_z 0
		.amdhsa_system_sgpr_workgroup_info 0
		.amdhsa_system_vgpr_workitem_id 0
		.amdhsa_next_free_vgpr 12
		.amdhsa_next_free_sgpr 24
		.amdhsa_reserve_vcc 1
		.amdhsa_float_round_mode_32 0
		.amdhsa_float_round_mode_16_64 0
		.amdhsa_float_denorm_mode_32 3
		.amdhsa_float_denorm_mode_16_64 3
		.amdhsa_dx10_clamp 1
		.amdhsa_ieee_mode 1
		.amdhsa_fp16_overflow 0
		.amdhsa_workgroup_processor_mode 1
		.amdhsa_memory_ordered 1
		.amdhsa_forward_progress 0
		.amdhsa_shared_vgpr_count 0
		.amdhsa_exception_fp_ieee_invalid_op 0
		.amdhsa_exception_fp_denorm_src 0
		.amdhsa_exception_fp_ieee_div_zero 0
		.amdhsa_exception_fp_ieee_overflow 0
		.amdhsa_exception_fp_ieee_underflow 0
		.amdhsa_exception_fp_ieee_inexact 0
		.amdhsa_exception_int_div_zero 0
	.end_amdhsa_kernel
	.section	.text._ZN9rocsparseL20bsrxmvn_17_32_kernelILj28Efli18rocsparse_bfloat16S1_fEEvT2_20rocsparse_direction_NS_24const_host_device_scalarIT0_EES2_PKS2_PKT1_SB_S8_PKT3_PKT4_S6_PT5_21rocsparse_index_base_b,"axG",@progbits,_ZN9rocsparseL20bsrxmvn_17_32_kernelILj28Efli18rocsparse_bfloat16S1_fEEvT2_20rocsparse_direction_NS_24const_host_device_scalarIT0_EES2_PKS2_PKT1_SB_S8_PKT3_PKT4_S6_PT5_21rocsparse_index_base_b,comdat
.Lfunc_end363:
	.size	_ZN9rocsparseL20bsrxmvn_17_32_kernelILj28Efli18rocsparse_bfloat16S1_fEEvT2_20rocsparse_direction_NS_24const_host_device_scalarIT0_EES2_PKS2_PKT1_SB_S8_PKT3_PKT4_S6_PT5_21rocsparse_index_base_b, .Lfunc_end363-_ZN9rocsparseL20bsrxmvn_17_32_kernelILj28Efli18rocsparse_bfloat16S1_fEEvT2_20rocsparse_direction_NS_24const_host_device_scalarIT0_EES2_PKS2_PKT1_SB_S8_PKT3_PKT4_S6_PT5_21rocsparse_index_base_b
                                        ; -- End function
	.section	.AMDGPU.csdata,"",@progbits
; Kernel info:
; codeLenInByte = 1624
; NumSgprs: 26
; NumVgprs: 12
; ScratchSize: 0
; MemoryBound: 0
; FloatMode: 240
; IeeeMode: 1
; LDSByteSize: 3136 bytes/workgroup (compile time only)
; SGPRBlocks: 3
; VGPRBlocks: 1
; NumSGPRsForWavesPerEU: 26
; NumVGPRsForWavesPerEU: 12
; Occupancy: 13
; WaveLimiterHint : 1
; COMPUTE_PGM_RSRC2:SCRATCH_EN: 0
; COMPUTE_PGM_RSRC2:USER_SGPR: 15
; COMPUTE_PGM_RSRC2:TRAP_HANDLER: 0
; COMPUTE_PGM_RSRC2:TGID_X_EN: 1
; COMPUTE_PGM_RSRC2:TGID_Y_EN: 0
; COMPUTE_PGM_RSRC2:TGID_Z_EN: 0
; COMPUTE_PGM_RSRC2:TIDIG_COMP_CNT: 0
	.section	.text._ZN9rocsparseL20bsrxmvn_17_32_kernelILj29Efli18rocsparse_bfloat16S1_fEEvT2_20rocsparse_direction_NS_24const_host_device_scalarIT0_EES2_PKS2_PKT1_SB_S8_PKT3_PKT4_S6_PT5_21rocsparse_index_base_b,"axG",@progbits,_ZN9rocsparseL20bsrxmvn_17_32_kernelILj29Efli18rocsparse_bfloat16S1_fEEvT2_20rocsparse_direction_NS_24const_host_device_scalarIT0_EES2_PKS2_PKT1_SB_S8_PKT3_PKT4_S6_PT5_21rocsparse_index_base_b,comdat
	.globl	_ZN9rocsparseL20bsrxmvn_17_32_kernelILj29Efli18rocsparse_bfloat16S1_fEEvT2_20rocsparse_direction_NS_24const_host_device_scalarIT0_EES2_PKS2_PKT1_SB_S8_PKT3_PKT4_S6_PT5_21rocsparse_index_base_b ; -- Begin function _ZN9rocsparseL20bsrxmvn_17_32_kernelILj29Efli18rocsparse_bfloat16S1_fEEvT2_20rocsparse_direction_NS_24const_host_device_scalarIT0_EES2_PKS2_PKT1_SB_S8_PKT3_PKT4_S6_PT5_21rocsparse_index_base_b
	.p2align	8
	.type	_ZN9rocsparseL20bsrxmvn_17_32_kernelILj29Efli18rocsparse_bfloat16S1_fEEvT2_20rocsparse_direction_NS_24const_host_device_scalarIT0_EES2_PKS2_PKT1_SB_S8_PKT3_PKT4_S6_PT5_21rocsparse_index_base_b,@function
_ZN9rocsparseL20bsrxmvn_17_32_kernelILj29Efli18rocsparse_bfloat16S1_fEEvT2_20rocsparse_direction_NS_24const_host_device_scalarIT0_EES2_PKS2_PKT1_SB_S8_PKT3_PKT4_S6_PT5_21rocsparse_index_base_b: ; @_ZN9rocsparseL20bsrxmvn_17_32_kernelILj29Efli18rocsparse_bfloat16S1_fEEvT2_20rocsparse_direction_NS_24const_host_device_scalarIT0_EES2_PKS2_PKT1_SB_S8_PKT3_PKT4_S6_PT5_21rocsparse_index_base_b
; %bb.0:
	s_mov_b32 s10, s15
	s_clause 0x2
	s_load_b64 s[14:15], s[0:1], 0x58
	s_load_b64 s[12:13], s[0:1], 0x8
	;; [unrolled: 1-line block ×3, first 2 shown]
	s_waitcnt lgkmcnt(0)
	s_bitcmp1_b32 s15, 0
	s_cselect_b32 s2, -1, 0
	s_delay_alu instid0(SALU_CYCLE_1)
	s_and_b32 vcc_lo, exec_lo, s2
	s_xor_b32 s2, s2, -1
	s_cbranch_vccnz .LBB364_2
; %bb.1:
	s_load_b32 s12, s[12:13], 0x0
.LBB364_2:
	s_and_not1_b32 vcc_lo, exec_lo, s2
	s_cbranch_vccnz .LBB364_4
; %bb.3:
	s_load_b32 s8, s[8:9], 0x0
.LBB364_4:
	s_waitcnt lgkmcnt(0)
	v_cmp_neq_f32_e64 s2, s12, 0
	v_cmp_neq_f32_e64 s3, s8, 1.0
	s_delay_alu instid0(VALU_DEP_1) | instskip(NEXT) | instid1(SALU_CYCLE_1)
	s_or_b32 s2, s2, s3
	s_and_not1_b32 vcc_lo, exec_lo, s2
	s_cbranch_vccnz .LBB364_42
; %bb.5:
	s_clause 0x1
	s_load_b128 s[4:7], s[0:1], 0x18
	s_load_b64 s[16:17], s[0:1], 0x28
	s_waitcnt lgkmcnt(0)
	s_cmp_eq_u64 s[4:5], 0
	s_cbranch_scc1 .LBB364_7
; %bb.6:
	s_ashr_i32 s11, s10, 31
	s_delay_alu instid0(SALU_CYCLE_1) | instskip(NEXT) | instid1(SALU_CYCLE_1)
	s_lshl_b64 s[2:3], s[10:11], 2
	s_add_u32 s2, s4, s2
	s_addc_u32 s3, s5, s3
	s_load_b32 s2, s[2:3], 0x0
	s_waitcnt lgkmcnt(0)
	s_sub_i32 s10, s2, s14
.LBB364_7:
	s_load_b32 s3, s[0:1], 0x4
	v_mul_u32_u24_e32 v1, 0x8d4, v0
	v_mov_b32_e32 v6, 0
	s_delay_alu instid0(VALU_DEP_2) | instskip(NEXT) | instid1(VALU_DEP_1)
	v_lshrrev_b32_e32 v1, 16, v1
	v_mul_lo_u16 v2, v1, 29
	s_delay_alu instid0(VALU_DEP_1)
	v_sub_nc_u16 v7, v0, v2
	s_waitcnt lgkmcnt(0)
	s_cmp_eq_u32 s3, 1
	s_cselect_b32 s2, -1, 0
	s_cmp_lg_u32 s3, 1
	s_cselect_b32 s3, -1, 0
	s_ashr_i32 s11, s10, 31
	s_delay_alu instid0(SALU_CYCLE_1) | instskip(NEXT) | instid1(SALU_CYCLE_1)
	s_lshl_b64 s[4:5], s[10:11], 3
	s_add_u32 s6, s6, s4
	s_addc_u32 s7, s7, s5
	s_add_u32 s9, s6, 8
	s_addc_u32 s11, s7, 0
	;; [unrolled: 2-line block ×3, first 2 shown]
	s_cmp_eq_u64 s[16:17], 0
	s_cselect_b32 s5, s11, s5
	s_cselect_b32 s4, s9, s4
	s_load_b64 s[18:19], s[6:7], 0x0
	s_load_b64 s[6:7], s[4:5], 0x0
	;; [unrolled: 1-line block ×3, first 2 shown]
	s_waitcnt lgkmcnt(0)
	v_cmp_ge_i64_e64 s9, s[18:19], s[6:7]
	s_delay_alu instid0(VALU_DEP_1)
	s_and_b32 vcc_lo, exec_lo, s9
	s_cbranch_vccnz .LBB364_12
; %bb.8:
	v_and_b32_e32 v1, 0xffff, v1
	v_cmp_lt_u32_e32 vcc_lo, 0x348, v0
	s_clause 0x1
	s_load_b128 s[20:23], s[0:1], 0x30
	s_load_b64 s[0:1], s[0:1], 0x40
	s_sub_u32 s6, s6, s14
	s_subb_u32 s7, s7, 0
	v_subrev_nc_u32_e32 v3, 29, v1
	v_cndmask_b32_e64 v8, 0, 1, vcc_lo
	v_cmp_gt_u32_e32 vcc_lo, 0x349, v0
	v_and_b32_e32 v2, 0xffff, v7
	s_sub_u32 s16, s18, s14
	s_subb_u32 s17, s19, 0
	s_mul_hi_u32 s9, s16, 0x692
	v_cndmask_b32_e32 v1, v3, v1, vcc_lo
	s_mul_i32 s11, s17, 0x692
	v_lshlrev_b32_e32 v6, 1, v0
	s_add_i32 s9, s9, s11
	s_delay_alu instid0(VALU_DEP_2) | instskip(SKIP_1) | instid1(VALU_DEP_1)
	v_cndmask_b32_e64 v1, v2, v1, s2
	v_add_co_u32 v2, s2, s18, v8
	v_add_co_ci_u32_e64 v3, null, s19, 0, s2
	s_mul_i32 s2, s16, 0x692
	s_delay_alu instid0(VALU_DEP_2) | instskip(NEXT) | instid1(VALU_DEP_2)
	v_sub_co_u32 v2, vcc_lo, v2, s14
	v_subrev_co_ci_u32_e32 v3, vcc_lo, 0, v3, vcc_lo
	s_waitcnt lgkmcnt(0)
	s_add_u32 s2, s22, s2
	s_addc_u32 s9, s23, s9
	s_delay_alu instid0(VALU_DEP_1) | instskip(SKIP_1) | instid1(VALU_DEP_1)
	v_lshlrev_b64 v[4:5], 2, v[2:3]
	v_add_co_u32 v2, s2, s2, v6
	v_add_co_ci_u32_e64 v3, null, s9, 0, s2
	v_mov_b32_e32 v6, 0
	s_delay_alu instid0(VALU_DEP_4)
	v_add_co_u32 v4, vcc_lo, s20, v4
	v_add_co_ci_u32_e32 v5, vcc_lo, s21, v5, vcc_lo
	s_set_inst_prefetch_distance 0x1
	s_branch .LBB364_10
	.p2align	6
.LBB364_9:                              ;   in Loop: Header=BB364_10 Depth=1
	s_or_b32 exec_lo, exec_lo, s2
	s_add_u32 s16, s16, 1
	s_addc_u32 s17, s17, 0
	v_add_co_u32 v4, vcc_lo, v4, 4
	v_cmp_lt_i64_e64 s2, s[16:17], s[6:7]
	v_add_co_ci_u32_e32 v5, vcc_lo, 0, v5, vcc_lo
	s_delay_alu instid0(VALU_DEP_2)
	s_and_b32 vcc_lo, exec_lo, s2
	s_cbranch_vccz .LBB364_12
.LBB364_10:                             ; =>This Inner Loop Header: Depth=1
	v_add_co_u32 v9, s2, v8, s16
	s_delay_alu instid0(VALU_DEP_1) | instskip(SKIP_1) | instid1(VALU_DEP_1)
	v_add_co_ci_u32_e64 v10, null, 0, s17, s2
	s_mov_b32 s2, exec_lo
	v_cmpx_gt_i64_e64 s[6:7], v[9:10]
	s_cbranch_execz .LBB364_9
; %bb.11:                               ;   in Loop: Header=BB364_10 Depth=1
	global_load_b32 v9, v[4:5], off
	s_waitcnt vmcnt(0)
	v_subrev_nc_u32_e32 v11, s14, v9
	s_delay_alu instid0(VALU_DEP_1) | instskip(NEXT) | instid1(VALU_DEP_1)
	v_mad_u64_u32 v[9:10], null, v11, 29, v[1:2]
	v_ashrrev_i32_e32 v10, 31, v9
	s_delay_alu instid0(VALU_DEP_1) | instskip(NEXT) | instid1(VALU_DEP_1)
	v_lshlrev_b64 v[9:10], 1, v[9:10]
	v_add_co_u32 v9, vcc_lo, s0, v9
	s_delay_alu instid0(VALU_DEP_2)
	v_add_co_ci_u32_e32 v10, vcc_lo, s1, v10, vcc_lo
	global_load_u16 v11, v[2:3], off
	global_load_u16 v9, v[9:10], off
	v_add_co_u32 v2, vcc_lo, 0x692, v2
	v_add_co_ci_u32_e32 v3, vcc_lo, 0, v3, vcc_lo
	s_waitcnt vmcnt(1)
	v_lshlrev_b32_e32 v10, 16, v11
	s_waitcnt vmcnt(0)
	v_lshlrev_b32_e32 v9, 16, v9
	s_delay_alu instid0(VALU_DEP_1)
	v_fmac_f32_e32 v6, v10, v9
	s_branch .LBB364_9
.LBB364_12:
	s_set_inst_prefetch_distance 0x2
	v_lshlrev_b32_e32 v1, 2, v0
	s_and_b32 vcc_lo, exec_lo, s3
	ds_store_b32 v1, v6
	s_waitcnt lgkmcnt(0)
	s_barrier
	buffer_gl0_inv
	s_cbranch_vccz .LBB364_24
; %bb.13:
	s_mov_b32 s0, exec_lo
	v_cmpx_gt_u16_e32 13, v7
	s_cbranch_execz .LBB364_15
; %bb.14:
	ds_load_2addr_b32 v[2:3], v1 offset1:16
	s_waitcnt lgkmcnt(0)
	v_add_f32_e32 v2, v3, v2
	ds_store_b32 v1, v2
.LBB364_15:
	s_or_b32 exec_lo, exec_lo, s0
	s_delay_alu instid0(SALU_CYCLE_1)
	s_mov_b32 s0, exec_lo
	s_waitcnt lgkmcnt(0)
	s_barrier
	buffer_gl0_inv
	v_cmpx_gt_u16_e32 8, v7
	s_cbranch_execz .LBB364_17
; %bb.16:
	ds_load_2addr_b32 v[2:3], v1 offset1:8
	s_waitcnt lgkmcnt(0)
	v_add_f32_e32 v2, v3, v2
	ds_store_b32 v1, v2
.LBB364_17:
	s_or_b32 exec_lo, exec_lo, s0
	s_delay_alu instid0(SALU_CYCLE_1)
	s_mov_b32 s0, exec_lo
	s_waitcnt lgkmcnt(0)
	s_barrier
	buffer_gl0_inv
	;; [unrolled: 14-line block ×3, first 2 shown]
	v_cmpx_gt_u16_e32 2, v7
	s_cbranch_execz .LBB364_21
; %bb.20:
	ds_load_2addr_b32 v[2:3], v1 offset1:2
	s_waitcnt lgkmcnt(0)
	v_add_f32_e32 v2, v3, v2
	ds_store_b32 v1, v2
.LBB364_21:
	s_or_b32 exec_lo, exec_lo, s0
	s_mov_b32 s1, 0
	s_mov_b32 s0, 0
	s_mov_b32 s2, exec_lo
	s_waitcnt lgkmcnt(0)
	s_barrier
	buffer_gl0_inv
                                        ; implicit-def: $vgpr2
                                        ; implicit-def: $vgpr3
	v_cmpx_gt_u32_e32 29, v0
	s_xor_b32 s2, exec_lo, s2
; %bb.22:
	v_mad_u32_u24 v2, v0, 29, 1
	v_mad_u32_u24 v3, 0x70, v0, v1
	s_mov_b32 s0, exec_lo
; %bb.23:
	s_or_b32 exec_lo, exec_lo, s2
	s_delay_alu instid0(SALU_CYCLE_1)
	s_and_b32 vcc_lo, exec_lo, s1
	s_cbranch_vccnz .LBB364_25
	s_branch .LBB364_36
.LBB364_24:
	s_mov_b32 s0, 0
                                        ; implicit-def: $vgpr2
                                        ; implicit-def: $vgpr3
	s_cbranch_execz .LBB364_36
.LBB364_25:
	s_mov_b32 s1, exec_lo
	v_cmpx_gt_u32_e32 0x179, v0
	s_cbranch_execz .LBB364_27
; %bb.26:
	ds_load_b32 v2, v1 offset:1856
	ds_load_b32 v3, v1
	s_waitcnt lgkmcnt(0)
	v_add_f32_e32 v2, v2, v3
	ds_store_b32 v1, v2
.LBB364_27:
	s_or_b32 exec_lo, exec_lo, s1
	s_delay_alu instid0(SALU_CYCLE_1)
	s_mov_b32 s1, exec_lo
	s_waitcnt lgkmcnt(0)
	s_barrier
	buffer_gl0_inv
	v_cmpx_gt_u32_e32 0xe8, v0
	s_cbranch_execz .LBB364_29
; %bb.28:
	ds_load_2addr_b32 v[2:3], v1 offset1:232
	s_waitcnt lgkmcnt(0)
	v_add_f32_e32 v2, v3, v2
	ds_store_b32 v1, v2
.LBB364_29:
	s_or_b32 exec_lo, exec_lo, s1
	s_delay_alu instid0(SALU_CYCLE_1)
	s_mov_b32 s1, exec_lo
	s_waitcnt lgkmcnt(0)
	s_barrier
	buffer_gl0_inv
	v_cmpx_gt_u32_e32 0x74, v0
	s_cbranch_execz .LBB364_31
; %bb.30:
	ds_load_2addr_b32 v[2:3], v1 offset1:116
	s_waitcnt lgkmcnt(0)
	v_add_f32_e32 v2, v3, v2
	ds_store_b32 v1, v2
.LBB364_31:
	;; [unrolled: 14-line block ×3, first 2 shown]
	s_or_b32 exec_lo, exec_lo, s1
	s_delay_alu instid0(SALU_CYCLE_1)
	s_mov_b32 s1, exec_lo
	s_waitcnt lgkmcnt(0)
	buffer_gl0_inv
                                        ; implicit-def: $vgpr2
	v_cmpx_gt_u32_e32 29, v0
; %bb.34:
	v_add_nc_u32_e32 v2, 29, v0
	s_or_b32 s0, s0, exec_lo
                                        ; implicit-def: $vgpr6
; %bb.35:
	s_or_b32 exec_lo, exec_lo, s1
	v_mov_b32_e32 v3, v1
.LBB364_36:
	s_and_saveexec_b32 s1, s0
	s_cbranch_execz .LBB364_38
; %bb.37:
	v_lshlrev_b32_e32 v1, 2, v2
	ds_load_b32 v2, v3
	ds_load_b32 v1, v1
	s_waitcnt lgkmcnt(0)
	v_add_f32_e32 v6, v2, v1
.LBB364_38:
	s_or_b32 exec_lo, exec_lo, s1
	s_delay_alu instid0(SALU_CYCLE_1)
	s_mov_b32 s0, exec_lo
	v_cmpx_gt_u32_e32 29, v0
	s_cbranch_execz .LBB364_42
; %bb.39:
	v_cmp_eq_f32_e64 s0, s8, 0
	v_mul_f32_e32 v1, s12, v6
	s_delay_alu instid0(VALU_DEP_2)
	s_and_b32 vcc_lo, exec_lo, s0
	s_mov_b32 s0, 0
	s_cbranch_vccz .LBB364_43
; %bb.40:
	s_delay_alu instid0(VALU_DEP_1) | instskip(SKIP_1) | instid1(VALU_DEP_1)
	v_mad_u64_u32 v[2:3], null, s10, 29, v[0:1]
	v_mov_b32_e32 v3, 0
	v_lshlrev_b64 v[2:3], 2, v[2:3]
	s_delay_alu instid0(VALU_DEP_1) | instskip(NEXT) | instid1(VALU_DEP_2)
	v_add_co_u32 v2, vcc_lo, s4, v2
	v_add_co_ci_u32_e32 v3, vcc_lo, s5, v3, vcc_lo
	global_store_b32 v[2:3], v1, off
	s_and_not1_b32 vcc_lo, exec_lo, s0
	s_cbranch_vccnz .LBB364_42
.LBB364_41:
	v_mad_u64_u32 v[2:3], null, s10, 29, v[0:1]
	v_mov_b32_e32 v3, 0
	s_delay_alu instid0(VALU_DEP_1) | instskip(NEXT) | instid1(VALU_DEP_1)
	v_lshlrev_b64 v[2:3], 2, v[2:3]
	v_add_co_u32 v2, vcc_lo, s4, v2
	s_delay_alu instid0(VALU_DEP_2)
	v_add_co_ci_u32_e32 v3, vcc_lo, s5, v3, vcc_lo
	global_load_b32 v0, v[2:3], off
	s_waitcnt vmcnt(0)
	v_fmac_f32_e32 v1, s8, v0
	global_store_b32 v[2:3], v1, off
.LBB364_42:
	s_nop 0
	s_sendmsg sendmsg(MSG_DEALLOC_VGPRS)
	s_endpgm
.LBB364_43:
	s_branch .LBB364_41
	.section	.rodata,"a",@progbits
	.p2align	6, 0x0
	.amdhsa_kernel _ZN9rocsparseL20bsrxmvn_17_32_kernelILj29Efli18rocsparse_bfloat16S1_fEEvT2_20rocsparse_direction_NS_24const_host_device_scalarIT0_EES2_PKS2_PKT1_SB_S8_PKT3_PKT4_S6_PT5_21rocsparse_index_base_b
		.amdhsa_group_segment_fixed_size 3364
		.amdhsa_private_segment_fixed_size 0
		.amdhsa_kernarg_size 96
		.amdhsa_user_sgpr_count 15
		.amdhsa_user_sgpr_dispatch_ptr 0
		.amdhsa_user_sgpr_queue_ptr 0
		.amdhsa_user_sgpr_kernarg_segment_ptr 1
		.amdhsa_user_sgpr_dispatch_id 0
		.amdhsa_user_sgpr_private_segment_size 0
		.amdhsa_wavefront_size32 1
		.amdhsa_uses_dynamic_stack 0
		.amdhsa_enable_private_segment 0
		.amdhsa_system_sgpr_workgroup_id_x 1
		.amdhsa_system_sgpr_workgroup_id_y 0
		.amdhsa_system_sgpr_workgroup_id_z 0
		.amdhsa_system_sgpr_workgroup_info 0
		.amdhsa_system_vgpr_workitem_id 0
		.amdhsa_next_free_vgpr 12
		.amdhsa_next_free_sgpr 24
		.amdhsa_reserve_vcc 1
		.amdhsa_float_round_mode_32 0
		.amdhsa_float_round_mode_16_64 0
		.amdhsa_float_denorm_mode_32 3
		.amdhsa_float_denorm_mode_16_64 3
		.amdhsa_dx10_clamp 1
		.amdhsa_ieee_mode 1
		.amdhsa_fp16_overflow 0
		.amdhsa_workgroup_processor_mode 1
		.amdhsa_memory_ordered 1
		.amdhsa_forward_progress 0
		.amdhsa_shared_vgpr_count 0
		.amdhsa_exception_fp_ieee_invalid_op 0
		.amdhsa_exception_fp_denorm_src 0
		.amdhsa_exception_fp_ieee_div_zero 0
		.amdhsa_exception_fp_ieee_overflow 0
		.amdhsa_exception_fp_ieee_underflow 0
		.amdhsa_exception_fp_ieee_inexact 0
		.amdhsa_exception_int_div_zero 0
	.end_amdhsa_kernel
	.section	.text._ZN9rocsparseL20bsrxmvn_17_32_kernelILj29Efli18rocsparse_bfloat16S1_fEEvT2_20rocsparse_direction_NS_24const_host_device_scalarIT0_EES2_PKS2_PKT1_SB_S8_PKT3_PKT4_S6_PT5_21rocsparse_index_base_b,"axG",@progbits,_ZN9rocsparseL20bsrxmvn_17_32_kernelILj29Efli18rocsparse_bfloat16S1_fEEvT2_20rocsparse_direction_NS_24const_host_device_scalarIT0_EES2_PKS2_PKT1_SB_S8_PKT3_PKT4_S6_PT5_21rocsparse_index_base_b,comdat
.Lfunc_end364:
	.size	_ZN9rocsparseL20bsrxmvn_17_32_kernelILj29Efli18rocsparse_bfloat16S1_fEEvT2_20rocsparse_direction_NS_24const_host_device_scalarIT0_EES2_PKS2_PKT1_SB_S8_PKT3_PKT4_S6_PT5_21rocsparse_index_base_b, .Lfunc_end364-_ZN9rocsparseL20bsrxmvn_17_32_kernelILj29Efli18rocsparse_bfloat16S1_fEEvT2_20rocsparse_direction_NS_24const_host_device_scalarIT0_EES2_PKS2_PKT1_SB_S8_PKT3_PKT4_S6_PT5_21rocsparse_index_base_b
                                        ; -- End function
	.section	.AMDGPU.csdata,"",@progbits
; Kernel info:
; codeLenInByte = 1628
; NumSgprs: 26
; NumVgprs: 12
; ScratchSize: 0
; MemoryBound: 0
; FloatMode: 240
; IeeeMode: 1
; LDSByteSize: 3364 bytes/workgroup (compile time only)
; SGPRBlocks: 3
; VGPRBlocks: 1
; NumSGPRsForWavesPerEU: 26
; NumVGPRsForWavesPerEU: 12
; Occupancy: 14
; WaveLimiterHint : 1
; COMPUTE_PGM_RSRC2:SCRATCH_EN: 0
; COMPUTE_PGM_RSRC2:USER_SGPR: 15
; COMPUTE_PGM_RSRC2:TRAP_HANDLER: 0
; COMPUTE_PGM_RSRC2:TGID_X_EN: 1
; COMPUTE_PGM_RSRC2:TGID_Y_EN: 0
; COMPUTE_PGM_RSRC2:TGID_Z_EN: 0
; COMPUTE_PGM_RSRC2:TIDIG_COMP_CNT: 0
	.section	.text._ZN9rocsparseL20bsrxmvn_17_32_kernelILj30Efli18rocsparse_bfloat16S1_fEEvT2_20rocsparse_direction_NS_24const_host_device_scalarIT0_EES2_PKS2_PKT1_SB_S8_PKT3_PKT4_S6_PT5_21rocsparse_index_base_b,"axG",@progbits,_ZN9rocsparseL20bsrxmvn_17_32_kernelILj30Efli18rocsparse_bfloat16S1_fEEvT2_20rocsparse_direction_NS_24const_host_device_scalarIT0_EES2_PKS2_PKT1_SB_S8_PKT3_PKT4_S6_PT5_21rocsparse_index_base_b,comdat
	.globl	_ZN9rocsparseL20bsrxmvn_17_32_kernelILj30Efli18rocsparse_bfloat16S1_fEEvT2_20rocsparse_direction_NS_24const_host_device_scalarIT0_EES2_PKS2_PKT1_SB_S8_PKT3_PKT4_S6_PT5_21rocsparse_index_base_b ; -- Begin function _ZN9rocsparseL20bsrxmvn_17_32_kernelILj30Efli18rocsparse_bfloat16S1_fEEvT2_20rocsparse_direction_NS_24const_host_device_scalarIT0_EES2_PKS2_PKT1_SB_S8_PKT3_PKT4_S6_PT5_21rocsparse_index_base_b
	.p2align	8
	.type	_ZN9rocsparseL20bsrxmvn_17_32_kernelILj30Efli18rocsparse_bfloat16S1_fEEvT2_20rocsparse_direction_NS_24const_host_device_scalarIT0_EES2_PKS2_PKT1_SB_S8_PKT3_PKT4_S6_PT5_21rocsparse_index_base_b,@function
_ZN9rocsparseL20bsrxmvn_17_32_kernelILj30Efli18rocsparse_bfloat16S1_fEEvT2_20rocsparse_direction_NS_24const_host_device_scalarIT0_EES2_PKS2_PKT1_SB_S8_PKT3_PKT4_S6_PT5_21rocsparse_index_base_b: ; @_ZN9rocsparseL20bsrxmvn_17_32_kernelILj30Efli18rocsparse_bfloat16S1_fEEvT2_20rocsparse_direction_NS_24const_host_device_scalarIT0_EES2_PKS2_PKT1_SB_S8_PKT3_PKT4_S6_PT5_21rocsparse_index_base_b
; %bb.0:
	s_mov_b32 s10, s15
	s_clause 0x2
	s_load_b64 s[14:15], s[0:1], 0x58
	s_load_b64 s[12:13], s[0:1], 0x8
	;; [unrolled: 1-line block ×3, first 2 shown]
	s_waitcnt lgkmcnt(0)
	s_bitcmp1_b32 s15, 0
	s_cselect_b32 s2, -1, 0
	s_delay_alu instid0(SALU_CYCLE_1)
	s_and_b32 vcc_lo, exec_lo, s2
	s_xor_b32 s2, s2, -1
	s_cbranch_vccnz .LBB365_2
; %bb.1:
	s_load_b32 s12, s[12:13], 0x0
.LBB365_2:
	s_and_not1_b32 vcc_lo, exec_lo, s2
	s_cbranch_vccnz .LBB365_4
; %bb.3:
	s_load_b32 s8, s[8:9], 0x0
.LBB365_4:
	s_waitcnt lgkmcnt(0)
	v_cmp_neq_f32_e64 s2, s12, 0
	v_cmp_neq_f32_e64 s3, s8, 1.0
	s_delay_alu instid0(VALU_DEP_1) | instskip(NEXT) | instid1(SALU_CYCLE_1)
	s_or_b32 s2, s2, s3
	s_and_not1_b32 vcc_lo, exec_lo, s2
	s_cbranch_vccnz .LBB365_42
; %bb.5:
	s_clause 0x1
	s_load_b128 s[4:7], s[0:1], 0x18
	s_load_b64 s[16:17], s[0:1], 0x28
	s_waitcnt lgkmcnt(0)
	s_cmp_eq_u64 s[4:5], 0
	s_cbranch_scc1 .LBB365_7
; %bb.6:
	s_ashr_i32 s11, s10, 31
	s_delay_alu instid0(SALU_CYCLE_1) | instskip(NEXT) | instid1(SALU_CYCLE_1)
	s_lshl_b64 s[2:3], s[10:11], 2
	s_add_u32 s2, s4, s2
	s_addc_u32 s3, s5, s3
	s_load_b32 s2, s[2:3], 0x0
	s_waitcnt lgkmcnt(0)
	s_sub_i32 s10, s2, s14
.LBB365_7:
	s_load_b32 s3, s[0:1], 0x4
	v_mul_u32_u24_e32 v1, 0x889, v0
	v_mov_b32_e32 v6, 0
	s_delay_alu instid0(VALU_DEP_2) | instskip(NEXT) | instid1(VALU_DEP_1)
	v_lshrrev_b32_e32 v1, 16, v1
	v_mul_lo_u16 v2, v1, 30
	s_delay_alu instid0(VALU_DEP_1)
	v_sub_nc_u16 v7, v0, v2
	s_waitcnt lgkmcnt(0)
	s_cmp_eq_u32 s3, 1
	s_cselect_b32 s2, -1, 0
	s_cmp_lg_u32 s3, 1
	s_cselect_b32 s3, -1, 0
	s_ashr_i32 s11, s10, 31
	s_delay_alu instid0(SALU_CYCLE_1) | instskip(NEXT) | instid1(SALU_CYCLE_1)
	s_lshl_b64 s[4:5], s[10:11], 3
	s_add_u32 s6, s6, s4
	s_addc_u32 s7, s7, s5
	s_add_u32 s9, s6, 8
	s_addc_u32 s11, s7, 0
	;; [unrolled: 2-line block ×3, first 2 shown]
	s_cmp_eq_u64 s[16:17], 0
	s_cselect_b32 s5, s11, s5
	s_cselect_b32 s4, s9, s4
	s_load_b64 s[18:19], s[6:7], 0x0
	s_load_b64 s[6:7], s[4:5], 0x0
	;; [unrolled: 1-line block ×3, first 2 shown]
	s_waitcnt lgkmcnt(0)
	v_cmp_ge_i64_e64 s9, s[18:19], s[6:7]
	s_delay_alu instid0(VALU_DEP_1)
	s_and_b32 vcc_lo, exec_lo, s9
	s_cbranch_vccnz .LBB365_12
; %bb.8:
	v_and_b32_e32 v1, 0xffff, v1
	v_cmp_lt_u32_e32 vcc_lo, 0x383, v0
	s_clause 0x1
	s_load_b128 s[20:23], s[0:1], 0x30
	s_load_b64 s[0:1], s[0:1], 0x40
	s_sub_u32 s6, s6, s14
	s_subb_u32 s7, s7, 0
	v_subrev_nc_u32_e32 v3, 30, v1
	v_cndmask_b32_e64 v8, 0, 1, vcc_lo
	v_cmp_gt_u32_e32 vcc_lo, 0x384, v0
	v_and_b32_e32 v2, 0xffff, v7
	s_sub_u32 s16, s18, s14
	s_subb_u32 s17, s19, 0
	s_mul_hi_u32 s9, s16, 0x708
	v_cndmask_b32_e32 v1, v3, v1, vcc_lo
	s_mul_i32 s11, s17, 0x708
	v_lshlrev_b32_e32 v6, 1, v0
	s_add_i32 s9, s9, s11
	s_delay_alu instid0(VALU_DEP_2) | instskip(SKIP_1) | instid1(VALU_DEP_1)
	v_cndmask_b32_e64 v1, v2, v1, s2
	v_add_co_u32 v2, s2, s18, v8
	v_add_co_ci_u32_e64 v3, null, s19, 0, s2
	s_mul_i32 s2, s16, 0x708
	s_delay_alu instid0(VALU_DEP_2) | instskip(NEXT) | instid1(VALU_DEP_2)
	v_sub_co_u32 v2, vcc_lo, v2, s14
	v_subrev_co_ci_u32_e32 v3, vcc_lo, 0, v3, vcc_lo
	s_waitcnt lgkmcnt(0)
	s_add_u32 s2, s22, s2
	s_addc_u32 s9, s23, s9
	s_delay_alu instid0(VALU_DEP_1) | instskip(SKIP_1) | instid1(VALU_DEP_1)
	v_lshlrev_b64 v[4:5], 2, v[2:3]
	v_add_co_u32 v2, s2, s2, v6
	v_add_co_ci_u32_e64 v3, null, s9, 0, s2
	v_mov_b32_e32 v6, 0
	s_delay_alu instid0(VALU_DEP_4)
	v_add_co_u32 v4, vcc_lo, s20, v4
	v_add_co_ci_u32_e32 v5, vcc_lo, s21, v5, vcc_lo
	s_set_inst_prefetch_distance 0x1
	s_branch .LBB365_10
	.p2align	6
.LBB365_9:                              ;   in Loop: Header=BB365_10 Depth=1
	s_or_b32 exec_lo, exec_lo, s2
	s_add_u32 s16, s16, 1
	s_addc_u32 s17, s17, 0
	v_add_co_u32 v4, vcc_lo, v4, 4
	v_cmp_lt_i64_e64 s2, s[16:17], s[6:7]
	v_add_co_ci_u32_e32 v5, vcc_lo, 0, v5, vcc_lo
	s_delay_alu instid0(VALU_DEP_2)
	s_and_b32 vcc_lo, exec_lo, s2
	s_cbranch_vccz .LBB365_12
.LBB365_10:                             ; =>This Inner Loop Header: Depth=1
	v_add_co_u32 v9, s2, v8, s16
	s_delay_alu instid0(VALU_DEP_1) | instskip(SKIP_1) | instid1(VALU_DEP_1)
	v_add_co_ci_u32_e64 v10, null, 0, s17, s2
	s_mov_b32 s2, exec_lo
	v_cmpx_gt_i64_e64 s[6:7], v[9:10]
	s_cbranch_execz .LBB365_9
; %bb.11:                               ;   in Loop: Header=BB365_10 Depth=1
	global_load_b32 v9, v[4:5], off
	s_waitcnt vmcnt(0)
	v_subrev_nc_u32_e32 v11, s14, v9
	s_delay_alu instid0(VALU_DEP_1) | instskip(NEXT) | instid1(VALU_DEP_1)
	v_mad_u64_u32 v[9:10], null, v11, 30, v[1:2]
	v_ashrrev_i32_e32 v10, 31, v9
	s_delay_alu instid0(VALU_DEP_1) | instskip(NEXT) | instid1(VALU_DEP_1)
	v_lshlrev_b64 v[9:10], 1, v[9:10]
	v_add_co_u32 v9, vcc_lo, s0, v9
	s_delay_alu instid0(VALU_DEP_2)
	v_add_co_ci_u32_e32 v10, vcc_lo, s1, v10, vcc_lo
	global_load_u16 v11, v[2:3], off
	global_load_u16 v9, v[9:10], off
	v_add_co_u32 v2, vcc_lo, 0x708, v2
	v_add_co_ci_u32_e32 v3, vcc_lo, 0, v3, vcc_lo
	s_waitcnt vmcnt(1)
	v_lshlrev_b32_e32 v10, 16, v11
	s_waitcnt vmcnt(0)
	v_lshlrev_b32_e32 v9, 16, v9
	s_delay_alu instid0(VALU_DEP_1)
	v_fmac_f32_e32 v6, v10, v9
	s_branch .LBB365_9
.LBB365_12:
	s_set_inst_prefetch_distance 0x2
	v_lshlrev_b32_e32 v1, 2, v0
	s_and_b32 vcc_lo, exec_lo, s3
	ds_store_b32 v1, v6
	s_waitcnt lgkmcnt(0)
	s_barrier
	buffer_gl0_inv
	s_cbranch_vccz .LBB365_24
; %bb.13:
	s_mov_b32 s0, exec_lo
	v_cmpx_gt_u16_e32 14, v7
	s_cbranch_execz .LBB365_15
; %bb.14:
	ds_load_2addr_b32 v[2:3], v1 offset1:16
	s_waitcnt lgkmcnt(0)
	v_add_f32_e32 v2, v3, v2
	ds_store_b32 v1, v2
.LBB365_15:
	s_or_b32 exec_lo, exec_lo, s0
	s_delay_alu instid0(SALU_CYCLE_1)
	s_mov_b32 s0, exec_lo
	s_waitcnt lgkmcnt(0)
	s_barrier
	buffer_gl0_inv
	v_cmpx_gt_u16_e32 8, v7
	s_cbranch_execz .LBB365_17
; %bb.16:
	ds_load_2addr_b32 v[2:3], v1 offset1:8
	s_waitcnt lgkmcnt(0)
	v_add_f32_e32 v2, v3, v2
	ds_store_b32 v1, v2
.LBB365_17:
	s_or_b32 exec_lo, exec_lo, s0
	s_delay_alu instid0(SALU_CYCLE_1)
	s_mov_b32 s0, exec_lo
	s_waitcnt lgkmcnt(0)
	s_barrier
	buffer_gl0_inv
	;; [unrolled: 14-line block ×3, first 2 shown]
	v_cmpx_gt_u16_e32 2, v7
	s_cbranch_execz .LBB365_21
; %bb.20:
	ds_load_2addr_b32 v[2:3], v1 offset1:2
	s_waitcnt lgkmcnt(0)
	v_add_f32_e32 v2, v3, v2
	ds_store_b32 v1, v2
.LBB365_21:
	s_or_b32 exec_lo, exec_lo, s0
	s_mov_b32 s1, 0
	s_mov_b32 s0, 0
	s_mov_b32 s2, exec_lo
	s_waitcnt lgkmcnt(0)
	s_barrier
	buffer_gl0_inv
                                        ; implicit-def: $vgpr2
                                        ; implicit-def: $vgpr3
	v_cmpx_gt_u32_e32 30, v0
	s_xor_b32 s2, exec_lo, s2
; %bb.22:
	v_mul_u32_u24_e32 v2, 30, v0
	v_mad_u32_u24 v3, 0x74, v0, v1
	s_mov_b32 s0, exec_lo
	s_delay_alu instid0(VALU_DEP_2)
	v_or_b32_e32 v2, 1, v2
; %bb.23:
	s_or_b32 exec_lo, exec_lo, s2
	s_delay_alu instid0(SALU_CYCLE_1)
	s_and_b32 vcc_lo, exec_lo, s1
	s_cbranch_vccnz .LBB365_25
	s_branch .LBB365_36
.LBB365_24:
	s_mov_b32 s0, 0
                                        ; implicit-def: $vgpr2
                                        ; implicit-def: $vgpr3
	s_cbranch_execz .LBB365_36
.LBB365_25:
	s_mov_b32 s1, exec_lo
	v_cmpx_gt_u32_e32 0x1a4, v0
	s_cbranch_execz .LBB365_27
; %bb.26:
	ds_load_b32 v2, v1 offset:1920
	ds_load_b32 v3, v1
	s_waitcnt lgkmcnt(0)
	v_add_f32_e32 v2, v2, v3
	ds_store_b32 v1, v2
.LBB365_27:
	s_or_b32 exec_lo, exec_lo, s1
	s_delay_alu instid0(SALU_CYCLE_1)
	s_mov_b32 s1, exec_lo
	s_waitcnt lgkmcnt(0)
	s_barrier
	buffer_gl0_inv
	v_cmpx_gt_u32_e32 0xf0, v0
	s_cbranch_execz .LBB365_29
; %bb.28:
	ds_load_2addr_b32 v[2:3], v1 offset1:240
	s_waitcnt lgkmcnt(0)
	v_add_f32_e32 v2, v3, v2
	ds_store_b32 v1, v2
.LBB365_29:
	s_or_b32 exec_lo, exec_lo, s1
	s_delay_alu instid0(SALU_CYCLE_1)
	s_mov_b32 s1, exec_lo
	s_waitcnt lgkmcnt(0)
	s_barrier
	buffer_gl0_inv
	v_cmpx_gt_u32_e32 0x78, v0
	s_cbranch_execz .LBB365_31
; %bb.30:
	ds_load_2addr_b32 v[2:3], v1 offset1:120
	s_waitcnt lgkmcnt(0)
	v_add_f32_e32 v2, v3, v2
	ds_store_b32 v1, v2
.LBB365_31:
	;; [unrolled: 14-line block ×3, first 2 shown]
	s_or_b32 exec_lo, exec_lo, s1
	s_delay_alu instid0(SALU_CYCLE_1)
	s_mov_b32 s1, exec_lo
	s_waitcnt lgkmcnt(0)
	buffer_gl0_inv
                                        ; implicit-def: $vgpr2
	v_cmpx_gt_u32_e32 30, v0
; %bb.34:
	v_add_nc_u32_e32 v2, 30, v0
	s_or_b32 s0, s0, exec_lo
                                        ; implicit-def: $vgpr6
; %bb.35:
	s_or_b32 exec_lo, exec_lo, s1
	v_mov_b32_e32 v3, v1
.LBB365_36:
	s_and_saveexec_b32 s1, s0
	s_cbranch_execz .LBB365_38
; %bb.37:
	v_lshlrev_b32_e32 v1, 2, v2
	ds_load_b32 v2, v3
	ds_load_b32 v1, v1
	s_waitcnt lgkmcnt(0)
	v_add_f32_e32 v6, v2, v1
.LBB365_38:
	s_or_b32 exec_lo, exec_lo, s1
	s_delay_alu instid0(SALU_CYCLE_1)
	s_mov_b32 s0, exec_lo
	v_cmpx_gt_u32_e32 30, v0
	s_cbranch_execz .LBB365_42
; %bb.39:
	v_cmp_eq_f32_e64 s0, s8, 0
	v_mul_f32_e32 v1, s12, v6
	s_delay_alu instid0(VALU_DEP_2)
	s_and_b32 vcc_lo, exec_lo, s0
	s_mov_b32 s0, 0
	s_cbranch_vccz .LBB365_43
; %bb.40:
	s_delay_alu instid0(VALU_DEP_1) | instskip(SKIP_1) | instid1(VALU_DEP_1)
	v_mad_u64_u32 v[2:3], null, s10, 30, v[0:1]
	v_mov_b32_e32 v3, 0
	v_lshlrev_b64 v[2:3], 2, v[2:3]
	s_delay_alu instid0(VALU_DEP_1) | instskip(NEXT) | instid1(VALU_DEP_2)
	v_add_co_u32 v2, vcc_lo, s4, v2
	v_add_co_ci_u32_e32 v3, vcc_lo, s5, v3, vcc_lo
	global_store_b32 v[2:3], v1, off
	s_and_not1_b32 vcc_lo, exec_lo, s0
	s_cbranch_vccnz .LBB365_42
.LBB365_41:
	v_mad_u64_u32 v[2:3], null, s10, 30, v[0:1]
	v_mov_b32_e32 v3, 0
	s_delay_alu instid0(VALU_DEP_1) | instskip(NEXT) | instid1(VALU_DEP_1)
	v_lshlrev_b64 v[2:3], 2, v[2:3]
	v_add_co_u32 v2, vcc_lo, s4, v2
	s_delay_alu instid0(VALU_DEP_2)
	v_add_co_ci_u32_e32 v3, vcc_lo, s5, v3, vcc_lo
	global_load_b32 v0, v[2:3], off
	s_waitcnt vmcnt(0)
	v_fmac_f32_e32 v1, s8, v0
	global_store_b32 v[2:3], v1, off
.LBB365_42:
	s_nop 0
	s_sendmsg sendmsg(MSG_DEALLOC_VGPRS)
	s_endpgm
.LBB365_43:
	s_branch .LBB365_41
	.section	.rodata,"a",@progbits
	.p2align	6, 0x0
	.amdhsa_kernel _ZN9rocsparseL20bsrxmvn_17_32_kernelILj30Efli18rocsparse_bfloat16S1_fEEvT2_20rocsparse_direction_NS_24const_host_device_scalarIT0_EES2_PKS2_PKT1_SB_S8_PKT3_PKT4_S6_PT5_21rocsparse_index_base_b
		.amdhsa_group_segment_fixed_size 3600
		.amdhsa_private_segment_fixed_size 0
		.amdhsa_kernarg_size 96
		.amdhsa_user_sgpr_count 15
		.amdhsa_user_sgpr_dispatch_ptr 0
		.amdhsa_user_sgpr_queue_ptr 0
		.amdhsa_user_sgpr_kernarg_segment_ptr 1
		.amdhsa_user_sgpr_dispatch_id 0
		.amdhsa_user_sgpr_private_segment_size 0
		.amdhsa_wavefront_size32 1
		.amdhsa_uses_dynamic_stack 0
		.amdhsa_enable_private_segment 0
		.amdhsa_system_sgpr_workgroup_id_x 1
		.amdhsa_system_sgpr_workgroup_id_y 0
		.amdhsa_system_sgpr_workgroup_id_z 0
		.amdhsa_system_sgpr_workgroup_info 0
		.amdhsa_system_vgpr_workitem_id 0
		.amdhsa_next_free_vgpr 12
		.amdhsa_next_free_sgpr 24
		.amdhsa_reserve_vcc 1
		.amdhsa_float_round_mode_32 0
		.amdhsa_float_round_mode_16_64 0
		.amdhsa_float_denorm_mode_32 3
		.amdhsa_float_denorm_mode_16_64 3
		.amdhsa_dx10_clamp 1
		.amdhsa_ieee_mode 1
		.amdhsa_fp16_overflow 0
		.amdhsa_workgroup_processor_mode 1
		.amdhsa_memory_ordered 1
		.amdhsa_forward_progress 0
		.amdhsa_shared_vgpr_count 0
		.amdhsa_exception_fp_ieee_invalid_op 0
		.amdhsa_exception_fp_denorm_src 0
		.amdhsa_exception_fp_ieee_div_zero 0
		.amdhsa_exception_fp_ieee_overflow 0
		.amdhsa_exception_fp_ieee_underflow 0
		.amdhsa_exception_fp_ieee_inexact 0
		.amdhsa_exception_int_div_zero 0
	.end_amdhsa_kernel
	.section	.text._ZN9rocsparseL20bsrxmvn_17_32_kernelILj30Efli18rocsparse_bfloat16S1_fEEvT2_20rocsparse_direction_NS_24const_host_device_scalarIT0_EES2_PKS2_PKT1_SB_S8_PKT3_PKT4_S6_PT5_21rocsparse_index_base_b,"axG",@progbits,_ZN9rocsparseL20bsrxmvn_17_32_kernelILj30Efli18rocsparse_bfloat16S1_fEEvT2_20rocsparse_direction_NS_24const_host_device_scalarIT0_EES2_PKS2_PKT1_SB_S8_PKT3_PKT4_S6_PT5_21rocsparse_index_base_b,comdat
.Lfunc_end365:
	.size	_ZN9rocsparseL20bsrxmvn_17_32_kernelILj30Efli18rocsparse_bfloat16S1_fEEvT2_20rocsparse_direction_NS_24const_host_device_scalarIT0_EES2_PKS2_PKT1_SB_S8_PKT3_PKT4_S6_PT5_21rocsparse_index_base_b, .Lfunc_end365-_ZN9rocsparseL20bsrxmvn_17_32_kernelILj30Efli18rocsparse_bfloat16S1_fEEvT2_20rocsparse_direction_NS_24const_host_device_scalarIT0_EES2_PKS2_PKT1_SB_S8_PKT3_PKT4_S6_PT5_21rocsparse_index_base_b
                                        ; -- End function
	.section	.AMDGPU.csdata,"",@progbits
; Kernel info:
; codeLenInByte = 1632
; NumSgprs: 26
; NumVgprs: 12
; ScratchSize: 0
; MemoryBound: 0
; FloatMode: 240
; IeeeMode: 1
; LDSByteSize: 3600 bytes/workgroup (compile time only)
; SGPRBlocks: 3
; VGPRBlocks: 1
; NumSGPRsForWavesPerEU: 26
; NumVGPRsForWavesPerEU: 12
; Occupancy: 15
; WaveLimiterHint : 1
; COMPUTE_PGM_RSRC2:SCRATCH_EN: 0
; COMPUTE_PGM_RSRC2:USER_SGPR: 15
; COMPUTE_PGM_RSRC2:TRAP_HANDLER: 0
; COMPUTE_PGM_RSRC2:TGID_X_EN: 1
; COMPUTE_PGM_RSRC2:TGID_Y_EN: 0
; COMPUTE_PGM_RSRC2:TGID_Z_EN: 0
; COMPUTE_PGM_RSRC2:TIDIG_COMP_CNT: 0
	.section	.text._ZN9rocsparseL20bsrxmvn_17_32_kernelILj31Efli18rocsparse_bfloat16S1_fEEvT2_20rocsparse_direction_NS_24const_host_device_scalarIT0_EES2_PKS2_PKT1_SB_S8_PKT3_PKT4_S6_PT5_21rocsparse_index_base_b,"axG",@progbits,_ZN9rocsparseL20bsrxmvn_17_32_kernelILj31Efli18rocsparse_bfloat16S1_fEEvT2_20rocsparse_direction_NS_24const_host_device_scalarIT0_EES2_PKS2_PKT1_SB_S8_PKT3_PKT4_S6_PT5_21rocsparse_index_base_b,comdat
	.globl	_ZN9rocsparseL20bsrxmvn_17_32_kernelILj31Efli18rocsparse_bfloat16S1_fEEvT2_20rocsparse_direction_NS_24const_host_device_scalarIT0_EES2_PKS2_PKT1_SB_S8_PKT3_PKT4_S6_PT5_21rocsparse_index_base_b ; -- Begin function _ZN9rocsparseL20bsrxmvn_17_32_kernelILj31Efli18rocsparse_bfloat16S1_fEEvT2_20rocsparse_direction_NS_24const_host_device_scalarIT0_EES2_PKS2_PKT1_SB_S8_PKT3_PKT4_S6_PT5_21rocsparse_index_base_b
	.p2align	8
	.type	_ZN9rocsparseL20bsrxmvn_17_32_kernelILj31Efli18rocsparse_bfloat16S1_fEEvT2_20rocsparse_direction_NS_24const_host_device_scalarIT0_EES2_PKS2_PKT1_SB_S8_PKT3_PKT4_S6_PT5_21rocsparse_index_base_b,@function
_ZN9rocsparseL20bsrxmvn_17_32_kernelILj31Efli18rocsparse_bfloat16S1_fEEvT2_20rocsparse_direction_NS_24const_host_device_scalarIT0_EES2_PKS2_PKT1_SB_S8_PKT3_PKT4_S6_PT5_21rocsparse_index_base_b: ; @_ZN9rocsparseL20bsrxmvn_17_32_kernelILj31Efli18rocsparse_bfloat16S1_fEEvT2_20rocsparse_direction_NS_24const_host_device_scalarIT0_EES2_PKS2_PKT1_SB_S8_PKT3_PKT4_S6_PT5_21rocsparse_index_base_b
; %bb.0:
	s_mov_b32 s10, s15
	s_clause 0x2
	s_load_b64 s[14:15], s[0:1], 0x58
	s_load_b64 s[12:13], s[0:1], 0x8
	;; [unrolled: 1-line block ×3, first 2 shown]
	s_waitcnt lgkmcnt(0)
	s_bitcmp1_b32 s15, 0
	s_cselect_b32 s2, -1, 0
	s_delay_alu instid0(SALU_CYCLE_1)
	s_and_b32 vcc_lo, exec_lo, s2
	s_xor_b32 s2, s2, -1
	s_cbranch_vccnz .LBB366_2
; %bb.1:
	s_load_b32 s12, s[12:13], 0x0
.LBB366_2:
	s_and_not1_b32 vcc_lo, exec_lo, s2
	s_cbranch_vccnz .LBB366_4
; %bb.3:
	s_load_b32 s8, s[8:9], 0x0
.LBB366_4:
	s_waitcnt lgkmcnt(0)
	v_cmp_neq_f32_e64 s2, s12, 0
	v_cmp_neq_f32_e64 s3, s8, 1.0
	s_delay_alu instid0(VALU_DEP_1) | instskip(NEXT) | instid1(SALU_CYCLE_1)
	s_or_b32 s2, s2, s3
	s_and_not1_b32 vcc_lo, exec_lo, s2
	s_cbranch_vccnz .LBB366_42
; %bb.5:
	s_clause 0x1
	s_load_b128 s[4:7], s[0:1], 0x18
	s_load_b64 s[16:17], s[0:1], 0x28
	s_waitcnt lgkmcnt(0)
	s_cmp_eq_u64 s[4:5], 0
	s_cbranch_scc1 .LBB366_7
; %bb.6:
	s_ashr_i32 s11, s10, 31
	s_delay_alu instid0(SALU_CYCLE_1) | instskip(NEXT) | instid1(SALU_CYCLE_1)
	s_lshl_b64 s[2:3], s[10:11], 2
	s_add_u32 s2, s4, s2
	s_addc_u32 s3, s5, s3
	s_load_b32 s2, s[2:3], 0x0
	s_waitcnt lgkmcnt(0)
	s_sub_i32 s10, s2, s14
.LBB366_7:
	s_load_b32 s3, s[0:1], 0x4
	v_mul_u32_u24_e32 v1, 0x843, v0
	v_mov_b32_e32 v6, 0
	s_delay_alu instid0(VALU_DEP_2) | instskip(NEXT) | instid1(VALU_DEP_1)
	v_lshrrev_b32_e32 v1, 16, v1
	v_mul_lo_u16 v2, v1, 31
	s_delay_alu instid0(VALU_DEP_1)
	v_sub_nc_u16 v7, v0, v2
	s_waitcnt lgkmcnt(0)
	s_cmp_eq_u32 s3, 1
	s_cselect_b32 s2, -1, 0
	s_cmp_lg_u32 s3, 1
	s_cselect_b32 s3, -1, 0
	s_ashr_i32 s11, s10, 31
	s_delay_alu instid0(SALU_CYCLE_1) | instskip(NEXT) | instid1(SALU_CYCLE_1)
	s_lshl_b64 s[4:5], s[10:11], 3
	s_add_u32 s6, s6, s4
	s_addc_u32 s7, s7, s5
	s_add_u32 s9, s6, 8
	s_addc_u32 s11, s7, 0
	s_add_u32 s4, s16, s4
	s_addc_u32 s5, s17, s5
	s_cmp_eq_u64 s[16:17], 0
	s_cselect_b32 s5, s11, s5
	s_cselect_b32 s4, s9, s4
	s_load_b64 s[18:19], s[6:7], 0x0
	s_load_b64 s[6:7], s[4:5], 0x0
	;; [unrolled: 1-line block ×3, first 2 shown]
	s_waitcnt lgkmcnt(0)
	v_cmp_ge_i64_e64 s9, s[18:19], s[6:7]
	s_delay_alu instid0(VALU_DEP_1)
	s_and_b32 vcc_lo, exec_lo, s9
	s_cbranch_vccnz .LBB366_12
; %bb.8:
	v_and_b32_e32 v1, 0xffff, v1
	v_cmp_lt_u32_e32 vcc_lo, 0x3c0, v0
	s_clause 0x1
	s_load_b128 s[20:23], s[0:1], 0x30
	s_load_b64 s[0:1], s[0:1], 0x40
	s_sub_u32 s6, s6, s14
	s_subb_u32 s7, s7, 0
	v_subrev_nc_u32_e32 v3, 31, v1
	v_cndmask_b32_e64 v8, 0, 1, vcc_lo
	v_cmp_gt_u32_e32 vcc_lo, 0x3c1, v0
	v_and_b32_e32 v2, 0xffff, v7
	s_sub_u32 s16, s18, s14
	s_subb_u32 s17, s19, 0
	s_mul_hi_u32 s9, s16, 0x782
	v_cndmask_b32_e32 v1, v3, v1, vcc_lo
	s_mul_i32 s11, s17, 0x782
	v_lshlrev_b32_e32 v6, 1, v0
	s_add_i32 s9, s9, s11
	s_delay_alu instid0(VALU_DEP_2) | instskip(SKIP_1) | instid1(VALU_DEP_1)
	v_cndmask_b32_e64 v1, v2, v1, s2
	v_add_co_u32 v2, s2, s18, v8
	v_add_co_ci_u32_e64 v3, null, s19, 0, s2
	s_mul_i32 s2, s16, 0x782
	s_delay_alu instid0(VALU_DEP_2) | instskip(NEXT) | instid1(VALU_DEP_2)
	v_sub_co_u32 v2, vcc_lo, v2, s14
	v_subrev_co_ci_u32_e32 v3, vcc_lo, 0, v3, vcc_lo
	s_waitcnt lgkmcnt(0)
	s_add_u32 s2, s22, s2
	s_addc_u32 s9, s23, s9
	s_delay_alu instid0(VALU_DEP_1) | instskip(SKIP_1) | instid1(VALU_DEP_1)
	v_lshlrev_b64 v[4:5], 2, v[2:3]
	v_add_co_u32 v2, s2, s2, v6
	v_add_co_ci_u32_e64 v3, null, s9, 0, s2
	v_mov_b32_e32 v6, 0
	s_delay_alu instid0(VALU_DEP_4)
	v_add_co_u32 v4, vcc_lo, s20, v4
	v_add_co_ci_u32_e32 v5, vcc_lo, s21, v5, vcc_lo
	s_set_inst_prefetch_distance 0x1
	s_branch .LBB366_10
	.p2align	6
.LBB366_9:                              ;   in Loop: Header=BB366_10 Depth=1
	s_or_b32 exec_lo, exec_lo, s2
	s_add_u32 s16, s16, 1
	s_addc_u32 s17, s17, 0
	v_add_co_u32 v4, vcc_lo, v4, 4
	v_cmp_lt_i64_e64 s2, s[16:17], s[6:7]
	v_add_co_ci_u32_e32 v5, vcc_lo, 0, v5, vcc_lo
	s_delay_alu instid0(VALU_DEP_2)
	s_and_b32 vcc_lo, exec_lo, s2
	s_cbranch_vccz .LBB366_12
.LBB366_10:                             ; =>This Inner Loop Header: Depth=1
	v_add_co_u32 v9, s2, v8, s16
	s_delay_alu instid0(VALU_DEP_1) | instskip(SKIP_1) | instid1(VALU_DEP_1)
	v_add_co_ci_u32_e64 v10, null, 0, s17, s2
	s_mov_b32 s2, exec_lo
	v_cmpx_gt_i64_e64 s[6:7], v[9:10]
	s_cbranch_execz .LBB366_9
; %bb.11:                               ;   in Loop: Header=BB366_10 Depth=1
	global_load_b32 v9, v[4:5], off
	s_waitcnt vmcnt(0)
	v_subrev_nc_u32_e32 v11, s14, v9
	s_delay_alu instid0(VALU_DEP_1) | instskip(NEXT) | instid1(VALU_DEP_1)
	v_mad_u64_u32 v[9:10], null, v11, 31, v[1:2]
	v_ashrrev_i32_e32 v10, 31, v9
	s_delay_alu instid0(VALU_DEP_1) | instskip(NEXT) | instid1(VALU_DEP_1)
	v_lshlrev_b64 v[9:10], 1, v[9:10]
	v_add_co_u32 v9, vcc_lo, s0, v9
	s_delay_alu instid0(VALU_DEP_2)
	v_add_co_ci_u32_e32 v10, vcc_lo, s1, v10, vcc_lo
	global_load_u16 v11, v[2:3], off
	global_load_u16 v9, v[9:10], off
	v_add_co_u32 v2, vcc_lo, 0x782, v2
	v_add_co_ci_u32_e32 v3, vcc_lo, 0, v3, vcc_lo
	s_waitcnt vmcnt(1)
	v_lshlrev_b32_e32 v10, 16, v11
	s_waitcnt vmcnt(0)
	v_lshlrev_b32_e32 v9, 16, v9
	s_delay_alu instid0(VALU_DEP_1)
	v_fmac_f32_e32 v6, v10, v9
	s_branch .LBB366_9
.LBB366_12:
	s_set_inst_prefetch_distance 0x2
	v_lshlrev_b32_e32 v1, 2, v0
	s_and_b32 vcc_lo, exec_lo, s3
	ds_store_b32 v1, v6
	s_waitcnt lgkmcnt(0)
	s_barrier
	buffer_gl0_inv
	s_cbranch_vccz .LBB366_24
; %bb.13:
	s_mov_b32 s0, exec_lo
	v_cmpx_gt_u16_e32 15, v7
	s_cbranch_execz .LBB366_15
; %bb.14:
	ds_load_2addr_b32 v[2:3], v1 offset1:16
	s_waitcnt lgkmcnt(0)
	v_add_f32_e32 v2, v3, v2
	ds_store_b32 v1, v2
.LBB366_15:
	s_or_b32 exec_lo, exec_lo, s0
	s_delay_alu instid0(SALU_CYCLE_1)
	s_mov_b32 s0, exec_lo
	s_waitcnt lgkmcnt(0)
	s_barrier
	buffer_gl0_inv
	v_cmpx_gt_u16_e32 8, v7
	s_cbranch_execz .LBB366_17
; %bb.16:
	ds_load_2addr_b32 v[2:3], v1 offset1:8
	s_waitcnt lgkmcnt(0)
	v_add_f32_e32 v2, v3, v2
	ds_store_b32 v1, v2
.LBB366_17:
	s_or_b32 exec_lo, exec_lo, s0
	s_delay_alu instid0(SALU_CYCLE_1)
	s_mov_b32 s0, exec_lo
	s_waitcnt lgkmcnt(0)
	s_barrier
	buffer_gl0_inv
	;; [unrolled: 14-line block ×3, first 2 shown]
	v_cmpx_gt_u16_e32 2, v7
	s_cbranch_execz .LBB366_21
; %bb.20:
	ds_load_2addr_b32 v[2:3], v1 offset1:2
	s_waitcnt lgkmcnt(0)
	v_add_f32_e32 v2, v3, v2
	ds_store_b32 v1, v2
.LBB366_21:
	s_or_b32 exec_lo, exec_lo, s0
	s_mov_b32 s1, 0
	s_mov_b32 s0, 0
	s_mov_b32 s2, exec_lo
	s_waitcnt lgkmcnt(0)
	s_barrier
	buffer_gl0_inv
                                        ; implicit-def: $vgpr2
                                        ; implicit-def: $vgpr3
	v_cmpx_gt_u32_e32 31, v0
	s_xor_b32 s2, exec_lo, s2
; %bb.22:
	v_mad_u32_u24 v2, v0, 31, 1
	v_mad_u32_u24 v3, 0x78, v0, v1
	s_mov_b32 s0, exec_lo
; %bb.23:
	s_or_b32 exec_lo, exec_lo, s2
	s_delay_alu instid0(SALU_CYCLE_1)
	s_and_b32 vcc_lo, exec_lo, s1
	s_cbranch_vccnz .LBB366_25
	s_branch .LBB366_36
.LBB366_24:
	s_mov_b32 s0, 0
                                        ; implicit-def: $vgpr2
                                        ; implicit-def: $vgpr3
	s_cbranch_execz .LBB366_36
.LBB366_25:
	s_mov_b32 s1, exec_lo
	v_cmpx_gt_u32_e32 0x1d1, v0
	s_cbranch_execz .LBB366_27
; %bb.26:
	ds_load_b32 v2, v1 offset:1984
	ds_load_b32 v3, v1
	s_waitcnt lgkmcnt(0)
	v_add_f32_e32 v2, v2, v3
	ds_store_b32 v1, v2
.LBB366_27:
	s_or_b32 exec_lo, exec_lo, s1
	s_delay_alu instid0(SALU_CYCLE_1)
	s_mov_b32 s1, exec_lo
	s_waitcnt lgkmcnt(0)
	s_barrier
	buffer_gl0_inv
	v_cmpx_gt_u32_e32 0xf8, v0
	s_cbranch_execz .LBB366_29
; %bb.28:
	ds_load_2addr_b32 v[2:3], v1 offset1:248
	s_waitcnt lgkmcnt(0)
	v_add_f32_e32 v2, v3, v2
	ds_store_b32 v1, v2
.LBB366_29:
	s_or_b32 exec_lo, exec_lo, s1
	s_delay_alu instid0(SALU_CYCLE_1)
	s_mov_b32 s1, exec_lo
	s_waitcnt lgkmcnt(0)
	s_barrier
	buffer_gl0_inv
	v_cmpx_gt_u32_e32 0x7c, v0
	s_cbranch_execz .LBB366_31
; %bb.30:
	ds_load_2addr_b32 v[2:3], v1 offset1:124
	s_waitcnt lgkmcnt(0)
	v_add_f32_e32 v2, v3, v2
	ds_store_b32 v1, v2
.LBB366_31:
	;; [unrolled: 14-line block ×3, first 2 shown]
	s_or_b32 exec_lo, exec_lo, s1
	s_delay_alu instid0(SALU_CYCLE_1)
	s_mov_b32 s1, exec_lo
	s_waitcnt lgkmcnt(0)
	buffer_gl0_inv
                                        ; implicit-def: $vgpr2
	v_cmpx_gt_u32_e32 31, v0
; %bb.34:
	v_add_nc_u32_e32 v2, 31, v0
	s_or_b32 s0, s0, exec_lo
                                        ; implicit-def: $vgpr6
; %bb.35:
	s_or_b32 exec_lo, exec_lo, s1
	v_mov_b32_e32 v3, v1
.LBB366_36:
	s_and_saveexec_b32 s1, s0
	s_cbranch_execz .LBB366_38
; %bb.37:
	v_lshlrev_b32_e32 v1, 2, v2
	ds_load_b32 v2, v3
	ds_load_b32 v1, v1
	s_waitcnt lgkmcnt(0)
	v_add_f32_e32 v6, v2, v1
.LBB366_38:
	s_or_b32 exec_lo, exec_lo, s1
	s_delay_alu instid0(SALU_CYCLE_1)
	s_mov_b32 s0, exec_lo
	v_cmpx_gt_u32_e32 31, v0
	s_cbranch_execz .LBB366_42
; %bb.39:
	v_cmp_eq_f32_e64 s0, s8, 0
	v_mul_f32_e32 v1, s12, v6
	s_delay_alu instid0(VALU_DEP_2)
	s_and_b32 vcc_lo, exec_lo, s0
	s_mov_b32 s0, 0
	s_cbranch_vccz .LBB366_43
; %bb.40:
	s_delay_alu instid0(VALU_DEP_1) | instskip(SKIP_1) | instid1(VALU_DEP_1)
	v_mad_u64_u32 v[2:3], null, s10, 31, v[0:1]
	v_mov_b32_e32 v3, 0
	v_lshlrev_b64 v[2:3], 2, v[2:3]
	s_delay_alu instid0(VALU_DEP_1) | instskip(NEXT) | instid1(VALU_DEP_2)
	v_add_co_u32 v2, vcc_lo, s4, v2
	v_add_co_ci_u32_e32 v3, vcc_lo, s5, v3, vcc_lo
	global_store_b32 v[2:3], v1, off
	s_and_not1_b32 vcc_lo, exec_lo, s0
	s_cbranch_vccnz .LBB366_42
.LBB366_41:
	v_mad_u64_u32 v[2:3], null, s10, 31, v[0:1]
	v_mov_b32_e32 v3, 0
	s_delay_alu instid0(VALU_DEP_1) | instskip(NEXT) | instid1(VALU_DEP_1)
	v_lshlrev_b64 v[2:3], 2, v[2:3]
	v_add_co_u32 v2, vcc_lo, s4, v2
	s_delay_alu instid0(VALU_DEP_2)
	v_add_co_ci_u32_e32 v3, vcc_lo, s5, v3, vcc_lo
	global_load_b32 v0, v[2:3], off
	s_waitcnt vmcnt(0)
	v_fmac_f32_e32 v1, s8, v0
	global_store_b32 v[2:3], v1, off
.LBB366_42:
	s_nop 0
	s_sendmsg sendmsg(MSG_DEALLOC_VGPRS)
	s_endpgm
.LBB366_43:
	s_branch .LBB366_41
	.section	.rodata,"a",@progbits
	.p2align	6, 0x0
	.amdhsa_kernel _ZN9rocsparseL20bsrxmvn_17_32_kernelILj31Efli18rocsparse_bfloat16S1_fEEvT2_20rocsparse_direction_NS_24const_host_device_scalarIT0_EES2_PKS2_PKT1_SB_S8_PKT3_PKT4_S6_PT5_21rocsparse_index_base_b
		.amdhsa_group_segment_fixed_size 3844
		.amdhsa_private_segment_fixed_size 0
		.amdhsa_kernarg_size 96
		.amdhsa_user_sgpr_count 15
		.amdhsa_user_sgpr_dispatch_ptr 0
		.amdhsa_user_sgpr_queue_ptr 0
		.amdhsa_user_sgpr_kernarg_segment_ptr 1
		.amdhsa_user_sgpr_dispatch_id 0
		.amdhsa_user_sgpr_private_segment_size 0
		.amdhsa_wavefront_size32 1
		.amdhsa_uses_dynamic_stack 0
		.amdhsa_enable_private_segment 0
		.amdhsa_system_sgpr_workgroup_id_x 1
		.amdhsa_system_sgpr_workgroup_id_y 0
		.amdhsa_system_sgpr_workgroup_id_z 0
		.amdhsa_system_sgpr_workgroup_info 0
		.amdhsa_system_vgpr_workitem_id 0
		.amdhsa_next_free_vgpr 12
		.amdhsa_next_free_sgpr 24
		.amdhsa_reserve_vcc 1
		.amdhsa_float_round_mode_32 0
		.amdhsa_float_round_mode_16_64 0
		.amdhsa_float_denorm_mode_32 3
		.amdhsa_float_denorm_mode_16_64 3
		.amdhsa_dx10_clamp 1
		.amdhsa_ieee_mode 1
		.amdhsa_fp16_overflow 0
		.amdhsa_workgroup_processor_mode 1
		.amdhsa_memory_ordered 1
		.amdhsa_forward_progress 0
		.amdhsa_shared_vgpr_count 0
		.amdhsa_exception_fp_ieee_invalid_op 0
		.amdhsa_exception_fp_denorm_src 0
		.amdhsa_exception_fp_ieee_div_zero 0
		.amdhsa_exception_fp_ieee_overflow 0
		.amdhsa_exception_fp_ieee_underflow 0
		.amdhsa_exception_fp_ieee_inexact 0
		.amdhsa_exception_int_div_zero 0
	.end_amdhsa_kernel
	.section	.text._ZN9rocsparseL20bsrxmvn_17_32_kernelILj31Efli18rocsparse_bfloat16S1_fEEvT2_20rocsparse_direction_NS_24const_host_device_scalarIT0_EES2_PKS2_PKT1_SB_S8_PKT3_PKT4_S6_PT5_21rocsparse_index_base_b,"axG",@progbits,_ZN9rocsparseL20bsrxmvn_17_32_kernelILj31Efli18rocsparse_bfloat16S1_fEEvT2_20rocsparse_direction_NS_24const_host_device_scalarIT0_EES2_PKS2_PKT1_SB_S8_PKT3_PKT4_S6_PT5_21rocsparse_index_base_b,comdat
.Lfunc_end366:
	.size	_ZN9rocsparseL20bsrxmvn_17_32_kernelILj31Efli18rocsparse_bfloat16S1_fEEvT2_20rocsparse_direction_NS_24const_host_device_scalarIT0_EES2_PKS2_PKT1_SB_S8_PKT3_PKT4_S6_PT5_21rocsparse_index_base_b, .Lfunc_end366-_ZN9rocsparseL20bsrxmvn_17_32_kernelILj31Efli18rocsparse_bfloat16S1_fEEvT2_20rocsparse_direction_NS_24const_host_device_scalarIT0_EES2_PKS2_PKT1_SB_S8_PKT3_PKT4_S6_PT5_21rocsparse_index_base_b
                                        ; -- End function
	.section	.AMDGPU.csdata,"",@progbits
; Kernel info:
; codeLenInByte = 1628
; NumSgprs: 26
; NumVgprs: 12
; ScratchSize: 0
; MemoryBound: 0
; FloatMode: 240
; IeeeMode: 1
; LDSByteSize: 3844 bytes/workgroup (compile time only)
; SGPRBlocks: 3
; VGPRBlocks: 1
; NumSGPRsForWavesPerEU: 26
; NumVGPRsForWavesPerEU: 12
; Occupancy: 16
; WaveLimiterHint : 1
; COMPUTE_PGM_RSRC2:SCRATCH_EN: 0
; COMPUTE_PGM_RSRC2:USER_SGPR: 15
; COMPUTE_PGM_RSRC2:TRAP_HANDLER: 0
; COMPUTE_PGM_RSRC2:TGID_X_EN: 1
; COMPUTE_PGM_RSRC2:TGID_Y_EN: 0
; COMPUTE_PGM_RSRC2:TGID_Z_EN: 0
; COMPUTE_PGM_RSRC2:TIDIG_COMP_CNT: 0
	.section	.text._ZN9rocsparseL20bsrxmvn_17_32_kernelILj32Efli18rocsparse_bfloat16S1_fEEvT2_20rocsparse_direction_NS_24const_host_device_scalarIT0_EES2_PKS2_PKT1_SB_S8_PKT3_PKT4_S6_PT5_21rocsparse_index_base_b,"axG",@progbits,_ZN9rocsparseL20bsrxmvn_17_32_kernelILj32Efli18rocsparse_bfloat16S1_fEEvT2_20rocsparse_direction_NS_24const_host_device_scalarIT0_EES2_PKS2_PKT1_SB_S8_PKT3_PKT4_S6_PT5_21rocsparse_index_base_b,comdat
	.globl	_ZN9rocsparseL20bsrxmvn_17_32_kernelILj32Efli18rocsparse_bfloat16S1_fEEvT2_20rocsparse_direction_NS_24const_host_device_scalarIT0_EES2_PKS2_PKT1_SB_S8_PKT3_PKT4_S6_PT5_21rocsparse_index_base_b ; -- Begin function _ZN9rocsparseL20bsrxmvn_17_32_kernelILj32Efli18rocsparse_bfloat16S1_fEEvT2_20rocsparse_direction_NS_24const_host_device_scalarIT0_EES2_PKS2_PKT1_SB_S8_PKT3_PKT4_S6_PT5_21rocsparse_index_base_b
	.p2align	8
	.type	_ZN9rocsparseL20bsrxmvn_17_32_kernelILj32Efli18rocsparse_bfloat16S1_fEEvT2_20rocsparse_direction_NS_24const_host_device_scalarIT0_EES2_PKS2_PKT1_SB_S8_PKT3_PKT4_S6_PT5_21rocsparse_index_base_b,@function
_ZN9rocsparseL20bsrxmvn_17_32_kernelILj32Efli18rocsparse_bfloat16S1_fEEvT2_20rocsparse_direction_NS_24const_host_device_scalarIT0_EES2_PKS2_PKT1_SB_S8_PKT3_PKT4_S6_PT5_21rocsparse_index_base_b: ; @_ZN9rocsparseL20bsrxmvn_17_32_kernelILj32Efli18rocsparse_bfloat16S1_fEEvT2_20rocsparse_direction_NS_24const_host_device_scalarIT0_EES2_PKS2_PKT1_SB_S8_PKT3_PKT4_S6_PT5_21rocsparse_index_base_b
; %bb.0:
	s_mov_b32 s10, s15
	s_clause 0x2
	s_load_b64 s[14:15], s[0:1], 0x58
	s_load_b64 s[12:13], s[0:1], 0x8
	;; [unrolled: 1-line block ×3, first 2 shown]
	s_waitcnt lgkmcnt(0)
	s_bitcmp1_b32 s15, 0
	s_cselect_b32 s2, -1, 0
	s_delay_alu instid0(SALU_CYCLE_1)
	s_and_b32 vcc_lo, exec_lo, s2
	s_xor_b32 s2, s2, -1
	s_cbranch_vccnz .LBB367_2
; %bb.1:
	s_load_b32 s12, s[12:13], 0x0
.LBB367_2:
	s_and_not1_b32 vcc_lo, exec_lo, s2
	s_cbranch_vccnz .LBB367_4
; %bb.3:
	s_load_b32 s8, s[8:9], 0x0
.LBB367_4:
	s_waitcnt lgkmcnt(0)
	v_cmp_neq_f32_e64 s2, s12, 0
	v_cmp_neq_f32_e64 s3, s8, 1.0
	s_delay_alu instid0(VALU_DEP_1) | instskip(NEXT) | instid1(SALU_CYCLE_1)
	s_or_b32 s2, s2, s3
	s_and_not1_b32 vcc_lo, exec_lo, s2
	s_cbranch_vccnz .LBB367_40
; %bb.5:
	s_clause 0x1
	s_load_b128 s[4:7], s[0:1], 0x18
	s_load_b64 s[16:17], s[0:1], 0x28
	s_waitcnt lgkmcnt(0)
	s_cmp_eq_u64 s[4:5], 0
	s_cbranch_scc1 .LBB367_7
; %bb.6:
	s_ashr_i32 s11, s10, 31
	s_delay_alu instid0(SALU_CYCLE_1) | instskip(NEXT) | instid1(SALU_CYCLE_1)
	s_lshl_b64 s[2:3], s[10:11], 2
	s_add_u32 s2, s4, s2
	s_addc_u32 s3, s5, s3
	s_load_b32 s2, s[2:3], 0x0
	s_waitcnt lgkmcnt(0)
	s_sub_i32 s10, s2, s14
.LBB367_7:
	s_load_b32 s3, s[0:1], 0x4
	v_dual_mov_b32 v3, 0 :: v_dual_and_b32 v4, 31, v0
	s_waitcnt lgkmcnt(0)
	s_cmp_eq_u32 s3, 1
	s_cselect_b32 s2, -1, 0
	s_cmp_lg_u32 s3, 1
	s_cselect_b32 s9, -1, 0
	s_ashr_i32 s11, s10, 31
	s_delay_alu instid0(SALU_CYCLE_1) | instskip(NEXT) | instid1(SALU_CYCLE_1)
	s_lshl_b64 s[4:5], s[10:11], 3
	s_add_u32 s6, s6, s4
	s_addc_u32 s7, s7, s5
	s_add_u32 s3, s6, 8
	s_addc_u32 s11, s7, 0
	;; [unrolled: 2-line block ×3, first 2 shown]
	s_cmp_eq_u64 s[16:17], 0
	s_cselect_b32 s5, s11, s5
	s_cselect_b32 s4, s3, s4
	s_load_b64 s[18:19], s[6:7], 0x0
	s_load_b64 s[6:7], s[4:5], 0x0
	;; [unrolled: 1-line block ×3, first 2 shown]
	s_waitcnt lgkmcnt(0)
	v_cmp_ge_i64_e64 s3, s[18:19], s[6:7]
	s_delay_alu instid0(VALU_DEP_1)
	s_and_b32 vcc_lo, exec_lo, s3
	s_cbranch_vccnz .LBB367_10
; %bb.8:
	s_clause 0x1
	s_load_b128 s[20:23], s[0:1], 0x30
	s_load_b64 s[0:1], s[0:1], 0x40
	s_sub_u32 s6, s6, s14
	s_subb_u32 s7, s7, 0
	s_sub_u32 s16, s18, s14
	s_subb_u32 s17, s19, 0
	v_lshrrev_b32_e32 v1, 5, v0
	s_lshl_b64 s[24:25], s[16:17], 11
	s_mov_b32 s15, 0
	v_lshl_or_b32 v2, v0, 1, s24
	v_mov_b32_e32 v3, s25
	s_lshl_b64 s[18:19], s[18:19], 2
	s_lshl_b64 s[26:27], s[14:15], 2
	v_cndmask_b32_e64 v5, v4, v1, s2
	s_sub_u32 s2, s18, s26
	s_subb_u32 s3, s19, s27
	s_waitcnt lgkmcnt(0)
	v_add_co_u32 v1, vcc_lo, s22, v2
	v_add_co_ci_u32_e32 v2, vcc_lo, s23, v3, vcc_lo
	v_mov_b32_e32 v3, 0
	s_add_u32 s2, s20, s2
	s_addc_u32 s3, s21, s3
	.p2align	6
.LBB367_9:                              ; =>This Inner Loop Header: Depth=1
	s_load_b32 s11, s[2:3], 0x0
	s_waitcnt lgkmcnt(0)
	s_sub_i32 s11, s11, s14
	s_add_u32 s16, s16, 1
	v_lshl_or_b32 v6, s11, 5, v5
	s_addc_u32 s17, s17, 0
	s_add_u32 s2, s2, 4
	v_cmp_lt_i64_e64 s11, s[16:17], s[6:7]
	s_addc_u32 s3, s3, 0
	v_ashrrev_i32_e32 v7, 31, v6
	s_delay_alu instid0(VALU_DEP_1) | instskip(NEXT) | instid1(VALU_DEP_1)
	v_lshlrev_b64 v[6:7], 1, v[6:7]
	v_add_co_u32 v6, vcc_lo, s0, v6
	s_delay_alu instid0(VALU_DEP_2)
	v_add_co_ci_u32_e32 v7, vcc_lo, s1, v7, vcc_lo
	global_load_u16 v8, v[1:2], off
	global_load_u16 v6, v[6:7], off
	v_add_co_u32 v1, vcc_lo, 0x800, v1
	v_add_co_ci_u32_e32 v2, vcc_lo, 0, v2, vcc_lo
	s_and_b32 vcc_lo, exec_lo, s11
	s_waitcnt vmcnt(1)
	v_lshlrev_b32_e32 v7, 16, v8
	s_waitcnt vmcnt(0)
	v_lshlrev_b32_e32 v6, 16, v6
	s_delay_alu instid0(VALU_DEP_1)
	v_fmac_f32_e32 v3, v7, v6
	s_cbranch_vccnz .LBB367_9
.LBB367_10:
	v_lshlrev_b32_e32 v1, 2, v0
	s_and_b32 vcc_lo, exec_lo, s9
	ds_store_b32 v1, v3
	s_waitcnt lgkmcnt(0)
	s_barrier
	buffer_gl0_inv
	s_cbranch_vccz .LBB367_22
; %bb.11:
	s_mov_b32 s0, exec_lo
	v_cmpx_gt_u32_e32 16, v4
	s_cbranch_execz .LBB367_13
; %bb.12:
	ds_load_2addr_b32 v[5:6], v1 offset1:16
	s_waitcnt lgkmcnt(0)
	v_add_f32_e32 v2, v6, v5
	ds_store_b32 v1, v2
.LBB367_13:
	s_or_b32 exec_lo, exec_lo, s0
	s_delay_alu instid0(SALU_CYCLE_1)
	s_mov_b32 s0, exec_lo
	s_waitcnt lgkmcnt(0)
	s_barrier
	buffer_gl0_inv
	v_cmpx_gt_u32_e32 8, v4
	s_cbranch_execz .LBB367_15
; %bb.14:
	ds_load_2addr_b32 v[5:6], v1 offset1:8
	s_waitcnt lgkmcnt(0)
	v_add_f32_e32 v2, v6, v5
	ds_store_b32 v1, v2
.LBB367_15:
	s_or_b32 exec_lo, exec_lo, s0
	s_delay_alu instid0(SALU_CYCLE_1)
	s_mov_b32 s0, exec_lo
	s_waitcnt lgkmcnt(0)
	s_barrier
	buffer_gl0_inv
	;; [unrolled: 14-line block ×3, first 2 shown]
	v_cmpx_gt_u32_e32 2, v4
	s_cbranch_execz .LBB367_19
; %bb.18:
	ds_load_2addr_b32 v[4:5], v1 offset1:2
	s_waitcnt lgkmcnt(0)
	v_add_f32_e32 v2, v5, v4
	ds_store_b32 v1, v2
.LBB367_19:
	s_or_b32 exec_lo, exec_lo, s0
	s_mov_b32 s1, 0
	s_mov_b32 s0, 0
	s_mov_b32 s2, exec_lo
	s_waitcnt lgkmcnt(0)
	s_barrier
	buffer_gl0_inv
                                        ; implicit-def: $vgpr2
                                        ; implicit-def: $vgpr4
	v_cmpx_gt_u32_e32 32, v0
	s_xor_b32 s2, exec_lo, s2
; %bb.20:
	v_lshl_or_b32 v2, v0, 5, 1
	v_mad_u32_u24 v4, 0x7c, v0, v1
	s_mov_b32 s0, exec_lo
; %bb.21:
	s_or_b32 exec_lo, exec_lo, s2
	s_delay_alu instid0(SALU_CYCLE_1)
	s_and_b32 vcc_lo, exec_lo, s1
	s_cbranch_vccnz .LBB367_23
	s_branch .LBB367_34
.LBB367_22:
	s_mov_b32 s0, 0
                                        ; implicit-def: $vgpr2
                                        ; implicit-def: $vgpr4
	s_cbranch_execz .LBB367_34
.LBB367_23:
	s_mov_b32 s1, exec_lo
	v_cmpx_gt_u32_e32 0x200, v0
	s_cbranch_execz .LBB367_25
; %bb.24:
	ds_load_2addr_stride64_b32 v[4:5], v1 offset1:8
	s_waitcnt lgkmcnt(0)
	v_add_f32_e32 v2, v5, v4
	ds_store_b32 v1, v2
.LBB367_25:
	s_or_b32 exec_lo, exec_lo, s1
	s_delay_alu instid0(SALU_CYCLE_1)
	s_mov_b32 s1, exec_lo
	s_waitcnt lgkmcnt(0)
	s_barrier
	buffer_gl0_inv
	v_cmpx_gt_u32_e32 0x100, v0
	s_cbranch_execz .LBB367_27
; %bb.26:
	ds_load_2addr_stride64_b32 v[4:5], v1 offset1:4
	s_waitcnt lgkmcnt(0)
	v_add_f32_e32 v2, v5, v4
	ds_store_b32 v1, v2
.LBB367_27:
	s_or_b32 exec_lo, exec_lo, s1
	s_delay_alu instid0(SALU_CYCLE_1)
	s_mov_b32 s1, exec_lo
	s_waitcnt lgkmcnt(0)
	s_barrier
	buffer_gl0_inv
	;; [unrolled: 14-line block ×3, first 2 shown]
	v_cmpx_gt_u32_e32 64, v0
	s_cbranch_execz .LBB367_31
; %bb.30:
	ds_load_2addr_stride64_b32 v[4:5], v1 offset1:1
	s_waitcnt lgkmcnt(0)
	v_add_f32_e32 v2, v5, v4
	ds_store_b32 v1, v2
.LBB367_31:
	s_or_b32 exec_lo, exec_lo, s1
	s_delay_alu instid0(SALU_CYCLE_1)
	s_mov_b32 s1, exec_lo
	s_waitcnt lgkmcnt(0)
	buffer_gl0_inv
                                        ; implicit-def: $vgpr2
	v_cmpx_gt_u32_e32 32, v0
; %bb.32:
	v_or_b32_e32 v2, 32, v0
	s_or_b32 s0, s0, exec_lo
                                        ; implicit-def: $vgpr3
; %bb.33:
	s_or_b32 exec_lo, exec_lo, s1
	v_mov_b32_e32 v4, v1
.LBB367_34:
	s_and_saveexec_b32 s1, s0
	s_cbranch_execz .LBB367_36
; %bb.35:
	v_lshlrev_b32_e32 v1, 2, v2
	ds_load_b32 v2, v4
	ds_load_b32 v1, v1
	s_waitcnt lgkmcnt(0)
	v_add_f32_e32 v3, v2, v1
.LBB367_36:
	s_or_b32 exec_lo, exec_lo, s1
	s_delay_alu instid0(SALU_CYCLE_1)
	s_mov_b32 s0, exec_lo
	v_cmpx_gt_u32_e32 32, v0
	s_cbranch_execz .LBB367_40
; %bb.37:
	v_cmp_eq_f32_e64 s0, s8, 0
	v_mul_f32_e32 v2, s12, v3
	v_lshl_or_b32 v0, s10, 5, v0
	s_delay_alu instid0(VALU_DEP_3)
	s_and_b32 vcc_lo, exec_lo, s0
	s_mov_b32 s0, 0
	s_cbranch_vccz .LBB367_41
; %bb.38:
	v_mov_b32_e32 v1, 0
	s_delay_alu instid0(VALU_DEP_1) | instskip(NEXT) | instid1(VALU_DEP_1)
	v_lshlrev_b64 v[3:4], 2, v[0:1]
	v_add_co_u32 v3, vcc_lo, s4, v3
	s_delay_alu instid0(VALU_DEP_2)
	v_add_co_ci_u32_e32 v4, vcc_lo, s5, v4, vcc_lo
	global_store_b32 v[3:4], v2, off
	s_and_not1_b32 vcc_lo, exec_lo, s0
	s_cbranch_vccnz .LBB367_40
.LBB367_39:
	v_mov_b32_e32 v1, 0
	s_delay_alu instid0(VALU_DEP_1) | instskip(NEXT) | instid1(VALU_DEP_1)
	v_lshlrev_b64 v[0:1], 2, v[0:1]
	v_add_co_u32 v0, vcc_lo, s4, v0
	s_delay_alu instid0(VALU_DEP_2)
	v_add_co_ci_u32_e32 v1, vcc_lo, s5, v1, vcc_lo
	global_load_b32 v3, v[0:1], off
	s_waitcnt vmcnt(0)
	v_fmac_f32_e32 v2, s8, v3
	global_store_b32 v[0:1], v2, off
.LBB367_40:
	s_nop 0
	s_sendmsg sendmsg(MSG_DEALLOC_VGPRS)
	s_endpgm
.LBB367_41:
	s_branch .LBB367_39
	.section	.rodata,"a",@progbits
	.p2align	6, 0x0
	.amdhsa_kernel _ZN9rocsparseL20bsrxmvn_17_32_kernelILj32Efli18rocsparse_bfloat16S1_fEEvT2_20rocsparse_direction_NS_24const_host_device_scalarIT0_EES2_PKS2_PKT1_SB_S8_PKT3_PKT4_S6_PT5_21rocsparse_index_base_b
		.amdhsa_group_segment_fixed_size 4096
		.amdhsa_private_segment_fixed_size 0
		.amdhsa_kernarg_size 96
		.amdhsa_user_sgpr_count 15
		.amdhsa_user_sgpr_dispatch_ptr 0
		.amdhsa_user_sgpr_queue_ptr 0
		.amdhsa_user_sgpr_kernarg_segment_ptr 1
		.amdhsa_user_sgpr_dispatch_id 0
		.amdhsa_user_sgpr_private_segment_size 0
		.amdhsa_wavefront_size32 1
		.amdhsa_uses_dynamic_stack 0
		.amdhsa_enable_private_segment 0
		.amdhsa_system_sgpr_workgroup_id_x 1
		.amdhsa_system_sgpr_workgroup_id_y 0
		.amdhsa_system_sgpr_workgroup_id_z 0
		.amdhsa_system_sgpr_workgroup_info 0
		.amdhsa_system_vgpr_workitem_id 0
		.amdhsa_next_free_vgpr 9
		.amdhsa_next_free_sgpr 28
		.amdhsa_reserve_vcc 1
		.amdhsa_float_round_mode_32 0
		.amdhsa_float_round_mode_16_64 0
		.amdhsa_float_denorm_mode_32 3
		.amdhsa_float_denorm_mode_16_64 3
		.amdhsa_dx10_clamp 1
		.amdhsa_ieee_mode 1
		.amdhsa_fp16_overflow 0
		.amdhsa_workgroup_processor_mode 1
		.amdhsa_memory_ordered 1
		.amdhsa_forward_progress 0
		.amdhsa_shared_vgpr_count 0
		.amdhsa_exception_fp_ieee_invalid_op 0
		.amdhsa_exception_fp_denorm_src 0
		.amdhsa_exception_fp_ieee_div_zero 0
		.amdhsa_exception_fp_ieee_overflow 0
		.amdhsa_exception_fp_ieee_underflow 0
		.amdhsa_exception_fp_ieee_inexact 0
		.amdhsa_exception_int_div_zero 0
	.end_amdhsa_kernel
	.section	.text._ZN9rocsparseL20bsrxmvn_17_32_kernelILj32Efli18rocsparse_bfloat16S1_fEEvT2_20rocsparse_direction_NS_24const_host_device_scalarIT0_EES2_PKS2_PKT1_SB_S8_PKT3_PKT4_S6_PT5_21rocsparse_index_base_b,"axG",@progbits,_ZN9rocsparseL20bsrxmvn_17_32_kernelILj32Efli18rocsparse_bfloat16S1_fEEvT2_20rocsparse_direction_NS_24const_host_device_scalarIT0_EES2_PKS2_PKT1_SB_S8_PKT3_PKT4_S6_PT5_21rocsparse_index_base_b,comdat
.Lfunc_end367:
	.size	_ZN9rocsparseL20bsrxmvn_17_32_kernelILj32Efli18rocsparse_bfloat16S1_fEEvT2_20rocsparse_direction_NS_24const_host_device_scalarIT0_EES2_PKS2_PKT1_SB_S8_PKT3_PKT4_S6_PT5_21rocsparse_index_base_b, .Lfunc_end367-_ZN9rocsparseL20bsrxmvn_17_32_kernelILj32Efli18rocsparse_bfloat16S1_fEEvT2_20rocsparse_direction_NS_24const_host_device_scalarIT0_EES2_PKS2_PKT1_SB_S8_PKT3_PKT4_S6_PT5_21rocsparse_index_base_b
                                        ; -- End function
	.section	.AMDGPU.csdata,"",@progbits
; Kernel info:
; codeLenInByte = 1404
; NumSgprs: 30
; NumVgprs: 9
; ScratchSize: 0
; MemoryBound: 0
; FloatMode: 240
; IeeeMode: 1
; LDSByteSize: 4096 bytes/workgroup (compile time only)
; SGPRBlocks: 3
; VGPRBlocks: 1
; NumSGPRsForWavesPerEU: 30
; NumVGPRsForWavesPerEU: 9
; Occupancy: 16
; WaveLimiterHint : 1
; COMPUTE_PGM_RSRC2:SCRATCH_EN: 0
; COMPUTE_PGM_RSRC2:USER_SGPR: 15
; COMPUTE_PGM_RSRC2:TRAP_HANDLER: 0
; COMPUTE_PGM_RSRC2:TGID_X_EN: 1
; COMPUTE_PGM_RSRC2:TGID_Y_EN: 0
; COMPUTE_PGM_RSRC2:TGID_Z_EN: 0
; COMPUTE_PGM_RSRC2:TIDIG_COMP_CNT: 0
	.section	.text._ZN9rocsparseL20bsrxmvn_17_32_kernelILj17Efll18rocsparse_bfloat16S1_fEEvT2_20rocsparse_direction_NS_24const_host_device_scalarIT0_EES2_PKS2_PKT1_SB_S8_PKT3_PKT4_S6_PT5_21rocsparse_index_base_b,"axG",@progbits,_ZN9rocsparseL20bsrxmvn_17_32_kernelILj17Efll18rocsparse_bfloat16S1_fEEvT2_20rocsparse_direction_NS_24const_host_device_scalarIT0_EES2_PKS2_PKT1_SB_S8_PKT3_PKT4_S6_PT5_21rocsparse_index_base_b,comdat
	.globl	_ZN9rocsparseL20bsrxmvn_17_32_kernelILj17Efll18rocsparse_bfloat16S1_fEEvT2_20rocsparse_direction_NS_24const_host_device_scalarIT0_EES2_PKS2_PKT1_SB_S8_PKT3_PKT4_S6_PT5_21rocsparse_index_base_b ; -- Begin function _ZN9rocsparseL20bsrxmvn_17_32_kernelILj17Efll18rocsparse_bfloat16S1_fEEvT2_20rocsparse_direction_NS_24const_host_device_scalarIT0_EES2_PKS2_PKT1_SB_S8_PKT3_PKT4_S6_PT5_21rocsparse_index_base_b
	.p2align	8
	.type	_ZN9rocsparseL20bsrxmvn_17_32_kernelILj17Efll18rocsparse_bfloat16S1_fEEvT2_20rocsparse_direction_NS_24const_host_device_scalarIT0_EES2_PKS2_PKT1_SB_S8_PKT3_PKT4_S6_PT5_21rocsparse_index_base_b,@function
_ZN9rocsparseL20bsrxmvn_17_32_kernelILj17Efll18rocsparse_bfloat16S1_fEEvT2_20rocsparse_direction_NS_24const_host_device_scalarIT0_EES2_PKS2_PKT1_SB_S8_PKT3_PKT4_S6_PT5_21rocsparse_index_base_b: ; @_ZN9rocsparseL20bsrxmvn_17_32_kernelILj17Efll18rocsparse_bfloat16S1_fEEvT2_20rocsparse_direction_NS_24const_host_device_scalarIT0_EES2_PKS2_PKT1_SB_S8_PKT3_PKT4_S6_PT5_21rocsparse_index_base_b
; %bb.0:
	s_clause 0x2
	s_load_b64 s[16:17], s[0:1], 0x60
	s_load_b64 s[12:13], s[0:1], 0x10
	;; [unrolled: 1-line block ×3, first 2 shown]
	s_mov_b32 s10, s15
	s_waitcnt lgkmcnt(0)
	s_bitcmp1_b32 s17, 0
	s_cselect_b32 s2, -1, 0
	s_delay_alu instid0(SALU_CYCLE_1)
	s_and_b32 vcc_lo, exec_lo, s2
	s_xor_b32 s2, s2, -1
	s_cbranch_vccnz .LBB368_2
; %bb.1:
	s_load_b32 s12, s[12:13], 0x0
.LBB368_2:
	s_and_not1_b32 vcc_lo, exec_lo, s2
	s_cbranch_vccnz .LBB368_4
; %bb.3:
	s_load_b32 s8, s[8:9], 0x0
.LBB368_4:
	s_waitcnt lgkmcnt(0)
	v_cmp_neq_f32_e64 s2, s12, 0
	v_cmp_neq_f32_e64 s3, s8, 1.0
	s_mov_b32 s11, 0
	s_delay_alu instid0(VALU_DEP_1) | instskip(NEXT) | instid1(SALU_CYCLE_1)
	s_or_b32 s2, s2, s3
	s_and_not1_b32 vcc_lo, exec_lo, s2
	s_cbranch_vccnz .LBB368_42
; %bb.5:
	s_clause 0x1
	s_load_b128 s[4:7], s[0:1], 0x20
	s_load_b64 s[14:15], s[0:1], 0x30
	s_waitcnt lgkmcnt(0)
	s_cmp_eq_u64 s[4:5], 0
	s_cbranch_scc1 .LBB368_7
; %bb.6:
	s_lshl_b64 s[2:3], s[10:11], 3
	s_delay_alu instid0(SALU_CYCLE_1)
	s_add_u32 s2, s4, s2
	s_addc_u32 s3, s5, s3
	s_load_b64 s[2:3], s[2:3], 0x0
	s_waitcnt lgkmcnt(0)
	s_sub_u32 s10, s2, s16
	s_subb_u32 s11, s3, 0
.LBB368_7:
	s_load_b32 s3, s[0:1], 0x8
	v_mul_u32_u24_e32 v1, 0xf10, v0
	v_mov_b32_e32 v7, 0
	s_delay_alu instid0(VALU_DEP_2) | instskip(NEXT) | instid1(VALU_DEP_1)
	v_lshrrev_b32_e32 v1, 16, v1
	v_mul_lo_u16 v2, v1, 17
	s_delay_alu instid0(VALU_DEP_1)
	v_sub_nc_u16 v8, v0, v2
	s_waitcnt lgkmcnt(0)
	s_cmp_eq_u32 s3, 1
	s_cselect_b32 s2, -1, 0
	s_cmp_lg_u32 s3, 1
	s_cselect_b32 s3, -1, 0
	s_lshl_b64 s[4:5], s[10:11], 3
	s_delay_alu instid0(SALU_CYCLE_1)
	s_add_u32 s6, s6, s4
	s_addc_u32 s7, s7, s5
	s_add_u32 s9, s6, 8
	s_addc_u32 s13, s7, 0
	;; [unrolled: 2-line block ×3, first 2 shown]
	s_cmp_eq_u64 s[14:15], 0
	s_load_b64 s[14:15], s[0:1], 0x58
	s_cselect_b32 s5, s13, s5
	s_cselect_b32 s4, s9, s4
	s_load_b64 s[20:21], s[6:7], 0x0
	s_load_b64 s[18:19], s[4:5], 0x0
	s_waitcnt lgkmcnt(0)
	v_cmp_ge_i64_e64 s4, s[20:21], s[18:19]
	s_delay_alu instid0(VALU_DEP_1)
	s_and_b32 vcc_lo, exec_lo, s4
	s_cbranch_vccnz .LBB368_12
; %bb.8:
	v_mul_lo_u16 v2, v1, 31
	v_dual_mov_b32 v7, 0 :: v_dual_and_b32 v4, 0xffff, v0
	v_and_b32_e32 v3, 0xffff, v8
	s_clause 0x1
	s_load_b128 s[4:7], s[0:1], 0x38
	s_load_b64 s[22:23], s[0:1], 0x48
	v_lshrrev_b16 v2, 9, v2
	s_sub_u32 s0, s18, s16
	s_subb_u32 s1, s19, 0
	s_sub_u32 s18, s20, s16
	s_subb_u32 s19, s21, 0
	v_mul_lo_u16 v2, v2, 17
	v_lshlrev_b32_e32 v10, 1, v0
	s_mul_hi_u32 s9, s18, 0x242
	s_mul_i32 s13, s19, 0x242
	s_mul_i32 s17, s18, 0x242
	v_sub_nc_u16 v1, v1, v2
	v_mul_u32_u24_e32 v2, 0xe3, v4
	s_add_i32 s9, s9, s13
	s_delay_alu instid0(VALU_DEP_2) | instskip(NEXT) | instid1(VALU_DEP_2)
	v_and_b32_e32 v1, 0xff, v1
	v_lshrrev_b32_e32 v9, 16, v2
	s_delay_alu instid0(VALU_DEP_2) | instskip(NEXT) | instid1(VALU_DEP_2)
	v_cndmask_b32_e64 v1, v3, v1, s2
	v_add_co_u32 v2, s2, s20, v9
	s_delay_alu instid0(VALU_DEP_1) | instskip(NEXT) | instid1(VALU_DEP_3)
	v_add_co_ci_u32_e64 v4, null, s21, 0, s2
	v_lshlrev_b32_e32 v1, 1, v1
	s_delay_alu instid0(VALU_DEP_3) | instskip(NEXT) | instid1(VALU_DEP_3)
	v_sub_co_u32 v3, vcc_lo, v2, s16
	v_subrev_co_ci_u32_e32 v4, vcc_lo, 0, v4, vcc_lo
	s_waitcnt lgkmcnt(0)
	s_add_u32 s2, s6, s17
	v_add_co_u32 v1, s6, s22, v1
	s_delay_alu instid0(VALU_DEP_2) | instskip(SKIP_3) | instid1(VALU_DEP_3)
	v_lshlrev_b64 v[5:6], 3, v[3:4]
	v_add_co_ci_u32_e64 v2, null, s23, 0, s6
	s_addc_u32 s6, s7, s9
	v_add_co_u32 v3, s2, s2, v10
	v_add_co_u32 v5, vcc_lo, s4, v5
	v_add_co_ci_u32_e64 v4, null, s6, 0, s2
	v_add_co_ci_u32_e32 v6, vcc_lo, s5, v6, vcc_lo
	s_set_inst_prefetch_distance 0x1
	s_branch .LBB368_10
	.p2align	6
.LBB368_9:                              ;   in Loop: Header=BB368_10 Depth=1
	s_or_b32 exec_lo, exec_lo, s2
	s_add_u32 s18, s18, 1
	s_addc_u32 s19, s19, 0
	v_add_co_u32 v5, vcc_lo, v5, 8
	v_cmp_lt_i64_e64 s2, s[18:19], s[0:1]
	v_add_co_ci_u32_e32 v6, vcc_lo, 0, v6, vcc_lo
	s_delay_alu instid0(VALU_DEP_2)
	s_and_b32 vcc_lo, exec_lo, s2
	s_cbranch_vccz .LBB368_12
.LBB368_10:                             ; =>This Inner Loop Header: Depth=1
	v_add_co_u32 v10, s2, v9, s18
	s_delay_alu instid0(VALU_DEP_1) | instskip(SKIP_1) | instid1(VALU_DEP_1)
	v_add_co_ci_u32_e64 v11, null, 0, s19, s2
	s_mov_b32 s2, exec_lo
	v_cmpx_gt_i64_e64 s[0:1], v[10:11]
	s_cbranch_execz .LBB368_9
; %bb.11:                               ;   in Loop: Header=BB368_10 Depth=1
	global_load_b64 v[10:11], v[5:6], off
	s_waitcnt vmcnt(0)
	v_sub_co_u32 v12, vcc_lo, v10, s16
	v_subrev_co_ci_u32_e32 v14, vcc_lo, 0, v11, vcc_lo
	s_delay_alu instid0(VALU_DEP_2) | instskip(NEXT) | instid1(VALU_DEP_1)
	v_mad_u64_u32 v[10:11], null, v12, 34, v[1:2]
	v_mad_u64_u32 v[12:13], null, v14, 34, v[11:12]
	s_delay_alu instid0(VALU_DEP_1)
	v_mov_b32_e32 v11, v12
	global_load_u16 v12, v[3:4], off
	global_load_u16 v10, v[10:11], off
	v_add_co_u32 v3, vcc_lo, 0x242, v3
	v_add_co_ci_u32_e32 v4, vcc_lo, 0, v4, vcc_lo
	s_waitcnt vmcnt(1)
	v_lshlrev_b32_e32 v11, 16, v12
	s_waitcnt vmcnt(0)
	v_lshlrev_b32_e32 v10, 16, v10
	s_delay_alu instid0(VALU_DEP_1)
	v_fmac_f32_e32 v7, v11, v10
	s_branch .LBB368_9
.LBB368_12:
	s_set_inst_prefetch_distance 0x2
	v_lshlrev_b32_e32 v1, 2, v0
	s_and_b32 vcc_lo, exec_lo, s3
	ds_store_b32 v1, v7
	s_waitcnt lgkmcnt(0)
	s_barrier
	buffer_gl0_inv
	s_cbranch_vccz .LBB368_24
; %bb.13:
	s_mov_b32 s0, exec_lo
	v_cmpx_eq_u16_e32 0, v8
	s_cbranch_execz .LBB368_15
; %bb.14:
	ds_load_2addr_b32 v[2:3], v1 offset1:16
	s_waitcnt lgkmcnt(0)
	v_add_f32_e32 v2, v3, v2
	ds_store_b32 v1, v2
.LBB368_15:
	s_or_b32 exec_lo, exec_lo, s0
	s_delay_alu instid0(SALU_CYCLE_1)
	s_mov_b32 s0, exec_lo
	s_waitcnt lgkmcnt(0)
	s_barrier
	buffer_gl0_inv
	v_cmpx_gt_u16_e32 8, v8
	s_cbranch_execz .LBB368_17
; %bb.16:
	ds_load_2addr_b32 v[2:3], v1 offset1:8
	s_waitcnt lgkmcnt(0)
	v_add_f32_e32 v2, v3, v2
	ds_store_b32 v1, v2
.LBB368_17:
	s_or_b32 exec_lo, exec_lo, s0
	s_delay_alu instid0(SALU_CYCLE_1)
	s_mov_b32 s0, exec_lo
	s_waitcnt lgkmcnt(0)
	s_barrier
	buffer_gl0_inv
	v_cmpx_gt_u16_e32 4, v8
	;; [unrolled: 14-line block ×3, first 2 shown]
	s_cbranch_execz .LBB368_21
; %bb.20:
	ds_load_2addr_b32 v[2:3], v1 offset1:2
	s_waitcnt lgkmcnt(0)
	v_add_f32_e32 v2, v3, v2
	ds_store_b32 v1, v2
.LBB368_21:
	s_or_b32 exec_lo, exec_lo, s0
	s_mov_b32 s0, 0
	s_mov_b32 s1, 0
	s_mov_b32 s2, exec_lo
	s_waitcnt lgkmcnt(0)
	s_barrier
	buffer_gl0_inv
                                        ; implicit-def: $vgpr2
                                        ; implicit-def: $vgpr3
	v_cmpx_gt_u32_e32 17, v0
	s_xor_b32 s2, exec_lo, s2
; %bb.22:
	v_mad_u32_u24 v2, v0, 17, 1
	v_lshl_add_u32 v3, v0, 6, v1
	s_mov_b32 s1, exec_lo
; %bb.23:
	s_or_b32 exec_lo, exec_lo, s2
	s_delay_alu instid0(SALU_CYCLE_1)
	s_and_b32 vcc_lo, exec_lo, s0
	v_cmp_gt_u32_e64 s0, 17, v0
	s_cbranch_vccnz .LBB368_25
	s_branch .LBB368_36
.LBB368_24:
	s_mov_b32 s1, 0
                                        ; implicit-def: $vgpr2
                                        ; implicit-def: $vgpr3
	v_cmp_gt_u32_e64 s0, 17, v0
	s_cbranch_execz .LBB368_36
.LBB368_25:
	s_delay_alu instid0(VALU_DEP_1)
	s_and_saveexec_b32 s2, s0
	s_cbranch_execz .LBB368_27
; %bb.26:
	ds_load_b32 v2, v1 offset:1088
	ds_load_b32 v3, v1
	s_waitcnt lgkmcnt(0)
	v_add_f32_e32 v2, v2, v3
	ds_store_b32 v1, v2
.LBB368_27:
	s_or_b32 exec_lo, exec_lo, s2
	s_delay_alu instid0(SALU_CYCLE_1)
	s_mov_b32 s2, exec_lo
	s_waitcnt lgkmcnt(0)
	s_barrier
	buffer_gl0_inv
	v_cmpx_gt_u32_e32 0x88, v0
	s_cbranch_execz .LBB368_29
; %bb.28:
	ds_load_2addr_b32 v[2:3], v1 offset1:136
	s_waitcnt lgkmcnt(0)
	v_add_f32_e32 v2, v3, v2
	ds_store_b32 v1, v2
.LBB368_29:
	s_or_b32 exec_lo, exec_lo, s2
	s_delay_alu instid0(SALU_CYCLE_1)
	s_mov_b32 s2, exec_lo
	s_waitcnt lgkmcnt(0)
	s_barrier
	buffer_gl0_inv
	v_cmpx_gt_u32_e32 0x44, v0
	s_cbranch_execz .LBB368_31
; %bb.30:
	ds_load_2addr_b32 v[2:3], v1 offset1:68
	s_waitcnt lgkmcnt(0)
	v_add_f32_e32 v2, v3, v2
	ds_store_b32 v1, v2
.LBB368_31:
	;; [unrolled: 14-line block ×3, first 2 shown]
	s_or_b32 exec_lo, exec_lo, s2
	s_waitcnt lgkmcnt(0)
	buffer_gl0_inv
                                        ; implicit-def: $vgpr2
	s_and_saveexec_b32 s2, s0
; %bb.34:
	v_add_nc_u32_e32 v2, 17, v0
	s_or_b32 s1, s1, exec_lo
                                        ; implicit-def: $vgpr7
; %bb.35:
	s_or_b32 exec_lo, exec_lo, s2
	v_mov_b32_e32 v3, v1
.LBB368_36:
	s_and_saveexec_b32 s0, s1
	s_cbranch_execz .LBB368_38
; %bb.37:
	v_lshlrev_b32_e32 v1, 2, v2
	ds_load_b32 v2, v3
	ds_load_b32 v1, v1
	s_waitcnt lgkmcnt(0)
	v_add_f32_e32 v7, v2, v1
.LBB368_38:
	s_or_b32 exec_lo, exec_lo, s0
	s_delay_alu instid0(SALU_CYCLE_1)
	s_mov_b32 s0, exec_lo
	v_cmpx_gt_u32_e32 17, v0
	s_cbranch_execz .LBB368_42
; %bb.39:
	v_cmp_eq_f32_e64 s1, s8, 0
	v_mul_f32_e32 v1, s12, v7
	s_mov_b32 s3, 0
	s_mul_i32 s0, s11, 0x44
	s_mul_i32 s2, s10, 0x44
	s_and_b32 vcc_lo, exec_lo, s1
	s_mul_hi_u32 s1, s10, 0x44
	s_cbranch_vccz .LBB368_43
; %bb.40:
	v_lshlrev_b32_e32 v2, 2, v0
	s_add_i32 s5, s1, s0
	s_add_u32 s4, s14, s2
	s_addc_u32 s5, s15, s5
	global_store_b32 v2, v1, s[4:5]
	s_and_not1_b32 vcc_lo, exec_lo, s3
	s_cbranch_vccnz .LBB368_42
.LBB368_41:
	v_lshlrev_b32_e32 v0, 2, v0
	s_add_i32 s1, s1, s0
	s_add_u32 s0, s14, s2
	s_addc_u32 s1, s15, s1
	global_load_b32 v2, v0, s[0:1]
	s_waitcnt vmcnt(0)
	v_fmac_f32_e32 v1, s8, v2
	global_store_b32 v0, v1, s[0:1]
.LBB368_42:
	s_nop 0
	s_sendmsg sendmsg(MSG_DEALLOC_VGPRS)
	s_endpgm
.LBB368_43:
	s_branch .LBB368_41
	.section	.rodata,"a",@progbits
	.p2align	6, 0x0
	.amdhsa_kernel _ZN9rocsparseL20bsrxmvn_17_32_kernelILj17Efll18rocsparse_bfloat16S1_fEEvT2_20rocsparse_direction_NS_24const_host_device_scalarIT0_EES2_PKS2_PKT1_SB_S8_PKT3_PKT4_S6_PT5_21rocsparse_index_base_b
		.amdhsa_group_segment_fixed_size 1156
		.amdhsa_private_segment_fixed_size 0
		.amdhsa_kernarg_size 104
		.amdhsa_user_sgpr_count 15
		.amdhsa_user_sgpr_dispatch_ptr 0
		.amdhsa_user_sgpr_queue_ptr 0
		.amdhsa_user_sgpr_kernarg_segment_ptr 1
		.amdhsa_user_sgpr_dispatch_id 0
		.amdhsa_user_sgpr_private_segment_size 0
		.amdhsa_wavefront_size32 1
		.amdhsa_uses_dynamic_stack 0
		.amdhsa_enable_private_segment 0
		.amdhsa_system_sgpr_workgroup_id_x 1
		.amdhsa_system_sgpr_workgroup_id_y 0
		.amdhsa_system_sgpr_workgroup_id_z 0
		.amdhsa_system_sgpr_workgroup_info 0
		.amdhsa_system_vgpr_workitem_id 0
		.amdhsa_next_free_vgpr 15
		.amdhsa_next_free_sgpr 24
		.amdhsa_reserve_vcc 1
		.amdhsa_float_round_mode_32 0
		.amdhsa_float_round_mode_16_64 0
		.amdhsa_float_denorm_mode_32 3
		.amdhsa_float_denorm_mode_16_64 3
		.amdhsa_dx10_clamp 1
		.amdhsa_ieee_mode 1
		.amdhsa_fp16_overflow 0
		.amdhsa_workgroup_processor_mode 1
		.amdhsa_memory_ordered 1
		.amdhsa_forward_progress 0
		.amdhsa_shared_vgpr_count 0
		.amdhsa_exception_fp_ieee_invalid_op 0
		.amdhsa_exception_fp_denorm_src 0
		.amdhsa_exception_fp_ieee_div_zero 0
		.amdhsa_exception_fp_ieee_overflow 0
		.amdhsa_exception_fp_ieee_underflow 0
		.amdhsa_exception_fp_ieee_inexact 0
		.amdhsa_exception_int_div_zero 0
	.end_amdhsa_kernel
	.section	.text._ZN9rocsparseL20bsrxmvn_17_32_kernelILj17Efll18rocsparse_bfloat16S1_fEEvT2_20rocsparse_direction_NS_24const_host_device_scalarIT0_EES2_PKS2_PKT1_SB_S8_PKT3_PKT4_S6_PT5_21rocsparse_index_base_b,"axG",@progbits,_ZN9rocsparseL20bsrxmvn_17_32_kernelILj17Efll18rocsparse_bfloat16S1_fEEvT2_20rocsparse_direction_NS_24const_host_device_scalarIT0_EES2_PKS2_PKT1_SB_S8_PKT3_PKT4_S6_PT5_21rocsparse_index_base_b,comdat
.Lfunc_end368:
	.size	_ZN9rocsparseL20bsrxmvn_17_32_kernelILj17Efll18rocsparse_bfloat16S1_fEEvT2_20rocsparse_direction_NS_24const_host_device_scalarIT0_EES2_PKS2_PKT1_SB_S8_PKT3_PKT4_S6_PT5_21rocsparse_index_base_b, .Lfunc_end368-_ZN9rocsparseL20bsrxmvn_17_32_kernelILj17Efll18rocsparse_bfloat16S1_fEEvT2_20rocsparse_direction_NS_24const_host_device_scalarIT0_EES2_PKS2_PKT1_SB_S8_PKT3_PKT4_S6_PT5_21rocsparse_index_base_b
                                        ; -- End function
	.section	.AMDGPU.csdata,"",@progbits
; Kernel info:
; codeLenInByte = 1636
; NumSgprs: 26
; NumVgprs: 15
; ScratchSize: 0
; MemoryBound: 0
; FloatMode: 240
; IeeeMode: 1
; LDSByteSize: 1156 bytes/workgroup (compile time only)
; SGPRBlocks: 3
; VGPRBlocks: 1
; NumSGPRsForWavesPerEU: 26
; NumVGPRsForWavesPerEU: 15
; Occupancy: 15
; WaveLimiterHint : 1
; COMPUTE_PGM_RSRC2:SCRATCH_EN: 0
; COMPUTE_PGM_RSRC2:USER_SGPR: 15
; COMPUTE_PGM_RSRC2:TRAP_HANDLER: 0
; COMPUTE_PGM_RSRC2:TGID_X_EN: 1
; COMPUTE_PGM_RSRC2:TGID_Y_EN: 0
; COMPUTE_PGM_RSRC2:TGID_Z_EN: 0
; COMPUTE_PGM_RSRC2:TIDIG_COMP_CNT: 0
	.section	.text._ZN9rocsparseL20bsrxmvn_17_32_kernelILj18Efll18rocsparse_bfloat16S1_fEEvT2_20rocsparse_direction_NS_24const_host_device_scalarIT0_EES2_PKS2_PKT1_SB_S8_PKT3_PKT4_S6_PT5_21rocsparse_index_base_b,"axG",@progbits,_ZN9rocsparseL20bsrxmvn_17_32_kernelILj18Efll18rocsparse_bfloat16S1_fEEvT2_20rocsparse_direction_NS_24const_host_device_scalarIT0_EES2_PKS2_PKT1_SB_S8_PKT3_PKT4_S6_PT5_21rocsparse_index_base_b,comdat
	.globl	_ZN9rocsparseL20bsrxmvn_17_32_kernelILj18Efll18rocsparse_bfloat16S1_fEEvT2_20rocsparse_direction_NS_24const_host_device_scalarIT0_EES2_PKS2_PKT1_SB_S8_PKT3_PKT4_S6_PT5_21rocsparse_index_base_b ; -- Begin function _ZN9rocsparseL20bsrxmvn_17_32_kernelILj18Efll18rocsparse_bfloat16S1_fEEvT2_20rocsparse_direction_NS_24const_host_device_scalarIT0_EES2_PKS2_PKT1_SB_S8_PKT3_PKT4_S6_PT5_21rocsparse_index_base_b
	.p2align	8
	.type	_ZN9rocsparseL20bsrxmvn_17_32_kernelILj18Efll18rocsparse_bfloat16S1_fEEvT2_20rocsparse_direction_NS_24const_host_device_scalarIT0_EES2_PKS2_PKT1_SB_S8_PKT3_PKT4_S6_PT5_21rocsparse_index_base_b,@function
_ZN9rocsparseL20bsrxmvn_17_32_kernelILj18Efll18rocsparse_bfloat16S1_fEEvT2_20rocsparse_direction_NS_24const_host_device_scalarIT0_EES2_PKS2_PKT1_SB_S8_PKT3_PKT4_S6_PT5_21rocsparse_index_base_b: ; @_ZN9rocsparseL20bsrxmvn_17_32_kernelILj18Efll18rocsparse_bfloat16S1_fEEvT2_20rocsparse_direction_NS_24const_host_device_scalarIT0_EES2_PKS2_PKT1_SB_S8_PKT3_PKT4_S6_PT5_21rocsparse_index_base_b
; %bb.0:
	s_clause 0x2
	s_load_b64 s[16:17], s[0:1], 0x60
	s_load_b64 s[12:13], s[0:1], 0x10
	;; [unrolled: 1-line block ×3, first 2 shown]
	s_mov_b32 s10, s15
	s_waitcnt lgkmcnt(0)
	s_bitcmp1_b32 s17, 0
	s_cselect_b32 s2, -1, 0
	s_delay_alu instid0(SALU_CYCLE_1)
	s_and_b32 vcc_lo, exec_lo, s2
	s_xor_b32 s2, s2, -1
	s_cbranch_vccnz .LBB369_2
; %bb.1:
	s_load_b32 s12, s[12:13], 0x0
.LBB369_2:
	s_and_not1_b32 vcc_lo, exec_lo, s2
	s_cbranch_vccnz .LBB369_4
; %bb.3:
	s_load_b32 s8, s[8:9], 0x0
.LBB369_4:
	s_waitcnt lgkmcnt(0)
	v_cmp_neq_f32_e64 s2, s12, 0
	v_cmp_neq_f32_e64 s3, s8, 1.0
	s_mov_b32 s11, 0
	s_delay_alu instid0(VALU_DEP_1) | instskip(NEXT) | instid1(SALU_CYCLE_1)
	s_or_b32 s2, s2, s3
	s_and_not1_b32 vcc_lo, exec_lo, s2
	s_cbranch_vccnz .LBB369_42
; %bb.5:
	s_clause 0x1
	s_load_b128 s[4:7], s[0:1], 0x20
	s_load_b64 s[14:15], s[0:1], 0x30
	s_waitcnt lgkmcnt(0)
	s_cmp_eq_u64 s[4:5], 0
	s_cbranch_scc1 .LBB369_7
; %bb.6:
	s_lshl_b64 s[2:3], s[10:11], 3
	s_delay_alu instid0(SALU_CYCLE_1)
	s_add_u32 s2, s4, s2
	s_addc_u32 s3, s5, s3
	s_load_b64 s[2:3], s[2:3], 0x0
	s_waitcnt lgkmcnt(0)
	s_sub_u32 s10, s2, s16
	s_subb_u32 s11, s3, 0
.LBB369_7:
	s_load_b32 s3, s[0:1], 0x8
	v_mul_u32_u24_e32 v1, 0xe39, v0
	v_mov_b32_e32 v7, 0
	s_delay_alu instid0(VALU_DEP_2) | instskip(NEXT) | instid1(VALU_DEP_1)
	v_lshrrev_b32_e32 v1, 16, v1
	v_mul_lo_u16 v2, v1, 18
	s_delay_alu instid0(VALU_DEP_1)
	v_sub_nc_u16 v8, v0, v2
	s_waitcnt lgkmcnt(0)
	s_cmp_eq_u32 s3, 1
	s_cselect_b32 s2, -1, 0
	s_cmp_lg_u32 s3, 1
	s_cselect_b32 s3, -1, 0
	s_lshl_b64 s[4:5], s[10:11], 3
	s_delay_alu instid0(SALU_CYCLE_1)
	s_add_u32 s6, s6, s4
	s_addc_u32 s7, s7, s5
	s_add_u32 s9, s6, 8
	s_addc_u32 s13, s7, 0
	;; [unrolled: 2-line block ×3, first 2 shown]
	s_cmp_eq_u64 s[14:15], 0
	s_load_b64 s[14:15], s[0:1], 0x58
	s_cselect_b32 s5, s13, s5
	s_cselect_b32 s4, s9, s4
	s_load_b64 s[20:21], s[6:7], 0x0
	s_load_b64 s[18:19], s[4:5], 0x0
	s_waitcnt lgkmcnt(0)
	v_cmp_ge_i64_e64 s4, s[20:21], s[18:19]
	s_delay_alu instid0(VALU_DEP_1)
	s_and_b32 vcc_lo, exec_lo, s4
	s_cbranch_vccnz .LBB369_12
; %bb.8:
	v_mul_lo_u16 v2, v1, 15
	v_dual_mov_b32 v7, 0 :: v_dual_and_b32 v4, 0xffff, v0
	v_and_b32_e32 v3, 0xffff, v8
	s_clause 0x1
	s_load_b128 s[4:7], s[0:1], 0x38
	s_load_b64 s[22:23], s[0:1], 0x48
	v_lshrrev_b16 v2, 8, v2
	s_sub_u32 s0, s18, s16
	s_subb_u32 s1, s19, 0
	s_sub_u32 s18, s20, s16
	s_subb_u32 s19, s21, 0
	v_mul_lo_u16 v2, v2, 18
	v_lshlrev_b32_e32 v10, 1, v0
	s_mul_hi_u32 s9, s18, 0x288
	s_mul_i32 s13, s19, 0x288
	s_mul_i32 s17, s18, 0x288
	v_sub_nc_u16 v1, v1, v2
	v_mul_u32_u24_e32 v2, 0x195, v4
	s_add_i32 s9, s9, s13
	s_delay_alu instid0(VALU_DEP_2) | instskip(NEXT) | instid1(VALU_DEP_2)
	v_and_b32_e32 v1, 0xff, v1
	v_lshrrev_b32_e32 v9, 17, v2
	s_delay_alu instid0(VALU_DEP_2) | instskip(NEXT) | instid1(VALU_DEP_2)
	v_cndmask_b32_e64 v1, v3, v1, s2
	v_add_co_u32 v2, s2, s20, v9
	s_delay_alu instid0(VALU_DEP_1) | instskip(NEXT) | instid1(VALU_DEP_3)
	v_add_co_ci_u32_e64 v4, null, s21, 0, s2
	v_lshlrev_b32_e32 v1, 1, v1
	s_delay_alu instid0(VALU_DEP_3) | instskip(NEXT) | instid1(VALU_DEP_3)
	v_sub_co_u32 v3, vcc_lo, v2, s16
	v_subrev_co_ci_u32_e32 v4, vcc_lo, 0, v4, vcc_lo
	s_waitcnt lgkmcnt(0)
	s_add_u32 s2, s6, s17
	v_add_co_u32 v1, s6, s22, v1
	s_delay_alu instid0(VALU_DEP_2) | instskip(SKIP_3) | instid1(VALU_DEP_3)
	v_lshlrev_b64 v[5:6], 3, v[3:4]
	v_add_co_ci_u32_e64 v2, null, s23, 0, s6
	s_addc_u32 s6, s7, s9
	v_add_co_u32 v3, s2, s2, v10
	v_add_co_u32 v5, vcc_lo, s4, v5
	v_add_co_ci_u32_e64 v4, null, s6, 0, s2
	v_add_co_ci_u32_e32 v6, vcc_lo, s5, v6, vcc_lo
	s_set_inst_prefetch_distance 0x1
	s_branch .LBB369_10
	.p2align	6
.LBB369_9:                              ;   in Loop: Header=BB369_10 Depth=1
	s_or_b32 exec_lo, exec_lo, s2
	s_add_u32 s18, s18, 1
	s_addc_u32 s19, s19, 0
	v_add_co_u32 v5, vcc_lo, v5, 8
	v_cmp_lt_i64_e64 s2, s[18:19], s[0:1]
	v_add_co_ci_u32_e32 v6, vcc_lo, 0, v6, vcc_lo
	s_delay_alu instid0(VALU_DEP_2)
	s_and_b32 vcc_lo, exec_lo, s2
	s_cbranch_vccz .LBB369_12
.LBB369_10:                             ; =>This Inner Loop Header: Depth=1
	v_add_co_u32 v10, s2, v9, s18
	s_delay_alu instid0(VALU_DEP_1) | instskip(SKIP_1) | instid1(VALU_DEP_1)
	v_add_co_ci_u32_e64 v11, null, 0, s19, s2
	s_mov_b32 s2, exec_lo
	v_cmpx_gt_i64_e64 s[0:1], v[10:11]
	s_cbranch_execz .LBB369_9
; %bb.11:                               ;   in Loop: Header=BB369_10 Depth=1
	global_load_b64 v[10:11], v[5:6], off
	s_waitcnt vmcnt(0)
	v_sub_co_u32 v12, vcc_lo, v10, s16
	v_subrev_co_ci_u32_e32 v14, vcc_lo, 0, v11, vcc_lo
	s_delay_alu instid0(VALU_DEP_2) | instskip(NEXT) | instid1(VALU_DEP_1)
	v_mad_u64_u32 v[10:11], null, v12, 36, v[1:2]
	v_mad_u64_u32 v[12:13], null, v14, 36, v[11:12]
	s_delay_alu instid0(VALU_DEP_1)
	v_mov_b32_e32 v11, v12
	global_load_u16 v12, v[3:4], off
	global_load_u16 v10, v[10:11], off
	v_add_co_u32 v3, vcc_lo, 0x288, v3
	v_add_co_ci_u32_e32 v4, vcc_lo, 0, v4, vcc_lo
	s_waitcnt vmcnt(1)
	v_lshlrev_b32_e32 v11, 16, v12
	s_waitcnt vmcnt(0)
	v_lshlrev_b32_e32 v10, 16, v10
	s_delay_alu instid0(VALU_DEP_1)
	v_fmac_f32_e32 v7, v11, v10
	s_branch .LBB369_9
.LBB369_12:
	s_set_inst_prefetch_distance 0x2
	v_lshlrev_b32_e32 v1, 2, v0
	s_and_b32 vcc_lo, exec_lo, s3
	ds_store_b32 v1, v7
	s_waitcnt lgkmcnt(0)
	s_barrier
	buffer_gl0_inv
	s_cbranch_vccz .LBB369_24
; %bb.13:
	v_cmp_gt_u16_e32 vcc_lo, 2, v8
	s_and_saveexec_b32 s0, vcc_lo
	s_cbranch_execz .LBB369_15
; %bb.14:
	ds_load_2addr_b32 v[2:3], v1 offset1:16
	s_waitcnt lgkmcnt(0)
	v_add_f32_e32 v2, v3, v2
	ds_store_b32 v1, v2
.LBB369_15:
	s_or_b32 exec_lo, exec_lo, s0
	s_delay_alu instid0(SALU_CYCLE_1)
	s_mov_b32 s1, exec_lo
	s_waitcnt lgkmcnt(0)
	s_barrier
	buffer_gl0_inv
	v_cmpx_gt_u16_e32 8, v8
	s_cbranch_execz .LBB369_17
; %bb.16:
	ds_load_2addr_b32 v[2:3], v1 offset1:8
	s_waitcnt lgkmcnt(0)
	v_add_f32_e32 v2, v3, v2
	ds_store_b32 v1, v2
.LBB369_17:
	s_or_b32 exec_lo, exec_lo, s1
	s_delay_alu instid0(SALU_CYCLE_1)
	s_mov_b32 s1, exec_lo
	s_waitcnt lgkmcnt(0)
	s_barrier
	buffer_gl0_inv
	v_cmpx_gt_u16_e32 4, v8
	s_cbranch_execz .LBB369_19
; %bb.18:
	ds_load_2addr_b32 v[2:3], v1 offset1:4
	s_waitcnt lgkmcnt(0)
	v_add_f32_e32 v2, v3, v2
	ds_store_b32 v1, v2
.LBB369_19:
	s_or_b32 exec_lo, exec_lo, s1
	s_waitcnt lgkmcnt(0)
	s_barrier
	buffer_gl0_inv
	s_and_saveexec_b32 s0, vcc_lo
	s_cbranch_execz .LBB369_21
; %bb.20:
	ds_load_2addr_b32 v[2:3], v1 offset1:2
	s_waitcnt lgkmcnt(0)
	v_add_f32_e32 v2, v3, v2
	ds_store_b32 v1, v2
.LBB369_21:
	s_or_b32 exec_lo, exec_lo, s0
	s_mov_b32 s0, 0
	s_mov_b32 s1, 0
	s_mov_b32 s2, exec_lo
	s_waitcnt lgkmcnt(0)
	s_barrier
	buffer_gl0_inv
                                        ; implicit-def: $vgpr2
                                        ; implicit-def: $vgpr3
	v_cmpx_gt_u32_e32 18, v0
	s_xor_b32 s2, exec_lo, s2
; %bb.22:
	v_mul_u32_u24_e32 v2, 18, v0
	v_mad_u32_u24 v3, 0x44, v0, v1
	s_mov_b32 s1, exec_lo
	s_delay_alu instid0(VALU_DEP_2)
	v_or_b32_e32 v2, 1, v2
; %bb.23:
	s_or_b32 exec_lo, exec_lo, s2
	s_delay_alu instid0(SALU_CYCLE_1)
	s_and_b32 vcc_lo, exec_lo, s0
	s_cbranch_vccnz .LBB369_25
	s_branch .LBB369_36
.LBB369_24:
	s_mov_b32 s1, 0
                                        ; implicit-def: $vgpr2
                                        ; implicit-def: $vgpr3
	s_cbranch_execz .LBB369_36
.LBB369_25:
	v_cmp_gt_u32_e32 vcc_lo, 36, v0
	s_and_saveexec_b32 s0, vcc_lo
	s_cbranch_execz .LBB369_27
; %bb.26:
	ds_load_b32 v2, v1 offset:1152
	ds_load_b32 v3, v1
	s_waitcnt lgkmcnt(0)
	v_add_f32_e32 v2, v2, v3
	ds_store_b32 v1, v2
.LBB369_27:
	s_or_b32 exec_lo, exec_lo, s0
	s_delay_alu instid0(SALU_CYCLE_1)
	s_mov_b32 s2, exec_lo
	s_waitcnt lgkmcnt(0)
	s_barrier
	buffer_gl0_inv
	v_cmpx_gt_u32_e32 0x90, v0
	s_cbranch_execz .LBB369_29
; %bb.28:
	ds_load_2addr_b32 v[2:3], v1 offset1:144
	s_waitcnt lgkmcnt(0)
	v_add_f32_e32 v2, v3, v2
	ds_store_b32 v1, v2
.LBB369_29:
	s_or_b32 exec_lo, exec_lo, s2
	s_delay_alu instid0(SALU_CYCLE_1)
	s_mov_b32 s2, exec_lo
	s_waitcnt lgkmcnt(0)
	s_barrier
	buffer_gl0_inv
	v_cmpx_gt_u32_e32 0x48, v0
	s_cbranch_execz .LBB369_31
; %bb.30:
	ds_load_2addr_b32 v[2:3], v1 offset1:72
	s_waitcnt lgkmcnt(0)
	v_add_f32_e32 v2, v3, v2
	ds_store_b32 v1, v2
.LBB369_31:
	s_or_b32 exec_lo, exec_lo, s2
	s_waitcnt lgkmcnt(0)
	s_barrier
	buffer_gl0_inv
	s_and_saveexec_b32 s0, vcc_lo
	s_cbranch_execz .LBB369_33
; %bb.32:
	ds_load_2addr_b32 v[2:3], v1 offset1:36
	s_waitcnt lgkmcnt(0)
	v_add_f32_e32 v2, v3, v2
	ds_store_b32 v1, v2
.LBB369_33:
	s_or_b32 exec_lo, exec_lo, s0
	s_delay_alu instid0(SALU_CYCLE_1)
	s_mov_b32 s0, exec_lo
	s_waitcnt lgkmcnt(0)
	buffer_gl0_inv
                                        ; implicit-def: $vgpr2
	v_cmpx_gt_u32_e32 18, v0
; %bb.34:
	v_add_nc_u32_e32 v2, 18, v0
	s_or_b32 s1, s1, exec_lo
                                        ; implicit-def: $vgpr7
; %bb.35:
	s_or_b32 exec_lo, exec_lo, s0
	v_mov_b32_e32 v3, v1
.LBB369_36:
	s_and_saveexec_b32 s0, s1
	s_cbranch_execz .LBB369_38
; %bb.37:
	v_lshlrev_b32_e32 v1, 2, v2
	ds_load_b32 v2, v3
	ds_load_b32 v1, v1
	s_waitcnt lgkmcnt(0)
	v_add_f32_e32 v7, v2, v1
.LBB369_38:
	s_or_b32 exec_lo, exec_lo, s0
	s_delay_alu instid0(SALU_CYCLE_1)
	s_mov_b32 s0, exec_lo
	v_cmpx_gt_u32_e32 18, v0
	s_cbranch_execz .LBB369_42
; %bb.39:
	v_cmp_eq_f32_e64 s1, s8, 0
	v_mul_f32_e32 v1, s12, v7
	s_mov_b32 s3, 0
	s_mul_i32 s0, s11, 0x48
	s_mul_i32 s2, s10, 0x48
	s_and_b32 vcc_lo, exec_lo, s1
	s_mul_hi_u32 s1, s10, 0x48
	s_cbranch_vccz .LBB369_43
; %bb.40:
	v_lshlrev_b32_e32 v2, 2, v0
	s_add_i32 s5, s1, s0
	s_add_u32 s4, s14, s2
	s_addc_u32 s5, s15, s5
	global_store_b32 v2, v1, s[4:5]
	s_and_not1_b32 vcc_lo, exec_lo, s3
	s_cbranch_vccnz .LBB369_42
.LBB369_41:
	v_lshlrev_b32_e32 v0, 2, v0
	s_add_i32 s1, s1, s0
	s_add_u32 s0, s14, s2
	s_addc_u32 s1, s15, s1
	global_load_b32 v2, v0, s[0:1]
	s_waitcnt vmcnt(0)
	v_fmac_f32_e32 v1, s8, v2
	global_store_b32 v0, v1, s[0:1]
.LBB369_42:
	s_nop 0
	s_sendmsg sendmsg(MSG_DEALLOC_VGPRS)
	s_endpgm
.LBB369_43:
	s_branch .LBB369_41
	.section	.rodata,"a",@progbits
	.p2align	6, 0x0
	.amdhsa_kernel _ZN9rocsparseL20bsrxmvn_17_32_kernelILj18Efll18rocsparse_bfloat16S1_fEEvT2_20rocsparse_direction_NS_24const_host_device_scalarIT0_EES2_PKS2_PKT1_SB_S8_PKT3_PKT4_S6_PT5_21rocsparse_index_base_b
		.amdhsa_group_segment_fixed_size 1296
		.amdhsa_private_segment_fixed_size 0
		.amdhsa_kernarg_size 104
		.amdhsa_user_sgpr_count 15
		.amdhsa_user_sgpr_dispatch_ptr 0
		.amdhsa_user_sgpr_queue_ptr 0
		.amdhsa_user_sgpr_kernarg_segment_ptr 1
		.amdhsa_user_sgpr_dispatch_id 0
		.amdhsa_user_sgpr_private_segment_size 0
		.amdhsa_wavefront_size32 1
		.amdhsa_uses_dynamic_stack 0
		.amdhsa_enable_private_segment 0
		.amdhsa_system_sgpr_workgroup_id_x 1
		.amdhsa_system_sgpr_workgroup_id_y 0
		.amdhsa_system_sgpr_workgroup_id_z 0
		.amdhsa_system_sgpr_workgroup_info 0
		.amdhsa_system_vgpr_workitem_id 0
		.amdhsa_next_free_vgpr 15
		.amdhsa_next_free_sgpr 24
		.amdhsa_reserve_vcc 1
		.amdhsa_float_round_mode_32 0
		.amdhsa_float_round_mode_16_64 0
		.amdhsa_float_denorm_mode_32 3
		.amdhsa_float_denorm_mode_16_64 3
		.amdhsa_dx10_clamp 1
		.amdhsa_ieee_mode 1
		.amdhsa_fp16_overflow 0
		.amdhsa_workgroup_processor_mode 1
		.amdhsa_memory_ordered 1
		.amdhsa_forward_progress 0
		.amdhsa_shared_vgpr_count 0
		.amdhsa_exception_fp_ieee_invalid_op 0
		.amdhsa_exception_fp_denorm_src 0
		.amdhsa_exception_fp_ieee_div_zero 0
		.amdhsa_exception_fp_ieee_overflow 0
		.amdhsa_exception_fp_ieee_underflow 0
		.amdhsa_exception_fp_ieee_inexact 0
		.amdhsa_exception_int_div_zero 0
	.end_amdhsa_kernel
	.section	.text._ZN9rocsparseL20bsrxmvn_17_32_kernelILj18Efll18rocsparse_bfloat16S1_fEEvT2_20rocsparse_direction_NS_24const_host_device_scalarIT0_EES2_PKS2_PKT1_SB_S8_PKT3_PKT4_S6_PT5_21rocsparse_index_base_b,"axG",@progbits,_ZN9rocsparseL20bsrxmvn_17_32_kernelILj18Efll18rocsparse_bfloat16S1_fEEvT2_20rocsparse_direction_NS_24const_host_device_scalarIT0_EES2_PKS2_PKT1_SB_S8_PKT3_PKT4_S6_PT5_21rocsparse_index_base_b,comdat
.Lfunc_end369:
	.size	_ZN9rocsparseL20bsrxmvn_17_32_kernelILj18Efll18rocsparse_bfloat16S1_fEEvT2_20rocsparse_direction_NS_24const_host_device_scalarIT0_EES2_PKS2_PKT1_SB_S8_PKT3_PKT4_S6_PT5_21rocsparse_index_base_b, .Lfunc_end369-_ZN9rocsparseL20bsrxmvn_17_32_kernelILj18Efll18rocsparse_bfloat16S1_fEEvT2_20rocsparse_direction_NS_24const_host_device_scalarIT0_EES2_PKS2_PKT1_SB_S8_PKT3_PKT4_S6_PT5_21rocsparse_index_base_b
                                        ; -- End function
	.section	.AMDGPU.csdata,"",@progbits
; Kernel info:
; codeLenInByte = 1620
; NumSgprs: 26
; NumVgprs: 15
; ScratchSize: 0
; MemoryBound: 0
; FloatMode: 240
; IeeeMode: 1
; LDSByteSize: 1296 bytes/workgroup (compile time only)
; SGPRBlocks: 3
; VGPRBlocks: 1
; NumSGPRsForWavesPerEU: 26
; NumVGPRsForWavesPerEU: 15
; Occupancy: 14
; WaveLimiterHint : 1
; COMPUTE_PGM_RSRC2:SCRATCH_EN: 0
; COMPUTE_PGM_RSRC2:USER_SGPR: 15
; COMPUTE_PGM_RSRC2:TRAP_HANDLER: 0
; COMPUTE_PGM_RSRC2:TGID_X_EN: 1
; COMPUTE_PGM_RSRC2:TGID_Y_EN: 0
; COMPUTE_PGM_RSRC2:TGID_Z_EN: 0
; COMPUTE_PGM_RSRC2:TIDIG_COMP_CNT: 0
	.section	.text._ZN9rocsparseL20bsrxmvn_17_32_kernelILj19Efll18rocsparse_bfloat16S1_fEEvT2_20rocsparse_direction_NS_24const_host_device_scalarIT0_EES2_PKS2_PKT1_SB_S8_PKT3_PKT4_S6_PT5_21rocsparse_index_base_b,"axG",@progbits,_ZN9rocsparseL20bsrxmvn_17_32_kernelILj19Efll18rocsparse_bfloat16S1_fEEvT2_20rocsparse_direction_NS_24const_host_device_scalarIT0_EES2_PKS2_PKT1_SB_S8_PKT3_PKT4_S6_PT5_21rocsparse_index_base_b,comdat
	.globl	_ZN9rocsparseL20bsrxmvn_17_32_kernelILj19Efll18rocsparse_bfloat16S1_fEEvT2_20rocsparse_direction_NS_24const_host_device_scalarIT0_EES2_PKS2_PKT1_SB_S8_PKT3_PKT4_S6_PT5_21rocsparse_index_base_b ; -- Begin function _ZN9rocsparseL20bsrxmvn_17_32_kernelILj19Efll18rocsparse_bfloat16S1_fEEvT2_20rocsparse_direction_NS_24const_host_device_scalarIT0_EES2_PKS2_PKT1_SB_S8_PKT3_PKT4_S6_PT5_21rocsparse_index_base_b
	.p2align	8
	.type	_ZN9rocsparseL20bsrxmvn_17_32_kernelILj19Efll18rocsparse_bfloat16S1_fEEvT2_20rocsparse_direction_NS_24const_host_device_scalarIT0_EES2_PKS2_PKT1_SB_S8_PKT3_PKT4_S6_PT5_21rocsparse_index_base_b,@function
_ZN9rocsparseL20bsrxmvn_17_32_kernelILj19Efll18rocsparse_bfloat16S1_fEEvT2_20rocsparse_direction_NS_24const_host_device_scalarIT0_EES2_PKS2_PKT1_SB_S8_PKT3_PKT4_S6_PT5_21rocsparse_index_base_b: ; @_ZN9rocsparseL20bsrxmvn_17_32_kernelILj19Efll18rocsparse_bfloat16S1_fEEvT2_20rocsparse_direction_NS_24const_host_device_scalarIT0_EES2_PKS2_PKT1_SB_S8_PKT3_PKT4_S6_PT5_21rocsparse_index_base_b
; %bb.0:
	s_clause 0x2
	s_load_b64 s[16:17], s[0:1], 0x60
	s_load_b64 s[12:13], s[0:1], 0x10
	;; [unrolled: 1-line block ×3, first 2 shown]
	s_mov_b32 s10, s15
	s_waitcnt lgkmcnt(0)
	s_bitcmp1_b32 s17, 0
	s_cselect_b32 s2, -1, 0
	s_delay_alu instid0(SALU_CYCLE_1)
	s_and_b32 vcc_lo, exec_lo, s2
	s_xor_b32 s2, s2, -1
	s_cbranch_vccnz .LBB370_2
; %bb.1:
	s_load_b32 s12, s[12:13], 0x0
.LBB370_2:
	s_and_not1_b32 vcc_lo, exec_lo, s2
	s_cbranch_vccnz .LBB370_4
; %bb.3:
	s_load_b32 s8, s[8:9], 0x0
.LBB370_4:
	s_waitcnt lgkmcnt(0)
	v_cmp_neq_f32_e64 s2, s12, 0
	v_cmp_neq_f32_e64 s3, s8, 1.0
	s_mov_b32 s11, 0
	s_delay_alu instid0(VALU_DEP_1) | instskip(NEXT) | instid1(SALU_CYCLE_1)
	s_or_b32 s2, s2, s3
	s_and_not1_b32 vcc_lo, exec_lo, s2
	s_cbranch_vccnz .LBB370_42
; %bb.5:
	s_clause 0x1
	s_load_b128 s[4:7], s[0:1], 0x20
	s_load_b64 s[14:15], s[0:1], 0x30
	s_waitcnt lgkmcnt(0)
	s_cmp_eq_u64 s[4:5], 0
	s_cbranch_scc1 .LBB370_7
; %bb.6:
	s_lshl_b64 s[2:3], s[10:11], 3
	s_delay_alu instid0(SALU_CYCLE_1)
	s_add_u32 s2, s4, s2
	s_addc_u32 s3, s5, s3
	s_load_b64 s[2:3], s[2:3], 0x0
	s_waitcnt lgkmcnt(0)
	s_sub_u32 s10, s2, s16
	s_subb_u32 s11, s3, 0
.LBB370_7:
	s_load_b32 s3, s[0:1], 0x8
	v_mul_u32_u24_e32 v1, 0xd7a, v0
	v_mov_b32_e32 v7, 0
	s_delay_alu instid0(VALU_DEP_2) | instskip(NEXT) | instid1(VALU_DEP_1)
	v_lshrrev_b32_e32 v1, 16, v1
	v_mul_lo_u16 v2, v1, 19
	s_delay_alu instid0(VALU_DEP_1)
	v_sub_nc_u16 v8, v0, v2
	s_waitcnt lgkmcnt(0)
	s_cmp_eq_u32 s3, 1
	s_cselect_b32 s2, -1, 0
	s_cmp_lg_u32 s3, 1
	s_cselect_b32 s3, -1, 0
	s_lshl_b64 s[4:5], s[10:11], 3
	s_delay_alu instid0(SALU_CYCLE_1)
	s_add_u32 s6, s6, s4
	s_addc_u32 s7, s7, s5
	s_add_u32 s9, s6, 8
	s_addc_u32 s13, s7, 0
	;; [unrolled: 2-line block ×3, first 2 shown]
	s_cmp_eq_u64 s[14:15], 0
	s_load_b64 s[14:15], s[0:1], 0x58
	s_cselect_b32 s5, s13, s5
	s_cselect_b32 s4, s9, s4
	s_load_b64 s[20:21], s[6:7], 0x0
	s_load_b64 s[18:19], s[4:5], 0x0
	s_waitcnt lgkmcnt(0)
	v_cmp_ge_i64_e64 s4, s[20:21], s[18:19]
	s_delay_alu instid0(VALU_DEP_1)
	s_and_b32 vcc_lo, exec_lo, s4
	s_cbranch_vccnz .LBB370_12
; %bb.8:
	v_mul_lo_u16 v2, v1, 14
	v_dual_mov_b32 v7, 0 :: v_dual_and_b32 v4, 0xffff, v0
	v_and_b32_e32 v3, 0xffff, v8
	s_clause 0x1
	s_load_b128 s[4:7], s[0:1], 0x38
	s_load_b64 s[22:23], s[0:1], 0x48
	v_lshrrev_b16 v2, 8, v2
	s_sub_u32 s0, s18, s16
	s_subb_u32 s1, s19, 0
	s_sub_u32 s18, s20, s16
	s_subb_u32 s19, s21, 0
	v_mul_lo_u16 v2, v2, 19
	v_lshlrev_b32_e32 v10, 1, v0
	s_mul_hi_u32 s9, s18, 0x2d2
	s_mul_i32 s13, s19, 0x2d2
	s_mul_i32 s17, s18, 0x2d2
	v_sub_nc_u16 v1, v1, v2
	v_mul_u32_u24_e32 v2, 0xb6, v4
	s_add_i32 s9, s9, s13
	s_delay_alu instid0(VALU_DEP_2) | instskip(NEXT) | instid1(VALU_DEP_2)
	v_and_b32_e32 v1, 0xff, v1
	v_lshrrev_b32_e32 v9, 16, v2
	s_delay_alu instid0(VALU_DEP_2) | instskip(NEXT) | instid1(VALU_DEP_2)
	v_cndmask_b32_e64 v1, v3, v1, s2
	v_add_co_u32 v2, s2, s20, v9
	s_delay_alu instid0(VALU_DEP_1) | instskip(NEXT) | instid1(VALU_DEP_3)
	v_add_co_ci_u32_e64 v4, null, s21, 0, s2
	v_lshlrev_b32_e32 v1, 1, v1
	s_delay_alu instid0(VALU_DEP_3) | instskip(NEXT) | instid1(VALU_DEP_3)
	v_sub_co_u32 v3, vcc_lo, v2, s16
	v_subrev_co_ci_u32_e32 v4, vcc_lo, 0, v4, vcc_lo
	s_waitcnt lgkmcnt(0)
	s_add_u32 s2, s6, s17
	v_add_co_u32 v1, s6, s22, v1
	s_delay_alu instid0(VALU_DEP_2) | instskip(SKIP_3) | instid1(VALU_DEP_3)
	v_lshlrev_b64 v[5:6], 3, v[3:4]
	v_add_co_ci_u32_e64 v2, null, s23, 0, s6
	s_addc_u32 s6, s7, s9
	v_add_co_u32 v3, s2, s2, v10
	v_add_co_u32 v5, vcc_lo, s4, v5
	v_add_co_ci_u32_e64 v4, null, s6, 0, s2
	v_add_co_ci_u32_e32 v6, vcc_lo, s5, v6, vcc_lo
	s_set_inst_prefetch_distance 0x1
	s_branch .LBB370_10
	.p2align	6
.LBB370_9:                              ;   in Loop: Header=BB370_10 Depth=1
	s_or_b32 exec_lo, exec_lo, s2
	s_add_u32 s18, s18, 1
	s_addc_u32 s19, s19, 0
	v_add_co_u32 v5, vcc_lo, v5, 8
	v_cmp_lt_i64_e64 s2, s[18:19], s[0:1]
	v_add_co_ci_u32_e32 v6, vcc_lo, 0, v6, vcc_lo
	s_delay_alu instid0(VALU_DEP_2)
	s_and_b32 vcc_lo, exec_lo, s2
	s_cbranch_vccz .LBB370_12
.LBB370_10:                             ; =>This Inner Loop Header: Depth=1
	v_add_co_u32 v10, s2, v9, s18
	s_delay_alu instid0(VALU_DEP_1) | instskip(SKIP_1) | instid1(VALU_DEP_1)
	v_add_co_ci_u32_e64 v11, null, 0, s19, s2
	s_mov_b32 s2, exec_lo
	v_cmpx_gt_i64_e64 s[0:1], v[10:11]
	s_cbranch_execz .LBB370_9
; %bb.11:                               ;   in Loop: Header=BB370_10 Depth=1
	global_load_b64 v[10:11], v[5:6], off
	s_waitcnt vmcnt(0)
	v_sub_co_u32 v12, vcc_lo, v10, s16
	v_subrev_co_ci_u32_e32 v14, vcc_lo, 0, v11, vcc_lo
	s_delay_alu instid0(VALU_DEP_2) | instskip(NEXT) | instid1(VALU_DEP_1)
	v_mad_u64_u32 v[10:11], null, v12, 38, v[1:2]
	v_mad_u64_u32 v[12:13], null, v14, 38, v[11:12]
	s_delay_alu instid0(VALU_DEP_1)
	v_mov_b32_e32 v11, v12
	global_load_u16 v12, v[3:4], off
	global_load_u16 v10, v[10:11], off
	v_add_co_u32 v3, vcc_lo, 0x2d2, v3
	v_add_co_ci_u32_e32 v4, vcc_lo, 0, v4, vcc_lo
	s_waitcnt vmcnt(1)
	v_lshlrev_b32_e32 v11, 16, v12
	s_waitcnt vmcnt(0)
	v_lshlrev_b32_e32 v10, 16, v10
	s_delay_alu instid0(VALU_DEP_1)
	v_fmac_f32_e32 v7, v11, v10
	s_branch .LBB370_9
.LBB370_12:
	s_set_inst_prefetch_distance 0x2
	v_lshlrev_b32_e32 v1, 2, v0
	s_and_b32 vcc_lo, exec_lo, s3
	ds_store_b32 v1, v7
	s_waitcnt lgkmcnt(0)
	s_barrier
	buffer_gl0_inv
	s_cbranch_vccz .LBB370_24
; %bb.13:
	s_mov_b32 s0, exec_lo
	v_cmpx_gt_u16_e32 3, v8
	s_cbranch_execz .LBB370_15
; %bb.14:
	ds_load_2addr_b32 v[2:3], v1 offset1:16
	s_waitcnt lgkmcnt(0)
	v_add_f32_e32 v2, v3, v2
	ds_store_b32 v1, v2
.LBB370_15:
	s_or_b32 exec_lo, exec_lo, s0
	s_delay_alu instid0(SALU_CYCLE_1)
	s_mov_b32 s0, exec_lo
	s_waitcnt lgkmcnt(0)
	s_barrier
	buffer_gl0_inv
	v_cmpx_gt_u16_e32 8, v8
	s_cbranch_execz .LBB370_17
; %bb.16:
	ds_load_2addr_b32 v[2:3], v1 offset1:8
	s_waitcnt lgkmcnt(0)
	v_add_f32_e32 v2, v3, v2
	ds_store_b32 v1, v2
.LBB370_17:
	s_or_b32 exec_lo, exec_lo, s0
	s_delay_alu instid0(SALU_CYCLE_1)
	s_mov_b32 s0, exec_lo
	s_waitcnt lgkmcnt(0)
	s_barrier
	buffer_gl0_inv
	;; [unrolled: 14-line block ×3, first 2 shown]
	v_cmpx_gt_u16_e32 2, v8
	s_cbranch_execz .LBB370_21
; %bb.20:
	ds_load_2addr_b32 v[2:3], v1 offset1:2
	s_waitcnt lgkmcnt(0)
	v_add_f32_e32 v2, v3, v2
	ds_store_b32 v1, v2
.LBB370_21:
	s_or_b32 exec_lo, exec_lo, s0
	s_mov_b32 s1, 0
	s_mov_b32 s0, 0
	s_mov_b32 s2, exec_lo
	s_waitcnt lgkmcnt(0)
	s_barrier
	buffer_gl0_inv
                                        ; implicit-def: $vgpr2
                                        ; implicit-def: $vgpr3
	v_cmpx_gt_u32_e32 19, v0
	s_xor_b32 s2, exec_lo, s2
; %bb.22:
	v_mad_u32_u24 v2, v0, 19, 1
	v_mad_u32_u24 v3, 0x48, v0, v1
	s_mov_b32 s0, exec_lo
; %bb.23:
	s_or_b32 exec_lo, exec_lo, s2
	s_delay_alu instid0(SALU_CYCLE_1)
	s_and_b32 vcc_lo, exec_lo, s1
	s_cbranch_vccnz .LBB370_25
	s_branch .LBB370_36
.LBB370_24:
	s_mov_b32 s0, 0
                                        ; implicit-def: $vgpr2
                                        ; implicit-def: $vgpr3
	s_cbranch_execz .LBB370_36
.LBB370_25:
	s_mov_b32 s1, exec_lo
	v_cmpx_gt_u32_e32 57, v0
	s_cbranch_execz .LBB370_27
; %bb.26:
	ds_load_b32 v2, v1 offset:1216
	ds_load_b32 v3, v1
	s_waitcnt lgkmcnt(0)
	v_add_f32_e32 v2, v2, v3
	ds_store_b32 v1, v2
.LBB370_27:
	s_or_b32 exec_lo, exec_lo, s1
	s_delay_alu instid0(SALU_CYCLE_1)
	s_mov_b32 s1, exec_lo
	s_waitcnt lgkmcnt(0)
	s_barrier
	buffer_gl0_inv
	v_cmpx_gt_u32_e32 0x98, v0
	s_cbranch_execz .LBB370_29
; %bb.28:
	ds_load_2addr_b32 v[2:3], v1 offset1:152
	s_waitcnt lgkmcnt(0)
	v_add_f32_e32 v2, v3, v2
	ds_store_b32 v1, v2
.LBB370_29:
	s_or_b32 exec_lo, exec_lo, s1
	s_delay_alu instid0(SALU_CYCLE_1)
	s_mov_b32 s1, exec_lo
	s_waitcnt lgkmcnt(0)
	s_barrier
	buffer_gl0_inv
	v_cmpx_gt_u32_e32 0x4c, v0
	s_cbranch_execz .LBB370_31
; %bb.30:
	ds_load_2addr_b32 v[2:3], v1 offset1:76
	s_waitcnt lgkmcnt(0)
	v_add_f32_e32 v2, v3, v2
	ds_store_b32 v1, v2
.LBB370_31:
	s_or_b32 exec_lo, exec_lo, s1
	s_delay_alu instid0(SALU_CYCLE_1)
	s_mov_b32 s1, exec_lo
	s_waitcnt lgkmcnt(0)
	s_barrier
	buffer_gl0_inv
	v_cmpx_gt_u32_e32 38, v0
	s_cbranch_execz .LBB370_33
; %bb.32:
	ds_load_2addr_b32 v[2:3], v1 offset1:38
	s_waitcnt lgkmcnt(0)
	v_add_f32_e32 v2, v3, v2
	ds_store_b32 v1, v2
.LBB370_33:
	s_or_b32 exec_lo, exec_lo, s1
	s_delay_alu instid0(SALU_CYCLE_1)
	s_mov_b32 s1, exec_lo
	s_waitcnt lgkmcnt(0)
	buffer_gl0_inv
                                        ; implicit-def: $vgpr2
	v_cmpx_gt_u32_e32 19, v0
; %bb.34:
	v_add_nc_u32_e32 v2, 19, v0
	s_or_b32 s0, s0, exec_lo
                                        ; implicit-def: $vgpr7
; %bb.35:
	s_or_b32 exec_lo, exec_lo, s1
	v_mov_b32_e32 v3, v1
.LBB370_36:
	s_and_saveexec_b32 s1, s0
	s_cbranch_execz .LBB370_38
; %bb.37:
	v_lshlrev_b32_e32 v1, 2, v2
	ds_load_b32 v2, v3
	ds_load_b32 v1, v1
	s_waitcnt lgkmcnt(0)
	v_add_f32_e32 v7, v2, v1
.LBB370_38:
	s_or_b32 exec_lo, exec_lo, s1
	s_delay_alu instid0(SALU_CYCLE_1)
	s_mov_b32 s0, exec_lo
	v_cmpx_gt_u32_e32 19, v0
	s_cbranch_execz .LBB370_42
; %bb.39:
	v_cmp_eq_f32_e64 s1, s8, 0
	v_mul_f32_e32 v1, s12, v7
	s_mov_b32 s3, 0
	s_mul_i32 s0, s11, 0x4c
	s_mul_i32 s2, s10, 0x4c
	s_and_b32 vcc_lo, exec_lo, s1
	s_mul_hi_u32 s1, s10, 0x4c
	s_cbranch_vccz .LBB370_43
; %bb.40:
	v_lshlrev_b32_e32 v2, 2, v0
	s_add_i32 s5, s1, s0
	s_add_u32 s4, s14, s2
	s_addc_u32 s5, s15, s5
	global_store_b32 v2, v1, s[4:5]
	s_and_not1_b32 vcc_lo, exec_lo, s3
	s_cbranch_vccnz .LBB370_42
.LBB370_41:
	v_lshlrev_b32_e32 v0, 2, v0
	s_add_i32 s1, s1, s0
	s_add_u32 s0, s14, s2
	s_addc_u32 s1, s15, s1
	global_load_b32 v2, v0, s[0:1]
	s_waitcnt vmcnt(0)
	v_fmac_f32_e32 v1, s8, v2
	global_store_b32 v0, v1, s[0:1]
.LBB370_42:
	s_nop 0
	s_sendmsg sendmsg(MSG_DEALLOC_VGPRS)
	s_endpgm
.LBB370_43:
	s_branch .LBB370_41
	.section	.rodata,"a",@progbits
	.p2align	6, 0x0
	.amdhsa_kernel _ZN9rocsparseL20bsrxmvn_17_32_kernelILj19Efll18rocsparse_bfloat16S1_fEEvT2_20rocsparse_direction_NS_24const_host_device_scalarIT0_EES2_PKS2_PKT1_SB_S8_PKT3_PKT4_S6_PT5_21rocsparse_index_base_b
		.amdhsa_group_segment_fixed_size 1444
		.amdhsa_private_segment_fixed_size 0
		.amdhsa_kernarg_size 104
		.amdhsa_user_sgpr_count 15
		.amdhsa_user_sgpr_dispatch_ptr 0
		.amdhsa_user_sgpr_queue_ptr 0
		.amdhsa_user_sgpr_kernarg_segment_ptr 1
		.amdhsa_user_sgpr_dispatch_id 0
		.amdhsa_user_sgpr_private_segment_size 0
		.amdhsa_wavefront_size32 1
		.amdhsa_uses_dynamic_stack 0
		.amdhsa_enable_private_segment 0
		.amdhsa_system_sgpr_workgroup_id_x 1
		.amdhsa_system_sgpr_workgroup_id_y 0
		.amdhsa_system_sgpr_workgroup_id_z 0
		.amdhsa_system_sgpr_workgroup_info 0
		.amdhsa_system_vgpr_workitem_id 0
		.amdhsa_next_free_vgpr 15
		.amdhsa_next_free_sgpr 24
		.amdhsa_reserve_vcc 1
		.amdhsa_float_round_mode_32 0
		.amdhsa_float_round_mode_16_64 0
		.amdhsa_float_denorm_mode_32 3
		.amdhsa_float_denorm_mode_16_64 3
		.amdhsa_dx10_clamp 1
		.amdhsa_ieee_mode 1
		.amdhsa_fp16_overflow 0
		.amdhsa_workgroup_processor_mode 1
		.amdhsa_memory_ordered 1
		.amdhsa_forward_progress 0
		.amdhsa_shared_vgpr_count 0
		.amdhsa_exception_fp_ieee_invalid_op 0
		.amdhsa_exception_fp_denorm_src 0
		.amdhsa_exception_fp_ieee_div_zero 0
		.amdhsa_exception_fp_ieee_overflow 0
		.amdhsa_exception_fp_ieee_underflow 0
		.amdhsa_exception_fp_ieee_inexact 0
		.amdhsa_exception_int_div_zero 0
	.end_amdhsa_kernel
	.section	.text._ZN9rocsparseL20bsrxmvn_17_32_kernelILj19Efll18rocsparse_bfloat16S1_fEEvT2_20rocsparse_direction_NS_24const_host_device_scalarIT0_EES2_PKS2_PKT1_SB_S8_PKT3_PKT4_S6_PT5_21rocsparse_index_base_b,"axG",@progbits,_ZN9rocsparseL20bsrxmvn_17_32_kernelILj19Efll18rocsparse_bfloat16S1_fEEvT2_20rocsparse_direction_NS_24const_host_device_scalarIT0_EES2_PKS2_PKT1_SB_S8_PKT3_PKT4_S6_PT5_21rocsparse_index_base_b,comdat
.Lfunc_end370:
	.size	_ZN9rocsparseL20bsrxmvn_17_32_kernelILj19Efll18rocsparse_bfloat16S1_fEEvT2_20rocsparse_direction_NS_24const_host_device_scalarIT0_EES2_PKS2_PKT1_SB_S8_PKT3_PKT4_S6_PT5_21rocsparse_index_base_b, .Lfunc_end370-_ZN9rocsparseL20bsrxmvn_17_32_kernelILj19Efll18rocsparse_bfloat16S1_fEEvT2_20rocsparse_direction_NS_24const_host_device_scalarIT0_EES2_PKS2_PKT1_SB_S8_PKT3_PKT4_S6_PT5_21rocsparse_index_base_b
                                        ; -- End function
	.section	.AMDGPU.csdata,"",@progbits
; Kernel info:
; codeLenInByte = 1632
; NumSgprs: 26
; NumVgprs: 15
; ScratchSize: 0
; MemoryBound: 0
; FloatMode: 240
; IeeeMode: 1
; LDSByteSize: 1444 bytes/workgroup (compile time only)
; SGPRBlocks: 3
; VGPRBlocks: 1
; NumSGPRsForWavesPerEU: 26
; NumVGPRsForWavesPerEU: 15
; Occupancy: 15
; WaveLimiterHint : 1
; COMPUTE_PGM_RSRC2:SCRATCH_EN: 0
; COMPUTE_PGM_RSRC2:USER_SGPR: 15
; COMPUTE_PGM_RSRC2:TRAP_HANDLER: 0
; COMPUTE_PGM_RSRC2:TGID_X_EN: 1
; COMPUTE_PGM_RSRC2:TGID_Y_EN: 0
; COMPUTE_PGM_RSRC2:TGID_Z_EN: 0
; COMPUTE_PGM_RSRC2:TIDIG_COMP_CNT: 0
	.section	.text._ZN9rocsparseL20bsrxmvn_17_32_kernelILj20Efll18rocsparse_bfloat16S1_fEEvT2_20rocsparse_direction_NS_24const_host_device_scalarIT0_EES2_PKS2_PKT1_SB_S8_PKT3_PKT4_S6_PT5_21rocsparse_index_base_b,"axG",@progbits,_ZN9rocsparseL20bsrxmvn_17_32_kernelILj20Efll18rocsparse_bfloat16S1_fEEvT2_20rocsparse_direction_NS_24const_host_device_scalarIT0_EES2_PKS2_PKT1_SB_S8_PKT3_PKT4_S6_PT5_21rocsparse_index_base_b,comdat
	.globl	_ZN9rocsparseL20bsrxmvn_17_32_kernelILj20Efll18rocsparse_bfloat16S1_fEEvT2_20rocsparse_direction_NS_24const_host_device_scalarIT0_EES2_PKS2_PKT1_SB_S8_PKT3_PKT4_S6_PT5_21rocsparse_index_base_b ; -- Begin function _ZN9rocsparseL20bsrxmvn_17_32_kernelILj20Efll18rocsparse_bfloat16S1_fEEvT2_20rocsparse_direction_NS_24const_host_device_scalarIT0_EES2_PKS2_PKT1_SB_S8_PKT3_PKT4_S6_PT5_21rocsparse_index_base_b
	.p2align	8
	.type	_ZN9rocsparseL20bsrxmvn_17_32_kernelILj20Efll18rocsparse_bfloat16S1_fEEvT2_20rocsparse_direction_NS_24const_host_device_scalarIT0_EES2_PKS2_PKT1_SB_S8_PKT3_PKT4_S6_PT5_21rocsparse_index_base_b,@function
_ZN9rocsparseL20bsrxmvn_17_32_kernelILj20Efll18rocsparse_bfloat16S1_fEEvT2_20rocsparse_direction_NS_24const_host_device_scalarIT0_EES2_PKS2_PKT1_SB_S8_PKT3_PKT4_S6_PT5_21rocsparse_index_base_b: ; @_ZN9rocsparseL20bsrxmvn_17_32_kernelILj20Efll18rocsparse_bfloat16S1_fEEvT2_20rocsparse_direction_NS_24const_host_device_scalarIT0_EES2_PKS2_PKT1_SB_S8_PKT3_PKT4_S6_PT5_21rocsparse_index_base_b
; %bb.0:
	s_clause 0x2
	s_load_b64 s[16:17], s[0:1], 0x60
	s_load_b64 s[12:13], s[0:1], 0x10
	;; [unrolled: 1-line block ×3, first 2 shown]
	s_mov_b32 s10, s15
	s_waitcnt lgkmcnt(0)
	s_bitcmp1_b32 s17, 0
	s_cselect_b32 s2, -1, 0
	s_delay_alu instid0(SALU_CYCLE_1)
	s_and_b32 vcc_lo, exec_lo, s2
	s_xor_b32 s2, s2, -1
	s_cbranch_vccnz .LBB371_2
; %bb.1:
	s_load_b32 s12, s[12:13], 0x0
.LBB371_2:
	s_and_not1_b32 vcc_lo, exec_lo, s2
	s_cbranch_vccnz .LBB371_4
; %bb.3:
	s_load_b32 s8, s[8:9], 0x0
.LBB371_4:
	s_waitcnt lgkmcnt(0)
	v_cmp_neq_f32_e64 s2, s12, 0
	v_cmp_neq_f32_e64 s3, s8, 1.0
	s_mov_b32 s11, 0
	s_delay_alu instid0(VALU_DEP_1) | instskip(NEXT) | instid1(SALU_CYCLE_1)
	s_or_b32 s2, s2, s3
	s_and_not1_b32 vcc_lo, exec_lo, s2
	s_cbranch_vccnz .LBB371_42
; %bb.5:
	s_clause 0x1
	s_load_b128 s[4:7], s[0:1], 0x20
	s_load_b64 s[14:15], s[0:1], 0x30
	s_waitcnt lgkmcnt(0)
	s_cmp_eq_u64 s[4:5], 0
	s_cbranch_scc1 .LBB371_7
; %bb.6:
	s_lshl_b64 s[2:3], s[10:11], 3
	s_delay_alu instid0(SALU_CYCLE_1)
	s_add_u32 s2, s4, s2
	s_addc_u32 s3, s5, s3
	s_load_b64 s[2:3], s[2:3], 0x0
	s_waitcnt lgkmcnt(0)
	s_sub_u32 s10, s2, s16
	s_subb_u32 s11, s3, 0
.LBB371_7:
	s_load_b32 s3, s[0:1], 0x8
	v_mul_u32_u24_e32 v1, 0xccd, v0
	v_mov_b32_e32 v7, 0
	s_delay_alu instid0(VALU_DEP_2) | instskip(NEXT) | instid1(VALU_DEP_1)
	v_lshrrev_b32_e32 v1, 16, v1
	v_mul_lo_u16 v2, v1, 20
	s_delay_alu instid0(VALU_DEP_1)
	v_sub_nc_u16 v8, v0, v2
	s_waitcnt lgkmcnt(0)
	s_cmp_eq_u32 s3, 1
	s_cselect_b32 s2, -1, 0
	s_cmp_lg_u32 s3, 1
	s_cselect_b32 s3, -1, 0
	s_lshl_b64 s[4:5], s[10:11], 3
	s_delay_alu instid0(SALU_CYCLE_1)
	s_add_u32 s6, s6, s4
	s_addc_u32 s7, s7, s5
	s_add_u32 s9, s6, 8
	s_addc_u32 s13, s7, 0
	;; [unrolled: 2-line block ×3, first 2 shown]
	s_cmp_eq_u64 s[14:15], 0
	s_load_b64 s[14:15], s[0:1], 0x58
	s_cselect_b32 s5, s13, s5
	s_cselect_b32 s4, s9, s4
	s_load_b64 s[20:21], s[6:7], 0x0
	s_load_b64 s[18:19], s[4:5], 0x0
	s_waitcnt lgkmcnt(0)
	v_cmp_ge_i64_e64 s4, s[20:21], s[18:19]
	s_delay_alu instid0(VALU_DEP_1)
	s_and_b32 vcc_lo, exec_lo, s4
	s_cbranch_vccnz .LBB371_12
; %bb.8:
	v_mul_lo_u16 v2, v1, 13
	v_dual_mov_b32 v7, 0 :: v_dual_and_b32 v4, 0xffff, v0
	v_and_b32_e32 v3, 0xffff, v8
	s_clause 0x1
	s_load_b128 s[4:7], s[0:1], 0x38
	s_load_b64 s[22:23], s[0:1], 0x48
	v_lshrrev_b16 v2, 8, v2
	s_sub_u32 s0, s18, s16
	s_subb_u32 s1, s19, 0
	s_sub_u32 s18, s20, s16
	s_subb_u32 s19, s21, 0
	v_mul_lo_u16 v2, v2, 20
	v_lshlrev_b32_e32 v10, 1, v0
	s_mul_hi_u32 s9, s18, 0x320
	s_mul_i32 s13, s19, 0x320
	s_mul_i32 s17, s18, 0x320
	v_sub_nc_u16 v1, v1, v2
	v_mul_u32_u24_e32 v2, 0xa4, v4
	s_add_i32 s9, s9, s13
	s_delay_alu instid0(VALU_DEP_2) | instskip(NEXT) | instid1(VALU_DEP_2)
	v_and_b32_e32 v1, 0xff, v1
	v_lshrrev_b32_e32 v9, 16, v2
	s_delay_alu instid0(VALU_DEP_2) | instskip(NEXT) | instid1(VALU_DEP_2)
	v_cndmask_b32_e64 v1, v3, v1, s2
	v_add_co_u32 v2, s2, s20, v9
	s_delay_alu instid0(VALU_DEP_1) | instskip(NEXT) | instid1(VALU_DEP_3)
	v_add_co_ci_u32_e64 v4, null, s21, 0, s2
	v_lshlrev_b32_e32 v1, 1, v1
	s_delay_alu instid0(VALU_DEP_3) | instskip(NEXT) | instid1(VALU_DEP_3)
	v_sub_co_u32 v3, vcc_lo, v2, s16
	v_subrev_co_ci_u32_e32 v4, vcc_lo, 0, v4, vcc_lo
	s_waitcnt lgkmcnt(0)
	s_add_u32 s2, s6, s17
	v_add_co_u32 v1, s6, s22, v1
	s_delay_alu instid0(VALU_DEP_2) | instskip(SKIP_3) | instid1(VALU_DEP_3)
	v_lshlrev_b64 v[5:6], 3, v[3:4]
	v_add_co_ci_u32_e64 v2, null, s23, 0, s6
	s_addc_u32 s6, s7, s9
	v_add_co_u32 v3, s2, s2, v10
	v_add_co_u32 v5, vcc_lo, s4, v5
	v_add_co_ci_u32_e64 v4, null, s6, 0, s2
	v_add_co_ci_u32_e32 v6, vcc_lo, s5, v6, vcc_lo
	s_set_inst_prefetch_distance 0x1
	s_branch .LBB371_10
	.p2align	6
.LBB371_9:                              ;   in Loop: Header=BB371_10 Depth=1
	s_or_b32 exec_lo, exec_lo, s2
	s_add_u32 s18, s18, 1
	s_addc_u32 s19, s19, 0
	v_add_co_u32 v5, vcc_lo, v5, 8
	v_cmp_lt_i64_e64 s2, s[18:19], s[0:1]
	v_add_co_ci_u32_e32 v6, vcc_lo, 0, v6, vcc_lo
	s_delay_alu instid0(VALU_DEP_2)
	s_and_b32 vcc_lo, exec_lo, s2
	s_cbranch_vccz .LBB371_12
.LBB371_10:                             ; =>This Inner Loop Header: Depth=1
	v_add_co_u32 v10, s2, v9, s18
	s_delay_alu instid0(VALU_DEP_1) | instskip(SKIP_1) | instid1(VALU_DEP_1)
	v_add_co_ci_u32_e64 v11, null, 0, s19, s2
	s_mov_b32 s2, exec_lo
	v_cmpx_gt_i64_e64 s[0:1], v[10:11]
	s_cbranch_execz .LBB371_9
; %bb.11:                               ;   in Loop: Header=BB371_10 Depth=1
	global_load_b64 v[10:11], v[5:6], off
	s_waitcnt vmcnt(0)
	v_sub_co_u32 v12, vcc_lo, v10, s16
	v_subrev_co_ci_u32_e32 v14, vcc_lo, 0, v11, vcc_lo
	s_delay_alu instid0(VALU_DEP_2) | instskip(NEXT) | instid1(VALU_DEP_1)
	v_mad_u64_u32 v[10:11], null, v12, 40, v[1:2]
	v_mad_u64_u32 v[12:13], null, v14, 40, v[11:12]
	s_delay_alu instid0(VALU_DEP_1)
	v_mov_b32_e32 v11, v12
	global_load_u16 v12, v[3:4], off
	global_load_u16 v10, v[10:11], off
	v_add_co_u32 v3, vcc_lo, 0x320, v3
	v_add_co_ci_u32_e32 v4, vcc_lo, 0, v4, vcc_lo
	s_waitcnt vmcnt(1)
	v_lshlrev_b32_e32 v11, 16, v12
	s_waitcnt vmcnt(0)
	v_lshlrev_b32_e32 v10, 16, v10
	s_delay_alu instid0(VALU_DEP_1)
	v_fmac_f32_e32 v7, v11, v10
	s_branch .LBB371_9
.LBB371_12:
	s_set_inst_prefetch_distance 0x2
	v_lshlrev_b32_e32 v1, 2, v0
	s_and_b32 vcc_lo, exec_lo, s3
	ds_store_b32 v1, v7
	s_waitcnt lgkmcnt(0)
	s_barrier
	buffer_gl0_inv
	s_cbranch_vccz .LBB371_24
; %bb.13:
	v_cmp_gt_u16_e32 vcc_lo, 4, v8
	s_and_saveexec_b32 s0, vcc_lo
	s_cbranch_execz .LBB371_15
; %bb.14:
	ds_load_2addr_b32 v[2:3], v1 offset1:16
	s_waitcnt lgkmcnt(0)
	v_add_f32_e32 v2, v3, v2
	ds_store_b32 v1, v2
.LBB371_15:
	s_or_b32 exec_lo, exec_lo, s0
	s_delay_alu instid0(SALU_CYCLE_1)
	s_mov_b32 s1, exec_lo
	s_waitcnt lgkmcnt(0)
	s_barrier
	buffer_gl0_inv
	v_cmpx_gt_u16_e32 8, v8
	s_cbranch_execz .LBB371_17
; %bb.16:
	ds_load_2addr_b32 v[2:3], v1 offset1:8
	s_waitcnt lgkmcnt(0)
	v_add_f32_e32 v2, v3, v2
	ds_store_b32 v1, v2
.LBB371_17:
	s_or_b32 exec_lo, exec_lo, s1
	s_waitcnt lgkmcnt(0)
	s_barrier
	buffer_gl0_inv
	s_and_saveexec_b32 s0, vcc_lo
	s_cbranch_execz .LBB371_19
; %bb.18:
	ds_load_2addr_b32 v[2:3], v1 offset1:4
	s_waitcnt lgkmcnt(0)
	v_add_f32_e32 v2, v3, v2
	ds_store_b32 v1, v2
.LBB371_19:
	s_or_b32 exec_lo, exec_lo, s0
	s_delay_alu instid0(SALU_CYCLE_1)
	s_mov_b32 s0, exec_lo
	s_waitcnt lgkmcnt(0)
	s_barrier
	buffer_gl0_inv
	v_cmpx_gt_u16_e32 2, v8
	s_cbranch_execz .LBB371_21
; %bb.20:
	ds_load_2addr_b32 v[2:3], v1 offset1:2
	s_waitcnt lgkmcnt(0)
	v_add_f32_e32 v2, v3, v2
	ds_store_b32 v1, v2
.LBB371_21:
	s_or_b32 exec_lo, exec_lo, s0
	s_mov_b32 s0, 0
	s_mov_b32 s1, 0
	s_mov_b32 s2, exec_lo
	s_waitcnt lgkmcnt(0)
	s_barrier
	buffer_gl0_inv
                                        ; implicit-def: $vgpr2
                                        ; implicit-def: $vgpr3
	v_cmpx_gt_u32_e32 20, v0
	s_xor_b32 s2, exec_lo, s2
; %bb.22:
	v_mul_u32_u24_e32 v2, 20, v0
	v_mad_u32_u24 v3, 0x4c, v0, v1
	s_mov_b32 s1, exec_lo
	s_delay_alu instid0(VALU_DEP_2)
	v_or_b32_e32 v2, 1, v2
; %bb.23:
	s_or_b32 exec_lo, exec_lo, s2
	s_delay_alu instid0(SALU_CYCLE_1)
	s_and_b32 vcc_lo, exec_lo, s0
	s_cbranch_vccnz .LBB371_25
	s_branch .LBB371_36
.LBB371_24:
	s_mov_b32 s1, 0
                                        ; implicit-def: $vgpr2
                                        ; implicit-def: $vgpr3
	s_cbranch_execz .LBB371_36
.LBB371_25:
	v_cmp_gt_u32_e32 vcc_lo, 0x50, v0
	s_and_saveexec_b32 s0, vcc_lo
	s_cbranch_execz .LBB371_27
; %bb.26:
	ds_load_2addr_stride64_b32 v[2:3], v1 offset1:5
	s_waitcnt lgkmcnt(0)
	v_add_f32_e32 v2, v3, v2
	ds_store_b32 v1, v2
.LBB371_27:
	s_or_b32 exec_lo, exec_lo, s0
	s_delay_alu instid0(SALU_CYCLE_1)
	s_mov_b32 s2, exec_lo
	s_waitcnt lgkmcnt(0)
	s_barrier
	buffer_gl0_inv
	v_cmpx_gt_u32_e32 0xa0, v0
	s_cbranch_execz .LBB371_29
; %bb.28:
	ds_load_2addr_b32 v[2:3], v1 offset1:160
	s_waitcnt lgkmcnt(0)
	v_add_f32_e32 v2, v3, v2
	ds_store_b32 v1, v2
.LBB371_29:
	s_or_b32 exec_lo, exec_lo, s2
	s_waitcnt lgkmcnt(0)
	s_barrier
	buffer_gl0_inv
	s_and_saveexec_b32 s0, vcc_lo
	s_cbranch_execz .LBB371_31
; %bb.30:
	ds_load_2addr_b32 v[2:3], v1 offset1:80
	s_waitcnt lgkmcnt(0)
	v_add_f32_e32 v2, v3, v2
	ds_store_b32 v1, v2
.LBB371_31:
	s_or_b32 exec_lo, exec_lo, s0
	s_delay_alu instid0(SALU_CYCLE_1)
	s_mov_b32 s0, exec_lo
	s_waitcnt lgkmcnt(0)
	s_barrier
	buffer_gl0_inv
	v_cmpx_gt_u32_e32 40, v0
	s_cbranch_execz .LBB371_33
; %bb.32:
	ds_load_2addr_b32 v[2:3], v1 offset1:40
	s_waitcnt lgkmcnt(0)
	v_add_f32_e32 v2, v3, v2
	ds_store_b32 v1, v2
.LBB371_33:
	s_or_b32 exec_lo, exec_lo, s0
	s_delay_alu instid0(SALU_CYCLE_1)
	s_mov_b32 s0, exec_lo
	s_waitcnt lgkmcnt(0)
	buffer_gl0_inv
                                        ; implicit-def: $vgpr2
	v_cmpx_gt_u32_e32 20, v0
; %bb.34:
	v_add_nc_u32_e32 v2, 20, v0
	s_or_b32 s1, s1, exec_lo
                                        ; implicit-def: $vgpr7
; %bb.35:
	s_or_b32 exec_lo, exec_lo, s0
	v_mov_b32_e32 v3, v1
.LBB371_36:
	s_and_saveexec_b32 s0, s1
	s_cbranch_execz .LBB371_38
; %bb.37:
	v_lshlrev_b32_e32 v1, 2, v2
	ds_load_b32 v2, v3
	ds_load_b32 v1, v1
	s_waitcnt lgkmcnt(0)
	v_add_f32_e32 v7, v2, v1
.LBB371_38:
	s_or_b32 exec_lo, exec_lo, s0
	s_delay_alu instid0(SALU_CYCLE_1)
	s_mov_b32 s0, exec_lo
	v_cmpx_gt_u32_e32 20, v0
	s_cbranch_execz .LBB371_42
; %bb.39:
	v_cmp_eq_f32_e64 s1, s8, 0
	v_mul_f32_e32 v1, s12, v7
	s_mov_b32 s3, 0
	s_mul_i32 s0, s11, 0x50
	s_mul_i32 s2, s10, 0x50
	s_and_b32 vcc_lo, exec_lo, s1
	s_mul_hi_u32 s1, s10, 0x50
	s_cbranch_vccz .LBB371_43
; %bb.40:
	v_lshlrev_b32_e32 v2, 2, v0
	s_add_i32 s5, s1, s0
	s_add_u32 s4, s14, s2
	s_addc_u32 s5, s15, s5
	global_store_b32 v2, v1, s[4:5]
	s_and_not1_b32 vcc_lo, exec_lo, s3
	s_cbranch_vccnz .LBB371_42
.LBB371_41:
	v_lshlrev_b32_e32 v0, 2, v0
	s_add_i32 s1, s1, s0
	s_add_u32 s0, s14, s2
	s_addc_u32 s1, s15, s1
	global_load_b32 v2, v0, s[0:1]
	s_waitcnt vmcnt(0)
	v_fmac_f32_e32 v1, s8, v2
	global_store_b32 v0, v1, s[0:1]
.LBB371_42:
	s_nop 0
	s_sendmsg sendmsg(MSG_DEALLOC_VGPRS)
	s_endpgm
.LBB371_43:
	s_branch .LBB371_41
	.section	.rodata,"a",@progbits
	.p2align	6, 0x0
	.amdhsa_kernel _ZN9rocsparseL20bsrxmvn_17_32_kernelILj20Efll18rocsparse_bfloat16S1_fEEvT2_20rocsparse_direction_NS_24const_host_device_scalarIT0_EES2_PKS2_PKT1_SB_S8_PKT3_PKT4_S6_PT5_21rocsparse_index_base_b
		.amdhsa_group_segment_fixed_size 1600
		.amdhsa_private_segment_fixed_size 0
		.amdhsa_kernarg_size 104
		.amdhsa_user_sgpr_count 15
		.amdhsa_user_sgpr_dispatch_ptr 0
		.amdhsa_user_sgpr_queue_ptr 0
		.amdhsa_user_sgpr_kernarg_segment_ptr 1
		.amdhsa_user_sgpr_dispatch_id 0
		.amdhsa_user_sgpr_private_segment_size 0
		.amdhsa_wavefront_size32 1
		.amdhsa_uses_dynamic_stack 0
		.amdhsa_enable_private_segment 0
		.amdhsa_system_sgpr_workgroup_id_x 1
		.amdhsa_system_sgpr_workgroup_id_y 0
		.amdhsa_system_sgpr_workgroup_id_z 0
		.amdhsa_system_sgpr_workgroup_info 0
		.amdhsa_system_vgpr_workitem_id 0
		.amdhsa_next_free_vgpr 15
		.amdhsa_next_free_sgpr 24
		.amdhsa_reserve_vcc 1
		.amdhsa_float_round_mode_32 0
		.amdhsa_float_round_mode_16_64 0
		.amdhsa_float_denorm_mode_32 3
		.amdhsa_float_denorm_mode_16_64 3
		.amdhsa_dx10_clamp 1
		.amdhsa_ieee_mode 1
		.amdhsa_fp16_overflow 0
		.amdhsa_workgroup_processor_mode 1
		.amdhsa_memory_ordered 1
		.amdhsa_forward_progress 0
		.amdhsa_shared_vgpr_count 0
		.amdhsa_exception_fp_ieee_invalid_op 0
		.amdhsa_exception_fp_denorm_src 0
		.amdhsa_exception_fp_ieee_div_zero 0
		.amdhsa_exception_fp_ieee_overflow 0
		.amdhsa_exception_fp_ieee_underflow 0
		.amdhsa_exception_fp_ieee_inexact 0
		.amdhsa_exception_int_div_zero 0
	.end_amdhsa_kernel
	.section	.text._ZN9rocsparseL20bsrxmvn_17_32_kernelILj20Efll18rocsparse_bfloat16S1_fEEvT2_20rocsparse_direction_NS_24const_host_device_scalarIT0_EES2_PKS2_PKT1_SB_S8_PKT3_PKT4_S6_PT5_21rocsparse_index_base_b,"axG",@progbits,_ZN9rocsparseL20bsrxmvn_17_32_kernelILj20Efll18rocsparse_bfloat16S1_fEEvT2_20rocsparse_direction_NS_24const_host_device_scalarIT0_EES2_PKS2_PKT1_SB_S8_PKT3_PKT4_S6_PT5_21rocsparse_index_base_b,comdat
.Lfunc_end371:
	.size	_ZN9rocsparseL20bsrxmvn_17_32_kernelILj20Efll18rocsparse_bfloat16S1_fEEvT2_20rocsparse_direction_NS_24const_host_device_scalarIT0_EES2_PKS2_PKT1_SB_S8_PKT3_PKT4_S6_PT5_21rocsparse_index_base_b, .Lfunc_end371-_ZN9rocsparseL20bsrxmvn_17_32_kernelILj20Efll18rocsparse_bfloat16S1_fEEvT2_20rocsparse_direction_NS_24const_host_device_scalarIT0_EES2_PKS2_PKT1_SB_S8_PKT3_PKT4_S6_PT5_21rocsparse_index_base_b
                                        ; -- End function
	.section	.AMDGPU.csdata,"",@progbits
; Kernel info:
; codeLenInByte = 1612
; NumSgprs: 26
; NumVgprs: 15
; ScratchSize: 0
; MemoryBound: 0
; FloatMode: 240
; IeeeMode: 1
; LDSByteSize: 1600 bytes/workgroup (compile time only)
; SGPRBlocks: 3
; VGPRBlocks: 1
; NumSGPRsForWavesPerEU: 26
; NumVGPRsForWavesPerEU: 15
; Occupancy: 13
; WaveLimiterHint : 1
; COMPUTE_PGM_RSRC2:SCRATCH_EN: 0
; COMPUTE_PGM_RSRC2:USER_SGPR: 15
; COMPUTE_PGM_RSRC2:TRAP_HANDLER: 0
; COMPUTE_PGM_RSRC2:TGID_X_EN: 1
; COMPUTE_PGM_RSRC2:TGID_Y_EN: 0
; COMPUTE_PGM_RSRC2:TGID_Z_EN: 0
; COMPUTE_PGM_RSRC2:TIDIG_COMP_CNT: 0
	.section	.text._ZN9rocsparseL20bsrxmvn_17_32_kernelILj21Efll18rocsparse_bfloat16S1_fEEvT2_20rocsparse_direction_NS_24const_host_device_scalarIT0_EES2_PKS2_PKT1_SB_S8_PKT3_PKT4_S6_PT5_21rocsparse_index_base_b,"axG",@progbits,_ZN9rocsparseL20bsrxmvn_17_32_kernelILj21Efll18rocsparse_bfloat16S1_fEEvT2_20rocsparse_direction_NS_24const_host_device_scalarIT0_EES2_PKS2_PKT1_SB_S8_PKT3_PKT4_S6_PT5_21rocsparse_index_base_b,comdat
	.globl	_ZN9rocsparseL20bsrxmvn_17_32_kernelILj21Efll18rocsparse_bfloat16S1_fEEvT2_20rocsparse_direction_NS_24const_host_device_scalarIT0_EES2_PKS2_PKT1_SB_S8_PKT3_PKT4_S6_PT5_21rocsparse_index_base_b ; -- Begin function _ZN9rocsparseL20bsrxmvn_17_32_kernelILj21Efll18rocsparse_bfloat16S1_fEEvT2_20rocsparse_direction_NS_24const_host_device_scalarIT0_EES2_PKS2_PKT1_SB_S8_PKT3_PKT4_S6_PT5_21rocsparse_index_base_b
	.p2align	8
	.type	_ZN9rocsparseL20bsrxmvn_17_32_kernelILj21Efll18rocsparse_bfloat16S1_fEEvT2_20rocsparse_direction_NS_24const_host_device_scalarIT0_EES2_PKS2_PKT1_SB_S8_PKT3_PKT4_S6_PT5_21rocsparse_index_base_b,@function
_ZN9rocsparseL20bsrxmvn_17_32_kernelILj21Efll18rocsparse_bfloat16S1_fEEvT2_20rocsparse_direction_NS_24const_host_device_scalarIT0_EES2_PKS2_PKT1_SB_S8_PKT3_PKT4_S6_PT5_21rocsparse_index_base_b: ; @_ZN9rocsparseL20bsrxmvn_17_32_kernelILj21Efll18rocsparse_bfloat16S1_fEEvT2_20rocsparse_direction_NS_24const_host_device_scalarIT0_EES2_PKS2_PKT1_SB_S8_PKT3_PKT4_S6_PT5_21rocsparse_index_base_b
; %bb.0:
	s_clause 0x2
	s_load_b64 s[16:17], s[0:1], 0x60
	s_load_b64 s[12:13], s[0:1], 0x10
	;; [unrolled: 1-line block ×3, first 2 shown]
	s_mov_b32 s10, s15
	s_waitcnt lgkmcnt(0)
	s_bitcmp1_b32 s17, 0
	s_cselect_b32 s2, -1, 0
	s_delay_alu instid0(SALU_CYCLE_1)
	s_and_b32 vcc_lo, exec_lo, s2
	s_xor_b32 s2, s2, -1
	s_cbranch_vccnz .LBB372_2
; %bb.1:
	s_load_b32 s12, s[12:13], 0x0
.LBB372_2:
	s_and_not1_b32 vcc_lo, exec_lo, s2
	s_cbranch_vccnz .LBB372_4
; %bb.3:
	s_load_b32 s8, s[8:9], 0x0
.LBB372_4:
	s_waitcnt lgkmcnt(0)
	v_cmp_neq_f32_e64 s2, s12, 0
	v_cmp_neq_f32_e64 s3, s8, 1.0
	s_mov_b32 s11, 0
	s_delay_alu instid0(VALU_DEP_1) | instskip(NEXT) | instid1(SALU_CYCLE_1)
	s_or_b32 s2, s2, s3
	s_and_not1_b32 vcc_lo, exec_lo, s2
	s_cbranch_vccnz .LBB372_42
; %bb.5:
	s_clause 0x1
	s_load_b128 s[4:7], s[0:1], 0x20
	s_load_b64 s[14:15], s[0:1], 0x30
	s_waitcnt lgkmcnt(0)
	s_cmp_eq_u64 s[4:5], 0
	s_cbranch_scc1 .LBB372_7
; %bb.6:
	s_lshl_b64 s[2:3], s[10:11], 3
	s_delay_alu instid0(SALU_CYCLE_1)
	s_add_u32 s2, s4, s2
	s_addc_u32 s3, s5, s3
	s_load_b64 s[2:3], s[2:3], 0x0
	s_waitcnt lgkmcnt(0)
	s_sub_u32 s10, s2, s16
	s_subb_u32 s11, s3, 0
.LBB372_7:
	s_load_b32 s3, s[0:1], 0x8
	v_mul_u32_u24_e32 v1, 0xc31, v0
	v_mov_b32_e32 v7, 0
	s_delay_alu instid0(VALU_DEP_2) | instskip(NEXT) | instid1(VALU_DEP_1)
	v_lshrrev_b32_e32 v1, 16, v1
	v_mul_lo_u16 v2, v1, 21
	s_delay_alu instid0(VALU_DEP_1)
	v_sub_nc_u16 v8, v0, v2
	s_waitcnt lgkmcnt(0)
	s_cmp_eq_u32 s3, 1
	s_cselect_b32 s2, -1, 0
	s_cmp_lg_u32 s3, 1
	s_cselect_b32 s3, -1, 0
	s_lshl_b64 s[4:5], s[10:11], 3
	s_delay_alu instid0(SALU_CYCLE_1)
	s_add_u32 s6, s6, s4
	s_addc_u32 s7, s7, s5
	s_add_u32 s9, s6, 8
	s_addc_u32 s13, s7, 0
	;; [unrolled: 2-line block ×3, first 2 shown]
	s_cmp_eq_u64 s[14:15], 0
	s_load_b64 s[14:15], s[0:1], 0x58
	s_cselect_b32 s5, s13, s5
	s_cselect_b32 s4, s9, s4
	s_load_b64 s[20:21], s[6:7], 0x0
	s_load_b64 s[18:19], s[4:5], 0x0
	s_waitcnt lgkmcnt(0)
	v_cmp_ge_i64_e64 s4, s[20:21], s[18:19]
	s_delay_alu instid0(VALU_DEP_1)
	s_and_b32 vcc_lo, exec_lo, s4
	s_cbranch_vccnz .LBB372_12
; %bb.8:
	v_mul_lo_u16 v2, v1, 25
	v_dual_mov_b32 v7, 0 :: v_dual_and_b32 v4, 0xffff, v0
	v_and_b32_e32 v3, 0xffff, v8
	s_clause 0x1
	s_load_b128 s[4:7], s[0:1], 0x38
	s_load_b64 s[22:23], s[0:1], 0x48
	v_lshrrev_b16 v2, 9, v2
	s_sub_u32 s0, s18, s16
	s_subb_u32 s1, s19, 0
	s_sub_u32 s18, s20, s16
	s_subb_u32 s19, s21, 0
	v_mul_lo_u16 v2, v2, 21
	v_lshlrev_b32_e32 v10, 1, v0
	s_mul_hi_u32 s9, s18, 0x372
	s_mul_i32 s13, s19, 0x372
	s_mul_i32 s17, s18, 0x372
	v_sub_nc_u16 v1, v1, v2
	v_mul_u32_u24_e32 v2, 0x253, v4
	s_add_i32 s9, s9, s13
	s_delay_alu instid0(VALU_DEP_2) | instskip(NEXT) | instid1(VALU_DEP_2)
	v_and_b32_e32 v1, 0xff, v1
	v_lshrrev_b32_e32 v9, 18, v2
	s_delay_alu instid0(VALU_DEP_2) | instskip(NEXT) | instid1(VALU_DEP_2)
	v_cndmask_b32_e64 v1, v3, v1, s2
	v_add_co_u32 v2, s2, s20, v9
	s_delay_alu instid0(VALU_DEP_1) | instskip(NEXT) | instid1(VALU_DEP_3)
	v_add_co_ci_u32_e64 v4, null, s21, 0, s2
	v_lshlrev_b32_e32 v1, 1, v1
	s_delay_alu instid0(VALU_DEP_3) | instskip(NEXT) | instid1(VALU_DEP_3)
	v_sub_co_u32 v3, vcc_lo, v2, s16
	v_subrev_co_ci_u32_e32 v4, vcc_lo, 0, v4, vcc_lo
	s_waitcnt lgkmcnt(0)
	s_add_u32 s2, s6, s17
	v_add_co_u32 v1, s6, s22, v1
	s_delay_alu instid0(VALU_DEP_2) | instskip(SKIP_3) | instid1(VALU_DEP_3)
	v_lshlrev_b64 v[5:6], 3, v[3:4]
	v_add_co_ci_u32_e64 v2, null, s23, 0, s6
	s_addc_u32 s6, s7, s9
	v_add_co_u32 v3, s2, s2, v10
	v_add_co_u32 v5, vcc_lo, s4, v5
	v_add_co_ci_u32_e64 v4, null, s6, 0, s2
	v_add_co_ci_u32_e32 v6, vcc_lo, s5, v6, vcc_lo
	s_set_inst_prefetch_distance 0x1
	s_branch .LBB372_10
	.p2align	6
.LBB372_9:                              ;   in Loop: Header=BB372_10 Depth=1
	s_or_b32 exec_lo, exec_lo, s2
	s_add_u32 s18, s18, 1
	s_addc_u32 s19, s19, 0
	v_add_co_u32 v5, vcc_lo, v5, 8
	v_cmp_lt_i64_e64 s2, s[18:19], s[0:1]
	v_add_co_ci_u32_e32 v6, vcc_lo, 0, v6, vcc_lo
	s_delay_alu instid0(VALU_DEP_2)
	s_and_b32 vcc_lo, exec_lo, s2
	s_cbranch_vccz .LBB372_12
.LBB372_10:                             ; =>This Inner Loop Header: Depth=1
	v_add_co_u32 v10, s2, v9, s18
	s_delay_alu instid0(VALU_DEP_1) | instskip(SKIP_1) | instid1(VALU_DEP_1)
	v_add_co_ci_u32_e64 v11, null, 0, s19, s2
	s_mov_b32 s2, exec_lo
	v_cmpx_gt_i64_e64 s[0:1], v[10:11]
	s_cbranch_execz .LBB372_9
; %bb.11:                               ;   in Loop: Header=BB372_10 Depth=1
	global_load_b64 v[10:11], v[5:6], off
	s_waitcnt vmcnt(0)
	v_sub_co_u32 v12, vcc_lo, v10, s16
	v_subrev_co_ci_u32_e32 v14, vcc_lo, 0, v11, vcc_lo
	s_delay_alu instid0(VALU_DEP_2) | instskip(NEXT) | instid1(VALU_DEP_1)
	v_mad_u64_u32 v[10:11], null, v12, 42, v[1:2]
	v_mad_u64_u32 v[12:13], null, v14, 42, v[11:12]
	s_delay_alu instid0(VALU_DEP_1)
	v_mov_b32_e32 v11, v12
	global_load_u16 v12, v[3:4], off
	global_load_u16 v10, v[10:11], off
	v_add_co_u32 v3, vcc_lo, 0x372, v3
	v_add_co_ci_u32_e32 v4, vcc_lo, 0, v4, vcc_lo
	s_waitcnt vmcnt(1)
	v_lshlrev_b32_e32 v11, 16, v12
	s_waitcnt vmcnt(0)
	v_lshlrev_b32_e32 v10, 16, v10
	s_delay_alu instid0(VALU_DEP_1)
	v_fmac_f32_e32 v7, v11, v10
	s_branch .LBB372_9
.LBB372_12:
	s_set_inst_prefetch_distance 0x2
	v_lshlrev_b32_e32 v1, 2, v0
	s_and_b32 vcc_lo, exec_lo, s3
	ds_store_b32 v1, v7
	s_waitcnt lgkmcnt(0)
	s_barrier
	buffer_gl0_inv
	s_cbranch_vccz .LBB372_24
; %bb.13:
	s_mov_b32 s0, exec_lo
	v_cmpx_gt_u16_e32 5, v8
	s_cbranch_execz .LBB372_15
; %bb.14:
	ds_load_2addr_b32 v[2:3], v1 offset1:16
	s_waitcnt lgkmcnt(0)
	v_add_f32_e32 v2, v3, v2
	ds_store_b32 v1, v2
.LBB372_15:
	s_or_b32 exec_lo, exec_lo, s0
	s_delay_alu instid0(SALU_CYCLE_1)
	s_mov_b32 s0, exec_lo
	s_waitcnt lgkmcnt(0)
	s_barrier
	buffer_gl0_inv
	v_cmpx_gt_u16_e32 8, v8
	s_cbranch_execz .LBB372_17
; %bb.16:
	ds_load_2addr_b32 v[2:3], v1 offset1:8
	s_waitcnt lgkmcnt(0)
	v_add_f32_e32 v2, v3, v2
	ds_store_b32 v1, v2
.LBB372_17:
	s_or_b32 exec_lo, exec_lo, s0
	s_delay_alu instid0(SALU_CYCLE_1)
	s_mov_b32 s0, exec_lo
	s_waitcnt lgkmcnt(0)
	s_barrier
	buffer_gl0_inv
	;; [unrolled: 14-line block ×3, first 2 shown]
	v_cmpx_gt_u16_e32 2, v8
	s_cbranch_execz .LBB372_21
; %bb.20:
	ds_load_2addr_b32 v[2:3], v1 offset1:2
	s_waitcnt lgkmcnt(0)
	v_add_f32_e32 v2, v3, v2
	ds_store_b32 v1, v2
.LBB372_21:
	s_or_b32 exec_lo, exec_lo, s0
	s_mov_b32 s1, 0
	s_mov_b32 s0, 0
	s_mov_b32 s2, exec_lo
	s_waitcnt lgkmcnt(0)
	s_barrier
	buffer_gl0_inv
                                        ; implicit-def: $vgpr2
                                        ; implicit-def: $vgpr3
	v_cmpx_gt_u32_e32 21, v0
	s_xor_b32 s2, exec_lo, s2
; %bb.22:
	v_mad_u32_u24 v2, v0, 21, 1
	v_mad_u32_u24 v3, 0x50, v0, v1
	s_mov_b32 s0, exec_lo
; %bb.23:
	s_or_b32 exec_lo, exec_lo, s2
	s_delay_alu instid0(SALU_CYCLE_1)
	s_and_b32 vcc_lo, exec_lo, s1
	s_cbranch_vccnz .LBB372_25
	s_branch .LBB372_36
.LBB372_24:
	s_mov_b32 s0, 0
                                        ; implicit-def: $vgpr2
                                        ; implicit-def: $vgpr3
	s_cbranch_execz .LBB372_36
.LBB372_25:
	s_mov_b32 s1, exec_lo
	v_cmpx_gt_u32_e32 0x69, v0
	s_cbranch_execz .LBB372_27
; %bb.26:
	ds_load_b32 v2, v1 offset:1344
	ds_load_b32 v3, v1
	s_waitcnt lgkmcnt(0)
	v_add_f32_e32 v2, v2, v3
	ds_store_b32 v1, v2
.LBB372_27:
	s_or_b32 exec_lo, exec_lo, s1
	s_delay_alu instid0(SALU_CYCLE_1)
	s_mov_b32 s1, exec_lo
	s_waitcnt lgkmcnt(0)
	s_barrier
	buffer_gl0_inv
	v_cmpx_gt_u32_e32 0xa8, v0
	s_cbranch_execz .LBB372_29
; %bb.28:
	ds_load_2addr_b32 v[2:3], v1 offset1:168
	s_waitcnt lgkmcnt(0)
	v_add_f32_e32 v2, v3, v2
	ds_store_b32 v1, v2
.LBB372_29:
	s_or_b32 exec_lo, exec_lo, s1
	s_delay_alu instid0(SALU_CYCLE_1)
	s_mov_b32 s1, exec_lo
	s_waitcnt lgkmcnt(0)
	s_barrier
	buffer_gl0_inv
	v_cmpx_gt_u32_e32 0x54, v0
	s_cbranch_execz .LBB372_31
; %bb.30:
	ds_load_2addr_b32 v[2:3], v1 offset1:84
	s_waitcnt lgkmcnt(0)
	v_add_f32_e32 v2, v3, v2
	ds_store_b32 v1, v2
.LBB372_31:
	;; [unrolled: 14-line block ×3, first 2 shown]
	s_or_b32 exec_lo, exec_lo, s1
	s_delay_alu instid0(SALU_CYCLE_1)
	s_mov_b32 s1, exec_lo
	s_waitcnt lgkmcnt(0)
	buffer_gl0_inv
                                        ; implicit-def: $vgpr2
	v_cmpx_gt_u32_e32 21, v0
; %bb.34:
	v_add_nc_u32_e32 v2, 21, v0
	s_or_b32 s0, s0, exec_lo
                                        ; implicit-def: $vgpr7
; %bb.35:
	s_or_b32 exec_lo, exec_lo, s1
	v_mov_b32_e32 v3, v1
.LBB372_36:
	s_and_saveexec_b32 s1, s0
	s_cbranch_execz .LBB372_38
; %bb.37:
	v_lshlrev_b32_e32 v1, 2, v2
	ds_load_b32 v2, v3
	ds_load_b32 v1, v1
	s_waitcnt lgkmcnt(0)
	v_add_f32_e32 v7, v2, v1
.LBB372_38:
	s_or_b32 exec_lo, exec_lo, s1
	s_delay_alu instid0(SALU_CYCLE_1)
	s_mov_b32 s0, exec_lo
	v_cmpx_gt_u32_e32 21, v0
	s_cbranch_execz .LBB372_42
; %bb.39:
	v_cmp_eq_f32_e64 s1, s8, 0
	v_mul_f32_e32 v1, s12, v7
	s_mov_b32 s3, 0
	s_mul_i32 s0, s11, 0x54
	s_mul_i32 s2, s10, 0x54
	s_and_b32 vcc_lo, exec_lo, s1
	s_mul_hi_u32 s1, s10, 0x54
	s_cbranch_vccz .LBB372_43
; %bb.40:
	v_lshlrev_b32_e32 v2, 2, v0
	s_add_i32 s5, s1, s0
	s_add_u32 s4, s14, s2
	s_addc_u32 s5, s15, s5
	global_store_b32 v2, v1, s[4:5]
	s_and_not1_b32 vcc_lo, exec_lo, s3
	s_cbranch_vccnz .LBB372_42
.LBB372_41:
	v_lshlrev_b32_e32 v0, 2, v0
	s_add_i32 s1, s1, s0
	s_add_u32 s0, s14, s2
	s_addc_u32 s1, s15, s1
	global_load_b32 v2, v0, s[0:1]
	s_waitcnt vmcnt(0)
	v_fmac_f32_e32 v1, s8, v2
	global_store_b32 v0, v1, s[0:1]
.LBB372_42:
	s_nop 0
	s_sendmsg sendmsg(MSG_DEALLOC_VGPRS)
	s_endpgm
.LBB372_43:
	s_branch .LBB372_41
	.section	.rodata,"a",@progbits
	.p2align	6, 0x0
	.amdhsa_kernel _ZN9rocsparseL20bsrxmvn_17_32_kernelILj21Efll18rocsparse_bfloat16S1_fEEvT2_20rocsparse_direction_NS_24const_host_device_scalarIT0_EES2_PKS2_PKT1_SB_S8_PKT3_PKT4_S6_PT5_21rocsparse_index_base_b
		.amdhsa_group_segment_fixed_size 1764
		.amdhsa_private_segment_fixed_size 0
		.amdhsa_kernarg_size 104
		.amdhsa_user_sgpr_count 15
		.amdhsa_user_sgpr_dispatch_ptr 0
		.amdhsa_user_sgpr_queue_ptr 0
		.amdhsa_user_sgpr_kernarg_segment_ptr 1
		.amdhsa_user_sgpr_dispatch_id 0
		.amdhsa_user_sgpr_private_segment_size 0
		.amdhsa_wavefront_size32 1
		.amdhsa_uses_dynamic_stack 0
		.amdhsa_enable_private_segment 0
		.amdhsa_system_sgpr_workgroup_id_x 1
		.amdhsa_system_sgpr_workgroup_id_y 0
		.amdhsa_system_sgpr_workgroup_id_z 0
		.amdhsa_system_sgpr_workgroup_info 0
		.amdhsa_system_vgpr_workitem_id 0
		.amdhsa_next_free_vgpr 15
		.amdhsa_next_free_sgpr 24
		.amdhsa_reserve_vcc 1
		.amdhsa_float_round_mode_32 0
		.amdhsa_float_round_mode_16_64 0
		.amdhsa_float_denorm_mode_32 3
		.amdhsa_float_denorm_mode_16_64 3
		.amdhsa_dx10_clamp 1
		.amdhsa_ieee_mode 1
		.amdhsa_fp16_overflow 0
		.amdhsa_workgroup_processor_mode 1
		.amdhsa_memory_ordered 1
		.amdhsa_forward_progress 0
		.amdhsa_shared_vgpr_count 0
		.amdhsa_exception_fp_ieee_invalid_op 0
		.amdhsa_exception_fp_denorm_src 0
		.amdhsa_exception_fp_ieee_div_zero 0
		.amdhsa_exception_fp_ieee_overflow 0
		.amdhsa_exception_fp_ieee_underflow 0
		.amdhsa_exception_fp_ieee_inexact 0
		.amdhsa_exception_int_div_zero 0
	.end_amdhsa_kernel
	.section	.text._ZN9rocsparseL20bsrxmvn_17_32_kernelILj21Efll18rocsparse_bfloat16S1_fEEvT2_20rocsparse_direction_NS_24const_host_device_scalarIT0_EES2_PKS2_PKT1_SB_S8_PKT3_PKT4_S6_PT5_21rocsparse_index_base_b,"axG",@progbits,_ZN9rocsparseL20bsrxmvn_17_32_kernelILj21Efll18rocsparse_bfloat16S1_fEEvT2_20rocsparse_direction_NS_24const_host_device_scalarIT0_EES2_PKS2_PKT1_SB_S8_PKT3_PKT4_S6_PT5_21rocsparse_index_base_b,comdat
.Lfunc_end372:
	.size	_ZN9rocsparseL20bsrxmvn_17_32_kernelILj21Efll18rocsparse_bfloat16S1_fEEvT2_20rocsparse_direction_NS_24const_host_device_scalarIT0_EES2_PKS2_PKT1_SB_S8_PKT3_PKT4_S6_PT5_21rocsparse_index_base_b, .Lfunc_end372-_ZN9rocsparseL20bsrxmvn_17_32_kernelILj21Efll18rocsparse_bfloat16S1_fEEvT2_20rocsparse_direction_NS_24const_host_device_scalarIT0_EES2_PKS2_PKT1_SB_S8_PKT3_PKT4_S6_PT5_21rocsparse_index_base_b
                                        ; -- End function
	.section	.AMDGPU.csdata,"",@progbits
; Kernel info:
; codeLenInByte = 1636
; NumSgprs: 26
; NumVgprs: 15
; ScratchSize: 0
; MemoryBound: 0
; FloatMode: 240
; IeeeMode: 1
; LDSByteSize: 1764 bytes/workgroup (compile time only)
; SGPRBlocks: 3
; VGPRBlocks: 1
; NumSGPRsForWavesPerEU: 26
; NumVGPRsForWavesPerEU: 15
; Occupancy: 14
; WaveLimiterHint : 1
; COMPUTE_PGM_RSRC2:SCRATCH_EN: 0
; COMPUTE_PGM_RSRC2:USER_SGPR: 15
; COMPUTE_PGM_RSRC2:TRAP_HANDLER: 0
; COMPUTE_PGM_RSRC2:TGID_X_EN: 1
; COMPUTE_PGM_RSRC2:TGID_Y_EN: 0
; COMPUTE_PGM_RSRC2:TGID_Z_EN: 0
; COMPUTE_PGM_RSRC2:TIDIG_COMP_CNT: 0
	.section	.text._ZN9rocsparseL20bsrxmvn_17_32_kernelILj22Efll18rocsparse_bfloat16S1_fEEvT2_20rocsparse_direction_NS_24const_host_device_scalarIT0_EES2_PKS2_PKT1_SB_S8_PKT3_PKT4_S6_PT5_21rocsparse_index_base_b,"axG",@progbits,_ZN9rocsparseL20bsrxmvn_17_32_kernelILj22Efll18rocsparse_bfloat16S1_fEEvT2_20rocsparse_direction_NS_24const_host_device_scalarIT0_EES2_PKS2_PKT1_SB_S8_PKT3_PKT4_S6_PT5_21rocsparse_index_base_b,comdat
	.globl	_ZN9rocsparseL20bsrxmvn_17_32_kernelILj22Efll18rocsparse_bfloat16S1_fEEvT2_20rocsparse_direction_NS_24const_host_device_scalarIT0_EES2_PKS2_PKT1_SB_S8_PKT3_PKT4_S6_PT5_21rocsparse_index_base_b ; -- Begin function _ZN9rocsparseL20bsrxmvn_17_32_kernelILj22Efll18rocsparse_bfloat16S1_fEEvT2_20rocsparse_direction_NS_24const_host_device_scalarIT0_EES2_PKS2_PKT1_SB_S8_PKT3_PKT4_S6_PT5_21rocsparse_index_base_b
	.p2align	8
	.type	_ZN9rocsparseL20bsrxmvn_17_32_kernelILj22Efll18rocsparse_bfloat16S1_fEEvT2_20rocsparse_direction_NS_24const_host_device_scalarIT0_EES2_PKS2_PKT1_SB_S8_PKT3_PKT4_S6_PT5_21rocsparse_index_base_b,@function
_ZN9rocsparseL20bsrxmvn_17_32_kernelILj22Efll18rocsparse_bfloat16S1_fEEvT2_20rocsparse_direction_NS_24const_host_device_scalarIT0_EES2_PKS2_PKT1_SB_S8_PKT3_PKT4_S6_PT5_21rocsparse_index_base_b: ; @_ZN9rocsparseL20bsrxmvn_17_32_kernelILj22Efll18rocsparse_bfloat16S1_fEEvT2_20rocsparse_direction_NS_24const_host_device_scalarIT0_EES2_PKS2_PKT1_SB_S8_PKT3_PKT4_S6_PT5_21rocsparse_index_base_b
; %bb.0:
	s_clause 0x2
	s_load_b64 s[16:17], s[0:1], 0x60
	s_load_b64 s[12:13], s[0:1], 0x10
	;; [unrolled: 1-line block ×3, first 2 shown]
	s_mov_b32 s10, s15
	s_waitcnt lgkmcnt(0)
	s_bitcmp1_b32 s17, 0
	s_cselect_b32 s2, -1, 0
	s_delay_alu instid0(SALU_CYCLE_1)
	s_and_b32 vcc_lo, exec_lo, s2
	s_xor_b32 s2, s2, -1
	s_cbranch_vccnz .LBB373_2
; %bb.1:
	s_load_b32 s12, s[12:13], 0x0
.LBB373_2:
	s_and_not1_b32 vcc_lo, exec_lo, s2
	s_cbranch_vccnz .LBB373_4
; %bb.3:
	s_load_b32 s8, s[8:9], 0x0
.LBB373_4:
	s_waitcnt lgkmcnt(0)
	v_cmp_neq_f32_e64 s2, s12, 0
	v_cmp_neq_f32_e64 s3, s8, 1.0
	s_mov_b32 s11, 0
	s_delay_alu instid0(VALU_DEP_1) | instskip(NEXT) | instid1(SALU_CYCLE_1)
	s_or_b32 s2, s2, s3
	s_and_not1_b32 vcc_lo, exec_lo, s2
	s_cbranch_vccnz .LBB373_42
; %bb.5:
	s_clause 0x1
	s_load_b128 s[4:7], s[0:1], 0x20
	s_load_b64 s[14:15], s[0:1], 0x30
	s_waitcnt lgkmcnt(0)
	s_cmp_eq_u64 s[4:5], 0
	s_cbranch_scc1 .LBB373_7
; %bb.6:
	s_lshl_b64 s[2:3], s[10:11], 3
	s_delay_alu instid0(SALU_CYCLE_1)
	s_add_u32 s2, s4, s2
	s_addc_u32 s3, s5, s3
	s_load_b64 s[2:3], s[2:3], 0x0
	s_waitcnt lgkmcnt(0)
	s_sub_u32 s10, s2, s16
	s_subb_u32 s11, s3, 0
.LBB373_7:
	s_load_b32 s3, s[0:1], 0x8
	v_mul_u32_u24_e32 v1, 0xba3, v0
	v_mov_b32_e32 v7, 0
	s_delay_alu instid0(VALU_DEP_2) | instskip(NEXT) | instid1(VALU_DEP_1)
	v_lshrrev_b32_e32 v1, 16, v1
	v_mul_lo_u16 v2, v1, 22
	s_delay_alu instid0(VALU_DEP_1)
	v_sub_nc_u16 v8, v0, v2
	s_waitcnt lgkmcnt(0)
	s_cmp_eq_u32 s3, 1
	s_cselect_b32 s2, -1, 0
	s_cmp_lg_u32 s3, 1
	s_cselect_b32 s3, -1, 0
	s_lshl_b64 s[4:5], s[10:11], 3
	s_delay_alu instid0(SALU_CYCLE_1)
	s_add_u32 s6, s6, s4
	s_addc_u32 s7, s7, s5
	s_add_u32 s9, s6, 8
	s_addc_u32 s13, s7, 0
	;; [unrolled: 2-line block ×3, first 2 shown]
	s_cmp_eq_u64 s[14:15], 0
	s_load_b64 s[14:15], s[0:1], 0x58
	s_cselect_b32 s5, s13, s5
	s_cselect_b32 s4, s9, s4
	s_load_b64 s[20:21], s[6:7], 0x0
	s_load_b64 s[18:19], s[4:5], 0x0
	s_waitcnt lgkmcnt(0)
	v_cmp_ge_i64_e64 s4, s[20:21], s[18:19]
	s_delay_alu instid0(VALU_DEP_1)
	s_and_b32 vcc_lo, exec_lo, s4
	s_cbranch_vccnz .LBB373_12
; %bb.8:
	v_mul_lo_u16 v2, v1, 12
	v_dual_mov_b32 v7, 0 :: v_dual_and_b32 v4, 0xffff, v0
	v_and_b32_e32 v3, 0xffff, v8
	s_clause 0x1
	s_load_b128 s[4:7], s[0:1], 0x38
	s_load_b64 s[22:23], s[0:1], 0x48
	v_lshrrev_b16 v2, 8, v2
	s_sub_u32 s0, s18, s16
	s_subb_u32 s1, s19, 0
	s_sub_u32 s18, s20, s16
	s_subb_u32 s19, s21, 0
	v_mul_lo_u16 v2, v2, 22
	v_lshlrev_b32_e32 v10, 1, v0
	s_mul_hi_u32 s9, s18, 0x3c8
	s_mul_i32 s13, s19, 0x3c8
	s_mul_i32 s17, s18, 0x3c8
	v_sub_nc_u16 v1, v1, v2
	v_mul_u32_u24_e32 v2, 0x10f, v4
	s_add_i32 s9, s9, s13
	s_delay_alu instid0(VALU_DEP_2) | instskip(NEXT) | instid1(VALU_DEP_2)
	v_and_b32_e32 v1, 0xff, v1
	v_lshrrev_b32_e32 v9, 17, v2
	s_delay_alu instid0(VALU_DEP_2) | instskip(NEXT) | instid1(VALU_DEP_2)
	v_cndmask_b32_e64 v1, v3, v1, s2
	v_add_co_u32 v2, s2, s20, v9
	s_delay_alu instid0(VALU_DEP_1) | instskip(NEXT) | instid1(VALU_DEP_3)
	v_add_co_ci_u32_e64 v4, null, s21, 0, s2
	v_lshlrev_b32_e32 v1, 1, v1
	s_delay_alu instid0(VALU_DEP_3) | instskip(NEXT) | instid1(VALU_DEP_3)
	v_sub_co_u32 v3, vcc_lo, v2, s16
	v_subrev_co_ci_u32_e32 v4, vcc_lo, 0, v4, vcc_lo
	s_waitcnt lgkmcnt(0)
	s_add_u32 s2, s6, s17
	v_add_co_u32 v1, s6, s22, v1
	s_delay_alu instid0(VALU_DEP_2) | instskip(SKIP_3) | instid1(VALU_DEP_3)
	v_lshlrev_b64 v[5:6], 3, v[3:4]
	v_add_co_ci_u32_e64 v2, null, s23, 0, s6
	s_addc_u32 s6, s7, s9
	v_add_co_u32 v3, s2, s2, v10
	v_add_co_u32 v5, vcc_lo, s4, v5
	v_add_co_ci_u32_e64 v4, null, s6, 0, s2
	v_add_co_ci_u32_e32 v6, vcc_lo, s5, v6, vcc_lo
	s_set_inst_prefetch_distance 0x1
	s_branch .LBB373_10
	.p2align	6
.LBB373_9:                              ;   in Loop: Header=BB373_10 Depth=1
	s_or_b32 exec_lo, exec_lo, s2
	s_add_u32 s18, s18, 1
	s_addc_u32 s19, s19, 0
	v_add_co_u32 v5, vcc_lo, v5, 8
	v_cmp_lt_i64_e64 s2, s[18:19], s[0:1]
	v_add_co_ci_u32_e32 v6, vcc_lo, 0, v6, vcc_lo
	s_delay_alu instid0(VALU_DEP_2)
	s_and_b32 vcc_lo, exec_lo, s2
	s_cbranch_vccz .LBB373_12
.LBB373_10:                             ; =>This Inner Loop Header: Depth=1
	v_add_co_u32 v10, s2, v9, s18
	s_delay_alu instid0(VALU_DEP_1) | instskip(SKIP_1) | instid1(VALU_DEP_1)
	v_add_co_ci_u32_e64 v11, null, 0, s19, s2
	s_mov_b32 s2, exec_lo
	v_cmpx_gt_i64_e64 s[0:1], v[10:11]
	s_cbranch_execz .LBB373_9
; %bb.11:                               ;   in Loop: Header=BB373_10 Depth=1
	global_load_b64 v[10:11], v[5:6], off
	s_waitcnt vmcnt(0)
	v_sub_co_u32 v12, vcc_lo, v10, s16
	v_subrev_co_ci_u32_e32 v14, vcc_lo, 0, v11, vcc_lo
	s_delay_alu instid0(VALU_DEP_2) | instskip(NEXT) | instid1(VALU_DEP_1)
	v_mad_u64_u32 v[10:11], null, v12, 44, v[1:2]
	v_mad_u64_u32 v[12:13], null, v14, 44, v[11:12]
	s_delay_alu instid0(VALU_DEP_1)
	v_mov_b32_e32 v11, v12
	global_load_u16 v12, v[3:4], off
	global_load_u16 v10, v[10:11], off
	v_add_co_u32 v3, vcc_lo, 0x3c8, v3
	v_add_co_ci_u32_e32 v4, vcc_lo, 0, v4, vcc_lo
	s_waitcnt vmcnt(1)
	v_lshlrev_b32_e32 v11, 16, v12
	s_waitcnt vmcnt(0)
	v_lshlrev_b32_e32 v10, 16, v10
	s_delay_alu instid0(VALU_DEP_1)
	v_fmac_f32_e32 v7, v11, v10
	s_branch .LBB373_9
.LBB373_12:
	s_set_inst_prefetch_distance 0x2
	v_lshlrev_b32_e32 v1, 2, v0
	s_and_b32 vcc_lo, exec_lo, s3
	ds_store_b32 v1, v7
	s_waitcnt lgkmcnt(0)
	s_barrier
	buffer_gl0_inv
	s_cbranch_vccz .LBB373_24
; %bb.13:
	s_mov_b32 s0, exec_lo
	v_cmpx_gt_u16_e32 6, v8
	s_cbranch_execz .LBB373_15
; %bb.14:
	ds_load_2addr_b32 v[2:3], v1 offset1:16
	s_waitcnt lgkmcnt(0)
	v_add_f32_e32 v2, v3, v2
	ds_store_b32 v1, v2
.LBB373_15:
	s_or_b32 exec_lo, exec_lo, s0
	s_delay_alu instid0(SALU_CYCLE_1)
	s_mov_b32 s0, exec_lo
	s_waitcnt lgkmcnt(0)
	s_barrier
	buffer_gl0_inv
	v_cmpx_gt_u16_e32 8, v8
	s_cbranch_execz .LBB373_17
; %bb.16:
	ds_load_2addr_b32 v[2:3], v1 offset1:8
	s_waitcnt lgkmcnt(0)
	v_add_f32_e32 v2, v3, v2
	ds_store_b32 v1, v2
.LBB373_17:
	s_or_b32 exec_lo, exec_lo, s0
	s_delay_alu instid0(SALU_CYCLE_1)
	s_mov_b32 s0, exec_lo
	s_waitcnt lgkmcnt(0)
	s_barrier
	buffer_gl0_inv
	;; [unrolled: 14-line block ×3, first 2 shown]
	v_cmpx_gt_u16_e32 2, v8
	s_cbranch_execz .LBB373_21
; %bb.20:
	ds_load_2addr_b32 v[2:3], v1 offset1:2
	s_waitcnt lgkmcnt(0)
	v_add_f32_e32 v2, v3, v2
	ds_store_b32 v1, v2
.LBB373_21:
	s_or_b32 exec_lo, exec_lo, s0
	s_mov_b32 s1, 0
	s_mov_b32 s0, 0
	s_mov_b32 s2, exec_lo
	s_waitcnt lgkmcnt(0)
	s_barrier
	buffer_gl0_inv
                                        ; implicit-def: $vgpr2
                                        ; implicit-def: $vgpr3
	v_cmpx_gt_u32_e32 22, v0
	s_xor_b32 s2, exec_lo, s2
; %bb.22:
	v_mul_u32_u24_e32 v2, 22, v0
	v_mad_u32_u24 v3, 0x54, v0, v1
	s_mov_b32 s0, exec_lo
	s_delay_alu instid0(VALU_DEP_2)
	v_or_b32_e32 v2, 1, v2
; %bb.23:
	s_or_b32 exec_lo, exec_lo, s2
	s_delay_alu instid0(SALU_CYCLE_1)
	s_and_b32 vcc_lo, exec_lo, s1
	s_cbranch_vccnz .LBB373_25
	s_branch .LBB373_36
.LBB373_24:
	s_mov_b32 s0, 0
                                        ; implicit-def: $vgpr2
                                        ; implicit-def: $vgpr3
	s_cbranch_execz .LBB373_36
.LBB373_25:
	s_mov_b32 s1, exec_lo
	v_cmpx_gt_u32_e32 0x84, v0
	s_cbranch_execz .LBB373_27
; %bb.26:
	ds_load_b32 v2, v1 offset:1408
	ds_load_b32 v3, v1
	s_waitcnt lgkmcnt(0)
	v_add_f32_e32 v2, v2, v3
	ds_store_b32 v1, v2
.LBB373_27:
	s_or_b32 exec_lo, exec_lo, s1
	s_delay_alu instid0(SALU_CYCLE_1)
	s_mov_b32 s1, exec_lo
	s_waitcnt lgkmcnt(0)
	s_barrier
	buffer_gl0_inv
	v_cmpx_gt_u32_e32 0xb0, v0
	s_cbranch_execz .LBB373_29
; %bb.28:
	ds_load_2addr_b32 v[2:3], v1 offset1:176
	s_waitcnt lgkmcnt(0)
	v_add_f32_e32 v2, v3, v2
	ds_store_b32 v1, v2
.LBB373_29:
	s_or_b32 exec_lo, exec_lo, s1
	s_delay_alu instid0(SALU_CYCLE_1)
	s_mov_b32 s1, exec_lo
	s_waitcnt lgkmcnt(0)
	s_barrier
	buffer_gl0_inv
	v_cmpx_gt_u32_e32 0x58, v0
	s_cbranch_execz .LBB373_31
; %bb.30:
	ds_load_2addr_b32 v[2:3], v1 offset1:88
	s_waitcnt lgkmcnt(0)
	v_add_f32_e32 v2, v3, v2
	ds_store_b32 v1, v2
.LBB373_31:
	;; [unrolled: 14-line block ×3, first 2 shown]
	s_or_b32 exec_lo, exec_lo, s1
	s_delay_alu instid0(SALU_CYCLE_1)
	s_mov_b32 s1, exec_lo
	s_waitcnt lgkmcnt(0)
	buffer_gl0_inv
                                        ; implicit-def: $vgpr2
	v_cmpx_gt_u32_e32 22, v0
; %bb.34:
	v_add_nc_u32_e32 v2, 22, v0
	s_or_b32 s0, s0, exec_lo
                                        ; implicit-def: $vgpr7
; %bb.35:
	s_or_b32 exec_lo, exec_lo, s1
	v_mov_b32_e32 v3, v1
.LBB373_36:
	s_and_saveexec_b32 s1, s0
	s_cbranch_execz .LBB373_38
; %bb.37:
	v_lshlrev_b32_e32 v1, 2, v2
	ds_load_b32 v2, v3
	ds_load_b32 v1, v1
	s_waitcnt lgkmcnt(0)
	v_add_f32_e32 v7, v2, v1
.LBB373_38:
	s_or_b32 exec_lo, exec_lo, s1
	s_delay_alu instid0(SALU_CYCLE_1)
	s_mov_b32 s0, exec_lo
	v_cmpx_gt_u32_e32 22, v0
	s_cbranch_execz .LBB373_42
; %bb.39:
	v_cmp_eq_f32_e64 s1, s8, 0
	v_mul_f32_e32 v1, s12, v7
	s_mov_b32 s3, 0
	s_mul_i32 s0, s11, 0x58
	s_mul_i32 s2, s10, 0x58
	s_and_b32 vcc_lo, exec_lo, s1
	s_mul_hi_u32 s1, s10, 0x58
	s_cbranch_vccz .LBB373_43
; %bb.40:
	v_lshlrev_b32_e32 v2, 2, v0
	s_add_i32 s5, s1, s0
	s_add_u32 s4, s14, s2
	s_addc_u32 s5, s15, s5
	global_store_b32 v2, v1, s[4:5]
	s_and_not1_b32 vcc_lo, exec_lo, s3
	s_cbranch_vccnz .LBB373_42
.LBB373_41:
	v_lshlrev_b32_e32 v0, 2, v0
	s_add_i32 s1, s1, s0
	s_add_u32 s0, s14, s2
	s_addc_u32 s1, s15, s1
	global_load_b32 v2, v0, s[0:1]
	s_waitcnt vmcnt(0)
	v_fmac_f32_e32 v1, s8, v2
	global_store_b32 v0, v1, s[0:1]
.LBB373_42:
	s_nop 0
	s_sendmsg sendmsg(MSG_DEALLOC_VGPRS)
	s_endpgm
.LBB373_43:
	s_branch .LBB373_41
	.section	.rodata,"a",@progbits
	.p2align	6, 0x0
	.amdhsa_kernel _ZN9rocsparseL20bsrxmvn_17_32_kernelILj22Efll18rocsparse_bfloat16S1_fEEvT2_20rocsparse_direction_NS_24const_host_device_scalarIT0_EES2_PKS2_PKT1_SB_S8_PKT3_PKT4_S6_PT5_21rocsparse_index_base_b
		.amdhsa_group_segment_fixed_size 1936
		.amdhsa_private_segment_fixed_size 0
		.amdhsa_kernarg_size 104
		.amdhsa_user_sgpr_count 15
		.amdhsa_user_sgpr_dispatch_ptr 0
		.amdhsa_user_sgpr_queue_ptr 0
		.amdhsa_user_sgpr_kernarg_segment_ptr 1
		.amdhsa_user_sgpr_dispatch_id 0
		.amdhsa_user_sgpr_private_segment_size 0
		.amdhsa_wavefront_size32 1
		.amdhsa_uses_dynamic_stack 0
		.amdhsa_enable_private_segment 0
		.amdhsa_system_sgpr_workgroup_id_x 1
		.amdhsa_system_sgpr_workgroup_id_y 0
		.amdhsa_system_sgpr_workgroup_id_z 0
		.amdhsa_system_sgpr_workgroup_info 0
		.amdhsa_system_vgpr_workitem_id 0
		.amdhsa_next_free_vgpr 15
		.amdhsa_next_free_sgpr 24
		.amdhsa_reserve_vcc 1
		.amdhsa_float_round_mode_32 0
		.amdhsa_float_round_mode_16_64 0
		.amdhsa_float_denorm_mode_32 3
		.amdhsa_float_denorm_mode_16_64 3
		.amdhsa_dx10_clamp 1
		.amdhsa_ieee_mode 1
		.amdhsa_fp16_overflow 0
		.amdhsa_workgroup_processor_mode 1
		.amdhsa_memory_ordered 1
		.amdhsa_forward_progress 0
		.amdhsa_shared_vgpr_count 0
		.amdhsa_exception_fp_ieee_invalid_op 0
		.amdhsa_exception_fp_denorm_src 0
		.amdhsa_exception_fp_ieee_div_zero 0
		.amdhsa_exception_fp_ieee_overflow 0
		.amdhsa_exception_fp_ieee_underflow 0
		.amdhsa_exception_fp_ieee_inexact 0
		.amdhsa_exception_int_div_zero 0
	.end_amdhsa_kernel
	.section	.text._ZN9rocsparseL20bsrxmvn_17_32_kernelILj22Efll18rocsparse_bfloat16S1_fEEvT2_20rocsparse_direction_NS_24const_host_device_scalarIT0_EES2_PKS2_PKT1_SB_S8_PKT3_PKT4_S6_PT5_21rocsparse_index_base_b,"axG",@progbits,_ZN9rocsparseL20bsrxmvn_17_32_kernelILj22Efll18rocsparse_bfloat16S1_fEEvT2_20rocsparse_direction_NS_24const_host_device_scalarIT0_EES2_PKS2_PKT1_SB_S8_PKT3_PKT4_S6_PT5_21rocsparse_index_base_b,comdat
.Lfunc_end373:
	.size	_ZN9rocsparseL20bsrxmvn_17_32_kernelILj22Efll18rocsparse_bfloat16S1_fEEvT2_20rocsparse_direction_NS_24const_host_device_scalarIT0_EES2_PKS2_PKT1_SB_S8_PKT3_PKT4_S6_PT5_21rocsparse_index_base_b, .Lfunc_end373-_ZN9rocsparseL20bsrxmvn_17_32_kernelILj22Efll18rocsparse_bfloat16S1_fEEvT2_20rocsparse_direction_NS_24const_host_device_scalarIT0_EES2_PKS2_PKT1_SB_S8_PKT3_PKT4_S6_PT5_21rocsparse_index_base_b
                                        ; -- End function
	.section	.AMDGPU.csdata,"",@progbits
; Kernel info:
; codeLenInByte = 1640
; NumSgprs: 26
; NumVgprs: 15
; ScratchSize: 0
; MemoryBound: 0
; FloatMode: 240
; IeeeMode: 1
; LDSByteSize: 1936 bytes/workgroup (compile time only)
; SGPRBlocks: 3
; VGPRBlocks: 1
; NumSGPRsForWavesPerEU: 26
; NumVGPRsForWavesPerEU: 15
; Occupancy: 16
; WaveLimiterHint : 1
; COMPUTE_PGM_RSRC2:SCRATCH_EN: 0
; COMPUTE_PGM_RSRC2:USER_SGPR: 15
; COMPUTE_PGM_RSRC2:TRAP_HANDLER: 0
; COMPUTE_PGM_RSRC2:TGID_X_EN: 1
; COMPUTE_PGM_RSRC2:TGID_Y_EN: 0
; COMPUTE_PGM_RSRC2:TGID_Z_EN: 0
; COMPUTE_PGM_RSRC2:TIDIG_COMP_CNT: 0
	.section	.text._ZN9rocsparseL20bsrxmvn_17_32_kernelILj23Efll18rocsparse_bfloat16S1_fEEvT2_20rocsparse_direction_NS_24const_host_device_scalarIT0_EES2_PKS2_PKT1_SB_S8_PKT3_PKT4_S6_PT5_21rocsparse_index_base_b,"axG",@progbits,_ZN9rocsparseL20bsrxmvn_17_32_kernelILj23Efll18rocsparse_bfloat16S1_fEEvT2_20rocsparse_direction_NS_24const_host_device_scalarIT0_EES2_PKS2_PKT1_SB_S8_PKT3_PKT4_S6_PT5_21rocsparse_index_base_b,comdat
	.globl	_ZN9rocsparseL20bsrxmvn_17_32_kernelILj23Efll18rocsparse_bfloat16S1_fEEvT2_20rocsparse_direction_NS_24const_host_device_scalarIT0_EES2_PKS2_PKT1_SB_S8_PKT3_PKT4_S6_PT5_21rocsparse_index_base_b ; -- Begin function _ZN9rocsparseL20bsrxmvn_17_32_kernelILj23Efll18rocsparse_bfloat16S1_fEEvT2_20rocsparse_direction_NS_24const_host_device_scalarIT0_EES2_PKS2_PKT1_SB_S8_PKT3_PKT4_S6_PT5_21rocsparse_index_base_b
	.p2align	8
	.type	_ZN9rocsparseL20bsrxmvn_17_32_kernelILj23Efll18rocsparse_bfloat16S1_fEEvT2_20rocsparse_direction_NS_24const_host_device_scalarIT0_EES2_PKS2_PKT1_SB_S8_PKT3_PKT4_S6_PT5_21rocsparse_index_base_b,@function
_ZN9rocsparseL20bsrxmvn_17_32_kernelILj23Efll18rocsparse_bfloat16S1_fEEvT2_20rocsparse_direction_NS_24const_host_device_scalarIT0_EES2_PKS2_PKT1_SB_S8_PKT3_PKT4_S6_PT5_21rocsparse_index_base_b: ; @_ZN9rocsparseL20bsrxmvn_17_32_kernelILj23Efll18rocsparse_bfloat16S1_fEEvT2_20rocsparse_direction_NS_24const_host_device_scalarIT0_EES2_PKS2_PKT1_SB_S8_PKT3_PKT4_S6_PT5_21rocsparse_index_base_b
; %bb.0:
	s_clause 0x2
	s_load_b64 s[16:17], s[0:1], 0x60
	s_load_b64 s[12:13], s[0:1], 0x10
	;; [unrolled: 1-line block ×3, first 2 shown]
	s_mov_b32 s10, s15
	s_waitcnt lgkmcnt(0)
	s_bitcmp1_b32 s17, 0
	s_cselect_b32 s2, -1, 0
	s_delay_alu instid0(SALU_CYCLE_1)
	s_and_b32 vcc_lo, exec_lo, s2
	s_xor_b32 s2, s2, -1
	s_cbranch_vccnz .LBB374_2
; %bb.1:
	s_load_b32 s12, s[12:13], 0x0
.LBB374_2:
	s_and_not1_b32 vcc_lo, exec_lo, s2
	s_cbranch_vccnz .LBB374_4
; %bb.3:
	s_load_b32 s8, s[8:9], 0x0
.LBB374_4:
	s_waitcnt lgkmcnt(0)
	v_cmp_neq_f32_e64 s2, s12, 0
	v_cmp_neq_f32_e64 s3, s8, 1.0
	s_mov_b32 s11, 0
	s_delay_alu instid0(VALU_DEP_1) | instskip(NEXT) | instid1(SALU_CYCLE_1)
	s_or_b32 s2, s2, s3
	s_and_not1_b32 vcc_lo, exec_lo, s2
	s_cbranch_vccnz .LBB374_42
; %bb.5:
	s_clause 0x1
	s_load_b128 s[4:7], s[0:1], 0x20
	s_load_b64 s[14:15], s[0:1], 0x30
	s_waitcnt lgkmcnt(0)
	s_cmp_eq_u64 s[4:5], 0
	s_cbranch_scc1 .LBB374_7
; %bb.6:
	s_lshl_b64 s[2:3], s[10:11], 3
	s_delay_alu instid0(SALU_CYCLE_1)
	s_add_u32 s2, s4, s2
	s_addc_u32 s3, s5, s3
	s_load_b64 s[2:3], s[2:3], 0x0
	s_waitcnt lgkmcnt(0)
	s_sub_u32 s10, s2, s16
	s_subb_u32 s11, s3, 0
.LBB374_7:
	s_load_b32 s3, s[0:1], 0x8
	v_mul_u32_u24_e32 v1, 0xb22, v0
	s_delay_alu instid0(VALU_DEP_1) | instskip(NEXT) | instid1(VALU_DEP_1)
	v_lshrrev_b32_e32 v1, 16, v1
	v_mul_lo_u16 v2, v1, 23
	s_delay_alu instid0(VALU_DEP_1)
	v_sub_nc_u16 v9, v0, v2
	v_mov_b32_e32 v2, 0
	s_waitcnt lgkmcnt(0)
	s_cmp_eq_u32 s3, 1
	s_cselect_b32 s2, -1, 0
	s_cmp_lg_u32 s3, 1
	s_cselect_b32 s9, -1, 0
	s_lshl_b64 s[4:5], s[10:11], 3
	s_delay_alu instid0(SALU_CYCLE_1)
	s_add_u32 s6, s6, s4
	s_addc_u32 s7, s7, s5
	s_add_u32 s3, s6, 8
	s_addc_u32 s13, s7, 0
	;; [unrolled: 2-line block ×3, first 2 shown]
	s_cmp_eq_u64 s[14:15], 0
	s_load_b64 s[14:15], s[0:1], 0x58
	s_cselect_b32 s5, s13, s5
	s_cselect_b32 s4, s3, s4
	s_load_b64 s[18:19], s[6:7], 0x0
	s_load_b64 s[20:21], s[4:5], 0x0
	s_waitcnt lgkmcnt(0)
	v_cmp_ge_i64_e64 s3, s[18:19], s[20:21]
	s_delay_alu instid0(VALU_DEP_1)
	s_and_b32 vcc_lo, exec_lo, s3
	s_cbranch_vccnz .LBB374_12
; %bb.8:
	v_dual_mov_b32 v2, 0 :: v_dual_and_b32 v1, 0xffff, v1
	v_cmp_gt_u32_e32 vcc_lo, 0x211, v0
	s_clause 0x1
	s_load_b128 s[4:7], s[0:1], 0x38
	s_load_b64 s[22:23], s[0:1], 0x48
	v_and_b32_e32 v4, 0xffff, v9
	v_subrev_nc_u32_e32 v3, 23, v1
	s_sub_u32 s0, s20, s16
	s_subb_u32 s1, s21, 0
	s_delay_alu instid0(VALU_DEP_1) | instskip(SKIP_1) | instid1(VALU_DEP_2)
	v_cndmask_b32_e32 v1, v3, v1, vcc_lo
	v_cmp_lt_u32_e32 vcc_lo, 0x210, v0
	v_cndmask_b32_e64 v1, v4, v1, s2
	v_cndmask_b32_e64 v10, 0, 1, vcc_lo
	s_sub_u32 s2, s18, s16
	s_subb_u32 s3, s19, 0
	s_mul_hi_u32 s13, s2, 0x422
	v_lshlrev_b64 v[3:4], 1, v[1:2]
	v_add_co_u32 v1, s18, s18, v10
	s_delay_alu instid0(VALU_DEP_1) | instskip(SKIP_2) | instid1(VALU_DEP_3)
	v_add_co_ci_u32_e64 v6, null, s19, 0, s18
	s_mul_i32 s17, s3, 0x422
	s_waitcnt lgkmcnt(0)
	v_add_co_u32 v3, vcc_lo, s22, v3
	v_add_co_ci_u32_e32 v4, vcc_lo, s23, v4, vcc_lo
	v_sub_co_u32 v5, vcc_lo, v1, s16
	v_subrev_co_ci_u32_e32 v6, vcc_lo, 0, v6, vcc_lo
	v_lshlrev_b32_e32 v1, 1, v0
	s_add_i32 s13, s13, s17
	s_mul_i32 s17, s2, 0x422
	s_delay_alu instid0(VALU_DEP_2) | instskip(SKIP_3) | instid1(VALU_DEP_1)
	v_lshlrev_b64 v[7:8], 3, v[5:6]
	s_add_u32 s6, s6, s17
	s_addc_u32 s7, s7, s13
	v_add_co_u32 v5, s6, s6, v1
	v_add_co_ci_u32_e64 v6, null, s7, 0, s6
	s_delay_alu instid0(VALU_DEP_3)
	v_add_co_u32 v7, vcc_lo, s4, v7
	v_add_co_ci_u32_e32 v8, vcc_lo, s5, v8, vcc_lo
	s_set_inst_prefetch_distance 0x1
	s_branch .LBB374_10
	.p2align	6
.LBB374_9:                              ;   in Loop: Header=BB374_10 Depth=1
	s_or_b32 exec_lo, exec_lo, s4
	s_add_u32 s2, s2, 1
	s_addc_u32 s3, s3, 0
	v_add_co_u32 v7, vcc_lo, v7, 8
	v_cmp_lt_i64_e64 s4, s[2:3], s[0:1]
	v_add_co_ci_u32_e32 v8, vcc_lo, 0, v8, vcc_lo
	s_delay_alu instid0(VALU_DEP_2)
	s_and_b32 vcc_lo, exec_lo, s4
	s_cbranch_vccz .LBB374_12
.LBB374_10:                             ; =>This Inner Loop Header: Depth=1
	v_add_co_u32 v11, s4, v10, s2
	s_delay_alu instid0(VALU_DEP_1) | instskip(SKIP_1) | instid1(VALU_DEP_1)
	v_add_co_ci_u32_e64 v12, null, 0, s3, s4
	s_mov_b32 s4, exec_lo
	v_cmpx_gt_i64_e64 s[0:1], v[11:12]
	s_cbranch_execz .LBB374_9
; %bb.11:                               ;   in Loop: Header=BB374_10 Depth=1
	global_load_b64 v[11:12], v[7:8], off
	s_waitcnt vmcnt(0)
	v_sub_co_u32 v1, vcc_lo, v11, s16
	v_subrev_co_ci_u32_e32 v14, vcc_lo, 0, v12, vcc_lo
	s_delay_alu instid0(VALU_DEP_2) | instskip(NEXT) | instid1(VALU_DEP_1)
	v_mad_u64_u32 v[11:12], null, v1, 46, v[3:4]
	v_mov_b32_e32 v1, v12
	s_delay_alu instid0(VALU_DEP_1)
	v_mad_u64_u32 v[12:13], null, v14, 46, v[1:2]
	global_load_u16 v1, v[5:6], off
	global_load_u16 v11, v[11:12], off
	v_add_co_u32 v5, vcc_lo, 0x422, v5
	v_add_co_ci_u32_e32 v6, vcc_lo, 0, v6, vcc_lo
	s_waitcnt vmcnt(1)
	v_lshlrev_b32_e32 v1, 16, v1
	s_waitcnt vmcnt(0)
	v_lshlrev_b32_e32 v11, 16, v11
	s_delay_alu instid0(VALU_DEP_1)
	v_fmac_f32_e32 v2, v1, v11
	s_branch .LBB374_9
.LBB374_12:
	s_set_inst_prefetch_distance 0x2
	v_lshlrev_b32_e32 v1, 2, v0
	s_and_b32 vcc_lo, exec_lo, s9
	ds_store_b32 v1, v2
	s_waitcnt lgkmcnt(0)
	s_barrier
	buffer_gl0_inv
	s_cbranch_vccz .LBB374_24
; %bb.13:
	s_mov_b32 s0, exec_lo
	v_cmpx_gt_u16_e32 7, v9
	s_cbranch_execz .LBB374_15
; %bb.14:
	ds_load_2addr_b32 v[3:4], v1 offset1:16
	s_waitcnt lgkmcnt(0)
	v_add_f32_e32 v3, v4, v3
	ds_store_b32 v1, v3
.LBB374_15:
	s_or_b32 exec_lo, exec_lo, s0
	s_delay_alu instid0(SALU_CYCLE_1)
	s_mov_b32 s0, exec_lo
	s_waitcnt lgkmcnt(0)
	s_barrier
	buffer_gl0_inv
	v_cmpx_gt_u16_e32 8, v9
	s_cbranch_execz .LBB374_17
; %bb.16:
	ds_load_2addr_b32 v[3:4], v1 offset1:8
	s_waitcnt lgkmcnt(0)
	v_add_f32_e32 v3, v4, v3
	ds_store_b32 v1, v3
.LBB374_17:
	s_or_b32 exec_lo, exec_lo, s0
	s_delay_alu instid0(SALU_CYCLE_1)
	s_mov_b32 s0, exec_lo
	s_waitcnt lgkmcnt(0)
	s_barrier
	buffer_gl0_inv
	;; [unrolled: 14-line block ×3, first 2 shown]
	v_cmpx_gt_u16_e32 2, v9
	s_cbranch_execz .LBB374_21
; %bb.20:
	ds_load_2addr_b32 v[3:4], v1 offset1:2
	s_waitcnt lgkmcnt(0)
	v_add_f32_e32 v3, v4, v3
	ds_store_b32 v1, v3
.LBB374_21:
	s_or_b32 exec_lo, exec_lo, s0
	s_mov_b32 s1, 0
	s_mov_b32 s0, 0
	s_mov_b32 s2, exec_lo
	s_waitcnt lgkmcnt(0)
	s_barrier
	buffer_gl0_inv
                                        ; implicit-def: $vgpr3
                                        ; implicit-def: $vgpr4
	v_cmpx_gt_u32_e32 23, v0
	s_xor_b32 s2, exec_lo, s2
; %bb.22:
	v_mad_u32_u24 v3, v0, 23, 1
	v_mad_u32_u24 v4, 0x58, v0, v1
	s_mov_b32 s0, exec_lo
; %bb.23:
	s_or_b32 exec_lo, exec_lo, s2
	s_delay_alu instid0(SALU_CYCLE_1)
	s_and_b32 vcc_lo, exec_lo, s1
	s_cbranch_vccnz .LBB374_25
	s_branch .LBB374_36
.LBB374_24:
	s_mov_b32 s0, 0
                                        ; implicit-def: $vgpr3
                                        ; implicit-def: $vgpr4
	s_cbranch_execz .LBB374_36
.LBB374_25:
	s_mov_b32 s1, exec_lo
	v_cmpx_gt_u32_e32 0xa1, v0
	s_cbranch_execz .LBB374_27
; %bb.26:
	ds_load_b32 v3, v1 offset:1472
	ds_load_b32 v4, v1
	s_waitcnt lgkmcnt(0)
	v_add_f32_e32 v3, v3, v4
	ds_store_b32 v1, v3
.LBB374_27:
	s_or_b32 exec_lo, exec_lo, s1
	s_delay_alu instid0(SALU_CYCLE_1)
	s_mov_b32 s1, exec_lo
	s_waitcnt lgkmcnt(0)
	s_barrier
	buffer_gl0_inv
	v_cmpx_gt_u32_e32 0xb8, v0
	s_cbranch_execz .LBB374_29
; %bb.28:
	ds_load_2addr_b32 v[3:4], v1 offset1:184
	s_waitcnt lgkmcnt(0)
	v_add_f32_e32 v3, v4, v3
	ds_store_b32 v1, v3
.LBB374_29:
	s_or_b32 exec_lo, exec_lo, s1
	s_delay_alu instid0(SALU_CYCLE_1)
	s_mov_b32 s1, exec_lo
	s_waitcnt lgkmcnt(0)
	s_barrier
	buffer_gl0_inv
	v_cmpx_gt_u32_e32 0x5c, v0
	s_cbranch_execz .LBB374_31
; %bb.30:
	ds_load_2addr_b32 v[3:4], v1 offset1:92
	s_waitcnt lgkmcnt(0)
	v_add_f32_e32 v3, v4, v3
	ds_store_b32 v1, v3
.LBB374_31:
	;; [unrolled: 14-line block ×3, first 2 shown]
	s_or_b32 exec_lo, exec_lo, s1
	s_delay_alu instid0(SALU_CYCLE_1)
	s_mov_b32 s1, exec_lo
	s_waitcnt lgkmcnt(0)
	buffer_gl0_inv
                                        ; implicit-def: $vgpr3
	v_cmpx_gt_u32_e32 23, v0
; %bb.34:
	v_add_nc_u32_e32 v3, 23, v0
	s_or_b32 s0, s0, exec_lo
                                        ; implicit-def: $vgpr2
; %bb.35:
	s_or_b32 exec_lo, exec_lo, s1
	v_mov_b32_e32 v4, v1
.LBB374_36:
	s_and_saveexec_b32 s1, s0
	s_cbranch_execz .LBB374_38
; %bb.37:
	v_lshlrev_b32_e32 v1, 2, v3
	ds_load_b32 v2, v4
	ds_load_b32 v1, v1
	s_waitcnt lgkmcnt(0)
	v_add_f32_e32 v2, v2, v1
.LBB374_38:
	s_or_b32 exec_lo, exec_lo, s1
	s_delay_alu instid0(SALU_CYCLE_1)
	s_mov_b32 s0, exec_lo
	v_cmpx_gt_u32_e32 23, v0
	s_cbranch_execz .LBB374_42
; %bb.39:
	v_cmp_eq_f32_e64 s1, s8, 0
	v_mul_f32_e32 v1, s12, v2
	s_mov_b32 s3, 0
	s_mul_i32 s0, s11, 0x5c
	s_mul_i32 s2, s10, 0x5c
	s_and_b32 vcc_lo, exec_lo, s1
	s_mul_hi_u32 s1, s10, 0x5c
	s_cbranch_vccz .LBB374_43
; %bb.40:
	v_lshlrev_b32_e32 v2, 2, v0
	s_add_i32 s5, s1, s0
	s_add_u32 s4, s14, s2
	s_addc_u32 s5, s15, s5
	global_store_b32 v2, v1, s[4:5]
	s_and_not1_b32 vcc_lo, exec_lo, s3
	s_cbranch_vccnz .LBB374_42
.LBB374_41:
	v_lshlrev_b32_e32 v0, 2, v0
	s_add_i32 s1, s1, s0
	s_add_u32 s0, s14, s2
	s_addc_u32 s1, s15, s1
	global_load_b32 v2, v0, s[0:1]
	s_waitcnt vmcnt(0)
	v_fmac_f32_e32 v1, s8, v2
	global_store_b32 v0, v1, s[0:1]
.LBB374_42:
	s_nop 0
	s_sendmsg sendmsg(MSG_DEALLOC_VGPRS)
	s_endpgm
.LBB374_43:
	s_branch .LBB374_41
	.section	.rodata,"a",@progbits
	.p2align	6, 0x0
	.amdhsa_kernel _ZN9rocsparseL20bsrxmvn_17_32_kernelILj23Efll18rocsparse_bfloat16S1_fEEvT2_20rocsparse_direction_NS_24const_host_device_scalarIT0_EES2_PKS2_PKT1_SB_S8_PKT3_PKT4_S6_PT5_21rocsparse_index_base_b
		.amdhsa_group_segment_fixed_size 2116
		.amdhsa_private_segment_fixed_size 0
		.amdhsa_kernarg_size 104
		.amdhsa_user_sgpr_count 15
		.amdhsa_user_sgpr_dispatch_ptr 0
		.amdhsa_user_sgpr_queue_ptr 0
		.amdhsa_user_sgpr_kernarg_segment_ptr 1
		.amdhsa_user_sgpr_dispatch_id 0
		.amdhsa_user_sgpr_private_segment_size 0
		.amdhsa_wavefront_size32 1
		.amdhsa_uses_dynamic_stack 0
		.amdhsa_enable_private_segment 0
		.amdhsa_system_sgpr_workgroup_id_x 1
		.amdhsa_system_sgpr_workgroup_id_y 0
		.amdhsa_system_sgpr_workgroup_id_z 0
		.amdhsa_system_sgpr_workgroup_info 0
		.amdhsa_system_vgpr_workitem_id 0
		.amdhsa_next_free_vgpr 15
		.amdhsa_next_free_sgpr 24
		.amdhsa_reserve_vcc 1
		.amdhsa_float_round_mode_32 0
		.amdhsa_float_round_mode_16_64 0
		.amdhsa_float_denorm_mode_32 3
		.amdhsa_float_denorm_mode_16_64 3
		.amdhsa_dx10_clamp 1
		.amdhsa_ieee_mode 1
		.amdhsa_fp16_overflow 0
		.amdhsa_workgroup_processor_mode 1
		.amdhsa_memory_ordered 1
		.amdhsa_forward_progress 0
		.amdhsa_shared_vgpr_count 0
		.amdhsa_exception_fp_ieee_invalid_op 0
		.amdhsa_exception_fp_denorm_src 0
		.amdhsa_exception_fp_ieee_div_zero 0
		.amdhsa_exception_fp_ieee_overflow 0
		.amdhsa_exception_fp_ieee_underflow 0
		.amdhsa_exception_fp_ieee_inexact 0
		.amdhsa_exception_int_div_zero 0
	.end_amdhsa_kernel
	.section	.text._ZN9rocsparseL20bsrxmvn_17_32_kernelILj23Efll18rocsparse_bfloat16S1_fEEvT2_20rocsparse_direction_NS_24const_host_device_scalarIT0_EES2_PKS2_PKT1_SB_S8_PKT3_PKT4_S6_PT5_21rocsparse_index_base_b,"axG",@progbits,_ZN9rocsparseL20bsrxmvn_17_32_kernelILj23Efll18rocsparse_bfloat16S1_fEEvT2_20rocsparse_direction_NS_24const_host_device_scalarIT0_EES2_PKS2_PKT1_SB_S8_PKT3_PKT4_S6_PT5_21rocsparse_index_base_b,comdat
.Lfunc_end374:
	.size	_ZN9rocsparseL20bsrxmvn_17_32_kernelILj23Efll18rocsparse_bfloat16S1_fEEvT2_20rocsparse_direction_NS_24const_host_device_scalarIT0_EES2_PKS2_PKT1_SB_S8_PKT3_PKT4_S6_PT5_21rocsparse_index_base_b, .Lfunc_end374-_ZN9rocsparseL20bsrxmvn_17_32_kernelILj23Efll18rocsparse_bfloat16S1_fEEvT2_20rocsparse_direction_NS_24const_host_device_scalarIT0_EES2_PKS2_PKT1_SB_S8_PKT3_PKT4_S6_PT5_21rocsparse_index_base_b
                                        ; -- End function
	.section	.AMDGPU.csdata,"",@progbits
; Kernel info:
; codeLenInByte = 1612
; NumSgprs: 26
; NumVgprs: 15
; ScratchSize: 0
; MemoryBound: 0
; FloatMode: 240
; IeeeMode: 1
; LDSByteSize: 2116 bytes/workgroup (compile time only)
; SGPRBlocks: 3
; VGPRBlocks: 1
; NumSGPRsForWavesPerEU: 26
; NumVGPRsForWavesPerEU: 15
; Occupancy: 13
; WaveLimiterHint : 1
; COMPUTE_PGM_RSRC2:SCRATCH_EN: 0
; COMPUTE_PGM_RSRC2:USER_SGPR: 15
; COMPUTE_PGM_RSRC2:TRAP_HANDLER: 0
; COMPUTE_PGM_RSRC2:TGID_X_EN: 1
; COMPUTE_PGM_RSRC2:TGID_Y_EN: 0
; COMPUTE_PGM_RSRC2:TGID_Z_EN: 0
; COMPUTE_PGM_RSRC2:TIDIG_COMP_CNT: 0
	.section	.text._ZN9rocsparseL20bsrxmvn_17_32_kernelILj24Efll18rocsparse_bfloat16S1_fEEvT2_20rocsparse_direction_NS_24const_host_device_scalarIT0_EES2_PKS2_PKT1_SB_S8_PKT3_PKT4_S6_PT5_21rocsparse_index_base_b,"axG",@progbits,_ZN9rocsparseL20bsrxmvn_17_32_kernelILj24Efll18rocsparse_bfloat16S1_fEEvT2_20rocsparse_direction_NS_24const_host_device_scalarIT0_EES2_PKS2_PKT1_SB_S8_PKT3_PKT4_S6_PT5_21rocsparse_index_base_b,comdat
	.globl	_ZN9rocsparseL20bsrxmvn_17_32_kernelILj24Efll18rocsparse_bfloat16S1_fEEvT2_20rocsparse_direction_NS_24const_host_device_scalarIT0_EES2_PKS2_PKT1_SB_S8_PKT3_PKT4_S6_PT5_21rocsparse_index_base_b ; -- Begin function _ZN9rocsparseL20bsrxmvn_17_32_kernelILj24Efll18rocsparse_bfloat16S1_fEEvT2_20rocsparse_direction_NS_24const_host_device_scalarIT0_EES2_PKS2_PKT1_SB_S8_PKT3_PKT4_S6_PT5_21rocsparse_index_base_b
	.p2align	8
	.type	_ZN9rocsparseL20bsrxmvn_17_32_kernelILj24Efll18rocsparse_bfloat16S1_fEEvT2_20rocsparse_direction_NS_24const_host_device_scalarIT0_EES2_PKS2_PKT1_SB_S8_PKT3_PKT4_S6_PT5_21rocsparse_index_base_b,@function
_ZN9rocsparseL20bsrxmvn_17_32_kernelILj24Efll18rocsparse_bfloat16S1_fEEvT2_20rocsparse_direction_NS_24const_host_device_scalarIT0_EES2_PKS2_PKT1_SB_S8_PKT3_PKT4_S6_PT5_21rocsparse_index_base_b: ; @_ZN9rocsparseL20bsrxmvn_17_32_kernelILj24Efll18rocsparse_bfloat16S1_fEEvT2_20rocsparse_direction_NS_24const_host_device_scalarIT0_EES2_PKS2_PKT1_SB_S8_PKT3_PKT4_S6_PT5_21rocsparse_index_base_b
; %bb.0:
	s_clause 0x2
	s_load_b64 s[16:17], s[0:1], 0x60
	s_load_b64 s[12:13], s[0:1], 0x10
	;; [unrolled: 1-line block ×3, first 2 shown]
	s_mov_b32 s10, s15
	s_waitcnt lgkmcnt(0)
	s_bitcmp1_b32 s17, 0
	s_cselect_b32 s2, -1, 0
	s_delay_alu instid0(SALU_CYCLE_1)
	s_and_b32 vcc_lo, exec_lo, s2
	s_xor_b32 s2, s2, -1
	s_cbranch_vccnz .LBB375_2
; %bb.1:
	s_load_b32 s12, s[12:13], 0x0
.LBB375_2:
	s_and_not1_b32 vcc_lo, exec_lo, s2
	s_cbranch_vccnz .LBB375_4
; %bb.3:
	s_load_b32 s8, s[8:9], 0x0
.LBB375_4:
	s_waitcnt lgkmcnt(0)
	v_cmp_neq_f32_e64 s2, s12, 0
	v_cmp_neq_f32_e64 s3, s8, 1.0
	s_mov_b32 s11, 0
	s_delay_alu instid0(VALU_DEP_1) | instskip(NEXT) | instid1(SALU_CYCLE_1)
	s_or_b32 s2, s2, s3
	s_and_not1_b32 vcc_lo, exec_lo, s2
	s_cbranch_vccnz .LBB375_42
; %bb.5:
	s_clause 0x1
	s_load_b128 s[4:7], s[0:1], 0x20
	s_load_b64 s[14:15], s[0:1], 0x30
	s_waitcnt lgkmcnt(0)
	s_cmp_eq_u64 s[4:5], 0
	s_cbranch_scc1 .LBB375_7
; %bb.6:
	s_lshl_b64 s[2:3], s[10:11], 3
	s_delay_alu instid0(SALU_CYCLE_1)
	s_add_u32 s2, s4, s2
	s_addc_u32 s3, s5, s3
	s_load_b64 s[2:3], s[2:3], 0x0
	s_waitcnt lgkmcnt(0)
	s_sub_u32 s10, s2, s16
	s_subb_u32 s11, s3, 0
.LBB375_7:
	s_load_b32 s3, s[0:1], 0x8
	v_mul_u32_u24_e32 v1, 0xaab, v0
	s_delay_alu instid0(VALU_DEP_1) | instskip(NEXT) | instid1(VALU_DEP_1)
	v_lshrrev_b32_e32 v1, 16, v1
	v_mul_lo_u16 v2, v1, 24
	s_delay_alu instid0(VALU_DEP_1)
	v_sub_nc_u16 v9, v0, v2
	v_mov_b32_e32 v2, 0
	s_waitcnt lgkmcnt(0)
	s_cmp_eq_u32 s3, 1
	s_cselect_b32 s2, -1, 0
	s_cmp_lg_u32 s3, 1
	s_cselect_b32 s9, -1, 0
	s_lshl_b64 s[4:5], s[10:11], 3
	s_delay_alu instid0(SALU_CYCLE_1)
	s_add_u32 s6, s6, s4
	s_addc_u32 s7, s7, s5
	s_add_u32 s3, s6, 8
	s_addc_u32 s13, s7, 0
	;; [unrolled: 2-line block ×3, first 2 shown]
	s_cmp_eq_u64 s[14:15], 0
	s_load_b64 s[14:15], s[0:1], 0x58
	s_cselect_b32 s5, s13, s5
	s_cselect_b32 s4, s3, s4
	s_load_b64 s[18:19], s[6:7], 0x0
	s_load_b64 s[20:21], s[4:5], 0x0
	s_waitcnt lgkmcnt(0)
	v_cmp_ge_i64_e64 s3, s[18:19], s[20:21]
	s_delay_alu instid0(VALU_DEP_1)
	s_and_b32 vcc_lo, exec_lo, s3
	s_cbranch_vccnz .LBB375_12
; %bb.8:
	v_dual_mov_b32 v2, 0 :: v_dual_and_b32 v1, 0xffff, v1
	v_cmp_gt_u32_e32 vcc_lo, 0x240, v0
	s_clause 0x1
	s_load_b128 s[4:7], s[0:1], 0x38
	s_load_b64 s[22:23], s[0:1], 0x48
	v_and_b32_e32 v4, 0xffff, v9
	v_subrev_nc_u32_e32 v3, 24, v1
	s_sub_u32 s0, s20, s16
	s_subb_u32 s1, s21, 0
	s_delay_alu instid0(VALU_DEP_1) | instskip(SKIP_1) | instid1(VALU_DEP_2)
	v_cndmask_b32_e32 v1, v3, v1, vcc_lo
	v_cmp_lt_u32_e32 vcc_lo, 0x23f, v0
	v_cndmask_b32_e64 v1, v4, v1, s2
	v_cndmask_b32_e64 v10, 0, 1, vcc_lo
	s_sub_u32 s2, s18, s16
	s_subb_u32 s3, s19, 0
	s_mul_hi_u32 s13, s2, 0x480
	v_lshlrev_b64 v[3:4], 1, v[1:2]
	v_add_co_u32 v1, s18, s18, v10
	s_delay_alu instid0(VALU_DEP_1) | instskip(SKIP_2) | instid1(VALU_DEP_3)
	v_add_co_ci_u32_e64 v6, null, s19, 0, s18
	s_mul_i32 s17, s3, 0x480
	s_waitcnt lgkmcnt(0)
	v_add_co_u32 v3, vcc_lo, s22, v3
	v_add_co_ci_u32_e32 v4, vcc_lo, s23, v4, vcc_lo
	v_sub_co_u32 v5, vcc_lo, v1, s16
	v_subrev_co_ci_u32_e32 v6, vcc_lo, 0, v6, vcc_lo
	v_lshlrev_b32_e32 v1, 1, v0
	s_add_i32 s13, s13, s17
	s_mul_i32 s17, s2, 0x480
	s_delay_alu instid0(VALU_DEP_2) | instskip(SKIP_3) | instid1(VALU_DEP_1)
	v_lshlrev_b64 v[7:8], 3, v[5:6]
	s_add_u32 s6, s6, s17
	s_addc_u32 s7, s7, s13
	v_add_co_u32 v5, s6, s6, v1
	v_add_co_ci_u32_e64 v6, null, s7, 0, s6
	s_delay_alu instid0(VALU_DEP_3)
	v_add_co_u32 v7, vcc_lo, s4, v7
	v_add_co_ci_u32_e32 v8, vcc_lo, s5, v8, vcc_lo
	s_set_inst_prefetch_distance 0x1
	s_branch .LBB375_10
	.p2align	6
.LBB375_9:                              ;   in Loop: Header=BB375_10 Depth=1
	s_or_b32 exec_lo, exec_lo, s4
	s_add_u32 s2, s2, 1
	s_addc_u32 s3, s3, 0
	v_add_co_u32 v7, vcc_lo, v7, 8
	v_cmp_lt_i64_e64 s4, s[2:3], s[0:1]
	v_add_co_ci_u32_e32 v8, vcc_lo, 0, v8, vcc_lo
	s_delay_alu instid0(VALU_DEP_2)
	s_and_b32 vcc_lo, exec_lo, s4
	s_cbranch_vccz .LBB375_12
.LBB375_10:                             ; =>This Inner Loop Header: Depth=1
	v_add_co_u32 v11, s4, v10, s2
	s_delay_alu instid0(VALU_DEP_1) | instskip(SKIP_1) | instid1(VALU_DEP_1)
	v_add_co_ci_u32_e64 v12, null, 0, s3, s4
	s_mov_b32 s4, exec_lo
	v_cmpx_gt_i64_e64 s[0:1], v[11:12]
	s_cbranch_execz .LBB375_9
; %bb.11:                               ;   in Loop: Header=BB375_10 Depth=1
	global_load_b64 v[11:12], v[7:8], off
	s_waitcnt vmcnt(0)
	v_sub_co_u32 v1, vcc_lo, v11, s16
	v_subrev_co_ci_u32_e32 v14, vcc_lo, 0, v12, vcc_lo
	s_delay_alu instid0(VALU_DEP_2) | instskip(NEXT) | instid1(VALU_DEP_1)
	v_mad_u64_u32 v[11:12], null, v1, 48, v[3:4]
	v_mov_b32_e32 v1, v12
	s_delay_alu instid0(VALU_DEP_1)
	v_mad_u64_u32 v[12:13], null, v14, 48, v[1:2]
	global_load_u16 v1, v[5:6], off
	global_load_u16 v11, v[11:12], off
	v_add_co_u32 v5, vcc_lo, 0x480, v5
	v_add_co_ci_u32_e32 v6, vcc_lo, 0, v6, vcc_lo
	s_waitcnt vmcnt(1)
	v_lshlrev_b32_e32 v1, 16, v1
	s_waitcnt vmcnt(0)
	v_lshlrev_b32_e32 v11, 16, v11
	s_delay_alu instid0(VALU_DEP_1)
	v_fmac_f32_e32 v2, v1, v11
	s_branch .LBB375_9
.LBB375_12:
	s_set_inst_prefetch_distance 0x2
	v_lshlrev_b32_e32 v1, 2, v0
	s_and_b32 vcc_lo, exec_lo, s9
	ds_store_b32 v1, v2
	s_waitcnt lgkmcnt(0)
	s_barrier
	buffer_gl0_inv
	s_cbranch_vccz .LBB375_24
; %bb.13:
	v_cmp_gt_u16_e32 vcc_lo, 8, v9
	s_and_saveexec_b32 s0, vcc_lo
	s_cbranch_execz .LBB375_15
; %bb.14:
	ds_load_2addr_b32 v[3:4], v1 offset1:16
	s_waitcnt lgkmcnt(0)
	v_add_f32_e32 v3, v4, v3
	ds_store_b32 v1, v3
.LBB375_15:
	s_or_b32 exec_lo, exec_lo, s0
	s_waitcnt lgkmcnt(0)
	s_barrier
	buffer_gl0_inv
	s_and_saveexec_b32 s0, vcc_lo
	s_cbranch_execz .LBB375_17
; %bb.16:
	ds_load_2addr_b32 v[3:4], v1 offset1:8
	s_waitcnt lgkmcnt(0)
	v_add_f32_e32 v3, v4, v3
	ds_store_b32 v1, v3
.LBB375_17:
	s_or_b32 exec_lo, exec_lo, s0
	s_delay_alu instid0(SALU_CYCLE_1)
	s_mov_b32 s0, exec_lo
	s_waitcnt lgkmcnt(0)
	s_barrier
	buffer_gl0_inv
	v_cmpx_gt_u16_e32 4, v9
	s_cbranch_execz .LBB375_19
; %bb.18:
	ds_load_2addr_b32 v[3:4], v1 offset1:4
	s_waitcnt lgkmcnt(0)
	v_add_f32_e32 v3, v4, v3
	ds_store_b32 v1, v3
.LBB375_19:
	s_or_b32 exec_lo, exec_lo, s0
	s_delay_alu instid0(SALU_CYCLE_1)
	s_mov_b32 s0, exec_lo
	s_waitcnt lgkmcnt(0)
	s_barrier
	buffer_gl0_inv
	v_cmpx_gt_u16_e32 2, v9
	s_cbranch_execz .LBB375_21
; %bb.20:
	ds_load_2addr_b32 v[3:4], v1 offset1:2
	s_waitcnt lgkmcnt(0)
	v_add_f32_e32 v3, v4, v3
	ds_store_b32 v1, v3
.LBB375_21:
	s_or_b32 exec_lo, exec_lo, s0
	s_mov_b32 s1, 0
	s_mov_b32 s0, 0
	s_mov_b32 s2, exec_lo
	s_waitcnt lgkmcnt(0)
	s_barrier
	buffer_gl0_inv
                                        ; implicit-def: $vgpr3
                                        ; implicit-def: $vgpr4
	v_cmpx_gt_u32_e32 24, v0
	s_xor_b32 s2, exec_lo, s2
; %bb.22:
	v_mul_u32_u24_e32 v3, 24, v0
	v_mad_u32_u24 v4, 0x5c, v0, v1
	s_mov_b32 s0, exec_lo
	s_delay_alu instid0(VALU_DEP_2)
	v_or_b32_e32 v3, 1, v3
; %bb.23:
	s_or_b32 exec_lo, exec_lo, s2
	s_delay_alu instid0(SALU_CYCLE_1)
	s_and_b32 vcc_lo, exec_lo, s1
	s_cbranch_vccnz .LBB375_25
	s_branch .LBB375_36
.LBB375_24:
	s_mov_b32 s0, 0
                                        ; implicit-def: $vgpr3
                                        ; implicit-def: $vgpr4
	s_cbranch_execz .LBB375_36
.LBB375_25:
	v_cmp_gt_u32_e32 vcc_lo, 0xc0, v0
	s_and_saveexec_b32 s1, vcc_lo
	s_cbranch_execz .LBB375_27
; %bb.26:
	ds_load_2addr_stride64_b32 v[3:4], v1 offset1:6
	s_waitcnt lgkmcnt(0)
	v_add_f32_e32 v3, v4, v3
	ds_store_b32 v1, v3
.LBB375_27:
	s_or_b32 exec_lo, exec_lo, s1
	s_waitcnt lgkmcnt(0)
	s_barrier
	buffer_gl0_inv
	s_and_saveexec_b32 s1, vcc_lo
	s_cbranch_execz .LBB375_29
; %bb.28:
	ds_load_2addr_stride64_b32 v[3:4], v1 offset1:3
	s_waitcnt lgkmcnt(0)
	v_add_f32_e32 v3, v4, v3
	ds_store_b32 v1, v3
.LBB375_29:
	s_or_b32 exec_lo, exec_lo, s1
	s_delay_alu instid0(SALU_CYCLE_1)
	s_mov_b32 s1, exec_lo
	s_waitcnt lgkmcnt(0)
	s_barrier
	buffer_gl0_inv
	v_cmpx_gt_u32_e32 0x60, v0
	s_cbranch_execz .LBB375_31
; %bb.30:
	ds_load_2addr_b32 v[3:4], v1 offset1:96
	s_waitcnt lgkmcnt(0)
	v_add_f32_e32 v3, v4, v3
	ds_store_b32 v1, v3
.LBB375_31:
	s_or_b32 exec_lo, exec_lo, s1
	s_delay_alu instid0(SALU_CYCLE_1)
	s_mov_b32 s1, exec_lo
	s_waitcnt lgkmcnt(0)
	s_barrier
	buffer_gl0_inv
	v_cmpx_gt_u32_e32 48, v0
	s_cbranch_execz .LBB375_33
; %bb.32:
	ds_load_2addr_b32 v[3:4], v1 offset1:48
	s_waitcnt lgkmcnt(0)
	v_add_f32_e32 v3, v4, v3
	ds_store_b32 v1, v3
.LBB375_33:
	s_or_b32 exec_lo, exec_lo, s1
	s_delay_alu instid0(SALU_CYCLE_1)
	s_mov_b32 s1, exec_lo
	s_waitcnt lgkmcnt(0)
	buffer_gl0_inv
                                        ; implicit-def: $vgpr3
	v_cmpx_gt_u32_e32 24, v0
; %bb.34:
	v_add_nc_u32_e32 v3, 24, v0
	s_or_b32 s0, s0, exec_lo
                                        ; implicit-def: $vgpr2
; %bb.35:
	s_or_b32 exec_lo, exec_lo, s1
	v_mov_b32_e32 v4, v1
.LBB375_36:
	s_and_saveexec_b32 s1, s0
	s_cbranch_execz .LBB375_38
; %bb.37:
	v_lshlrev_b32_e32 v1, 2, v3
	ds_load_b32 v2, v4
	ds_load_b32 v1, v1
	s_waitcnt lgkmcnt(0)
	v_add_f32_e32 v2, v2, v1
.LBB375_38:
	s_or_b32 exec_lo, exec_lo, s1
	s_delay_alu instid0(SALU_CYCLE_1)
	s_mov_b32 s0, exec_lo
	v_cmpx_gt_u32_e32 24, v0
	s_cbranch_execz .LBB375_42
; %bb.39:
	v_cmp_eq_f32_e64 s1, s8, 0
	v_mul_f32_e32 v1, s12, v2
	s_mov_b32 s3, 0
	s_mul_i32 s0, s11, 0x60
	s_mul_i32 s2, s10, 0x60
	s_and_b32 vcc_lo, exec_lo, s1
	s_mul_hi_u32 s1, s10, 0x60
	s_cbranch_vccz .LBB375_43
; %bb.40:
	v_lshlrev_b32_e32 v2, 2, v0
	s_add_i32 s5, s1, s0
	s_add_u32 s4, s14, s2
	s_addc_u32 s5, s15, s5
	global_store_b32 v2, v1, s[4:5]
	s_and_not1_b32 vcc_lo, exec_lo, s3
	s_cbranch_vccnz .LBB375_42
.LBB375_41:
	v_lshlrev_b32_e32 v0, 2, v0
	s_add_i32 s1, s1, s0
	s_add_u32 s0, s14, s2
	s_addc_u32 s1, s15, s1
	global_load_b32 v2, v0, s[0:1]
	s_waitcnt vmcnt(0)
	v_fmac_f32_e32 v1, s8, v2
	global_store_b32 v0, v1, s[0:1]
.LBB375_42:
	s_nop 0
	s_sendmsg sendmsg(MSG_DEALLOC_VGPRS)
	s_endpgm
.LBB375_43:
	s_branch .LBB375_41
	.section	.rodata,"a",@progbits
	.p2align	6, 0x0
	.amdhsa_kernel _ZN9rocsparseL20bsrxmvn_17_32_kernelILj24Efll18rocsparse_bfloat16S1_fEEvT2_20rocsparse_direction_NS_24const_host_device_scalarIT0_EES2_PKS2_PKT1_SB_S8_PKT3_PKT4_S6_PT5_21rocsparse_index_base_b
		.amdhsa_group_segment_fixed_size 2304
		.amdhsa_private_segment_fixed_size 0
		.amdhsa_kernarg_size 104
		.amdhsa_user_sgpr_count 15
		.amdhsa_user_sgpr_dispatch_ptr 0
		.amdhsa_user_sgpr_queue_ptr 0
		.amdhsa_user_sgpr_kernarg_segment_ptr 1
		.amdhsa_user_sgpr_dispatch_id 0
		.amdhsa_user_sgpr_private_segment_size 0
		.amdhsa_wavefront_size32 1
		.amdhsa_uses_dynamic_stack 0
		.amdhsa_enable_private_segment 0
		.amdhsa_system_sgpr_workgroup_id_x 1
		.amdhsa_system_sgpr_workgroup_id_y 0
		.amdhsa_system_sgpr_workgroup_id_z 0
		.amdhsa_system_sgpr_workgroup_info 0
		.amdhsa_system_vgpr_workitem_id 0
		.amdhsa_next_free_vgpr 15
		.amdhsa_next_free_sgpr 24
		.amdhsa_reserve_vcc 1
		.amdhsa_float_round_mode_32 0
		.amdhsa_float_round_mode_16_64 0
		.amdhsa_float_denorm_mode_32 3
		.amdhsa_float_denorm_mode_16_64 3
		.amdhsa_dx10_clamp 1
		.amdhsa_ieee_mode 1
		.amdhsa_fp16_overflow 0
		.amdhsa_workgroup_processor_mode 1
		.amdhsa_memory_ordered 1
		.amdhsa_forward_progress 0
		.amdhsa_shared_vgpr_count 0
		.amdhsa_exception_fp_ieee_invalid_op 0
		.amdhsa_exception_fp_denorm_src 0
		.amdhsa_exception_fp_ieee_div_zero 0
		.amdhsa_exception_fp_ieee_overflow 0
		.amdhsa_exception_fp_ieee_underflow 0
		.amdhsa_exception_fp_ieee_inexact 0
		.amdhsa_exception_int_div_zero 0
	.end_amdhsa_kernel
	.section	.text._ZN9rocsparseL20bsrxmvn_17_32_kernelILj24Efll18rocsparse_bfloat16S1_fEEvT2_20rocsparse_direction_NS_24const_host_device_scalarIT0_EES2_PKS2_PKT1_SB_S8_PKT3_PKT4_S6_PT5_21rocsparse_index_base_b,"axG",@progbits,_ZN9rocsparseL20bsrxmvn_17_32_kernelILj24Efll18rocsparse_bfloat16S1_fEEvT2_20rocsparse_direction_NS_24const_host_device_scalarIT0_EES2_PKS2_PKT1_SB_S8_PKT3_PKT4_S6_PT5_21rocsparse_index_base_b,comdat
.Lfunc_end375:
	.size	_ZN9rocsparseL20bsrxmvn_17_32_kernelILj24Efll18rocsparse_bfloat16S1_fEEvT2_20rocsparse_direction_NS_24const_host_device_scalarIT0_EES2_PKS2_PKT1_SB_S8_PKT3_PKT4_S6_PT5_21rocsparse_index_base_b, .Lfunc_end375-_ZN9rocsparseL20bsrxmvn_17_32_kernelILj24Efll18rocsparse_bfloat16S1_fEEvT2_20rocsparse_direction_NS_24const_host_device_scalarIT0_EES2_PKS2_PKT1_SB_S8_PKT3_PKT4_S6_PT5_21rocsparse_index_base_b
                                        ; -- End function
	.section	.AMDGPU.csdata,"",@progbits
; Kernel info:
; codeLenInByte = 1588
; NumSgprs: 26
; NumVgprs: 15
; ScratchSize: 0
; MemoryBound: 0
; FloatMode: 240
; IeeeMode: 1
; LDSByteSize: 2304 bytes/workgroup (compile time only)
; SGPRBlocks: 3
; VGPRBlocks: 1
; NumSGPRsForWavesPerEU: 26
; NumVGPRsForWavesPerEU: 15
; Occupancy: 14
; WaveLimiterHint : 1
; COMPUTE_PGM_RSRC2:SCRATCH_EN: 0
; COMPUTE_PGM_RSRC2:USER_SGPR: 15
; COMPUTE_PGM_RSRC2:TRAP_HANDLER: 0
; COMPUTE_PGM_RSRC2:TGID_X_EN: 1
; COMPUTE_PGM_RSRC2:TGID_Y_EN: 0
; COMPUTE_PGM_RSRC2:TGID_Z_EN: 0
; COMPUTE_PGM_RSRC2:TIDIG_COMP_CNT: 0
	.section	.text._ZN9rocsparseL20bsrxmvn_17_32_kernelILj25Efll18rocsparse_bfloat16S1_fEEvT2_20rocsparse_direction_NS_24const_host_device_scalarIT0_EES2_PKS2_PKT1_SB_S8_PKT3_PKT4_S6_PT5_21rocsparse_index_base_b,"axG",@progbits,_ZN9rocsparseL20bsrxmvn_17_32_kernelILj25Efll18rocsparse_bfloat16S1_fEEvT2_20rocsparse_direction_NS_24const_host_device_scalarIT0_EES2_PKS2_PKT1_SB_S8_PKT3_PKT4_S6_PT5_21rocsparse_index_base_b,comdat
	.globl	_ZN9rocsparseL20bsrxmvn_17_32_kernelILj25Efll18rocsparse_bfloat16S1_fEEvT2_20rocsparse_direction_NS_24const_host_device_scalarIT0_EES2_PKS2_PKT1_SB_S8_PKT3_PKT4_S6_PT5_21rocsparse_index_base_b ; -- Begin function _ZN9rocsparseL20bsrxmvn_17_32_kernelILj25Efll18rocsparse_bfloat16S1_fEEvT2_20rocsparse_direction_NS_24const_host_device_scalarIT0_EES2_PKS2_PKT1_SB_S8_PKT3_PKT4_S6_PT5_21rocsparse_index_base_b
	.p2align	8
	.type	_ZN9rocsparseL20bsrxmvn_17_32_kernelILj25Efll18rocsparse_bfloat16S1_fEEvT2_20rocsparse_direction_NS_24const_host_device_scalarIT0_EES2_PKS2_PKT1_SB_S8_PKT3_PKT4_S6_PT5_21rocsparse_index_base_b,@function
_ZN9rocsparseL20bsrxmvn_17_32_kernelILj25Efll18rocsparse_bfloat16S1_fEEvT2_20rocsparse_direction_NS_24const_host_device_scalarIT0_EES2_PKS2_PKT1_SB_S8_PKT3_PKT4_S6_PT5_21rocsparse_index_base_b: ; @_ZN9rocsparseL20bsrxmvn_17_32_kernelILj25Efll18rocsparse_bfloat16S1_fEEvT2_20rocsparse_direction_NS_24const_host_device_scalarIT0_EES2_PKS2_PKT1_SB_S8_PKT3_PKT4_S6_PT5_21rocsparse_index_base_b
; %bb.0:
	s_clause 0x2
	s_load_b64 s[16:17], s[0:1], 0x60
	s_load_b64 s[12:13], s[0:1], 0x10
	;; [unrolled: 1-line block ×3, first 2 shown]
	s_mov_b32 s10, s15
	s_waitcnt lgkmcnt(0)
	s_bitcmp1_b32 s17, 0
	s_cselect_b32 s2, -1, 0
	s_delay_alu instid0(SALU_CYCLE_1)
	s_and_b32 vcc_lo, exec_lo, s2
	s_xor_b32 s2, s2, -1
	s_cbranch_vccnz .LBB376_2
; %bb.1:
	s_load_b32 s12, s[12:13], 0x0
.LBB376_2:
	s_and_not1_b32 vcc_lo, exec_lo, s2
	s_cbranch_vccnz .LBB376_4
; %bb.3:
	s_load_b32 s8, s[8:9], 0x0
.LBB376_4:
	s_waitcnt lgkmcnt(0)
	v_cmp_neq_f32_e64 s2, s12, 0
	v_cmp_neq_f32_e64 s3, s8, 1.0
	s_mov_b32 s11, 0
	s_delay_alu instid0(VALU_DEP_1) | instskip(NEXT) | instid1(SALU_CYCLE_1)
	s_or_b32 s2, s2, s3
	s_and_not1_b32 vcc_lo, exec_lo, s2
	s_cbranch_vccnz .LBB376_42
; %bb.5:
	s_clause 0x1
	s_load_b128 s[4:7], s[0:1], 0x20
	s_load_b64 s[14:15], s[0:1], 0x30
	s_waitcnt lgkmcnt(0)
	s_cmp_eq_u64 s[4:5], 0
	s_cbranch_scc1 .LBB376_7
; %bb.6:
	s_lshl_b64 s[2:3], s[10:11], 3
	s_delay_alu instid0(SALU_CYCLE_1)
	s_add_u32 s2, s4, s2
	s_addc_u32 s3, s5, s3
	s_load_b64 s[2:3], s[2:3], 0x0
	s_waitcnt lgkmcnt(0)
	s_sub_u32 s10, s2, s16
	s_subb_u32 s11, s3, 0
.LBB376_7:
	s_load_b32 s3, s[0:1], 0x8
	v_mul_u32_u24_e32 v1, 0xa3e, v0
	s_delay_alu instid0(VALU_DEP_1) | instskip(NEXT) | instid1(VALU_DEP_1)
	v_lshrrev_b32_e32 v1, 16, v1
	v_mul_lo_u16 v2, v1, 25
	s_delay_alu instid0(VALU_DEP_1)
	v_sub_nc_u16 v9, v0, v2
	v_mov_b32_e32 v2, 0
	s_waitcnt lgkmcnt(0)
	s_cmp_eq_u32 s3, 1
	s_cselect_b32 s2, -1, 0
	s_cmp_lg_u32 s3, 1
	s_cselect_b32 s9, -1, 0
	s_lshl_b64 s[4:5], s[10:11], 3
	s_delay_alu instid0(SALU_CYCLE_1)
	s_add_u32 s6, s6, s4
	s_addc_u32 s7, s7, s5
	s_add_u32 s3, s6, 8
	s_addc_u32 s13, s7, 0
	;; [unrolled: 2-line block ×3, first 2 shown]
	s_cmp_eq_u64 s[14:15], 0
	s_load_b64 s[14:15], s[0:1], 0x58
	s_cselect_b32 s5, s13, s5
	s_cselect_b32 s4, s3, s4
	s_load_b64 s[18:19], s[6:7], 0x0
	s_load_b64 s[20:21], s[4:5], 0x0
	s_waitcnt lgkmcnt(0)
	v_cmp_ge_i64_e64 s3, s[18:19], s[20:21]
	s_delay_alu instid0(VALU_DEP_1)
	s_and_b32 vcc_lo, exec_lo, s3
	s_cbranch_vccnz .LBB376_12
; %bb.8:
	v_dual_mov_b32 v2, 0 :: v_dual_and_b32 v1, 0xffff, v1
	v_cmp_gt_u32_e32 vcc_lo, 0x271, v0
	s_clause 0x1
	s_load_b128 s[4:7], s[0:1], 0x38
	s_load_b64 s[22:23], s[0:1], 0x48
	v_and_b32_e32 v4, 0xffff, v9
	v_subrev_nc_u32_e32 v3, 25, v1
	s_sub_u32 s0, s20, s16
	s_subb_u32 s1, s21, 0
	s_delay_alu instid0(VALU_DEP_1) | instskip(SKIP_1) | instid1(VALU_DEP_2)
	v_cndmask_b32_e32 v1, v3, v1, vcc_lo
	v_cmp_lt_u32_e32 vcc_lo, 0x270, v0
	v_cndmask_b32_e64 v1, v4, v1, s2
	v_cndmask_b32_e64 v10, 0, 1, vcc_lo
	s_sub_u32 s2, s18, s16
	s_subb_u32 s3, s19, 0
	s_mul_hi_u32 s13, s2, 0x4e2
	v_lshlrev_b64 v[3:4], 1, v[1:2]
	v_add_co_u32 v1, s18, s18, v10
	s_delay_alu instid0(VALU_DEP_1) | instskip(SKIP_2) | instid1(VALU_DEP_3)
	v_add_co_ci_u32_e64 v6, null, s19, 0, s18
	s_mul_i32 s17, s3, 0x4e2
	s_waitcnt lgkmcnt(0)
	v_add_co_u32 v3, vcc_lo, s22, v3
	v_add_co_ci_u32_e32 v4, vcc_lo, s23, v4, vcc_lo
	v_sub_co_u32 v5, vcc_lo, v1, s16
	v_subrev_co_ci_u32_e32 v6, vcc_lo, 0, v6, vcc_lo
	v_lshlrev_b32_e32 v1, 1, v0
	s_add_i32 s13, s13, s17
	s_mul_i32 s17, s2, 0x4e2
	s_delay_alu instid0(VALU_DEP_2) | instskip(SKIP_3) | instid1(VALU_DEP_1)
	v_lshlrev_b64 v[7:8], 3, v[5:6]
	s_add_u32 s6, s6, s17
	s_addc_u32 s7, s7, s13
	v_add_co_u32 v5, s6, s6, v1
	v_add_co_ci_u32_e64 v6, null, s7, 0, s6
	s_delay_alu instid0(VALU_DEP_3)
	v_add_co_u32 v7, vcc_lo, s4, v7
	v_add_co_ci_u32_e32 v8, vcc_lo, s5, v8, vcc_lo
	s_set_inst_prefetch_distance 0x1
	s_branch .LBB376_10
	.p2align	6
.LBB376_9:                              ;   in Loop: Header=BB376_10 Depth=1
	s_or_b32 exec_lo, exec_lo, s4
	s_add_u32 s2, s2, 1
	s_addc_u32 s3, s3, 0
	v_add_co_u32 v7, vcc_lo, v7, 8
	v_cmp_lt_i64_e64 s4, s[2:3], s[0:1]
	v_add_co_ci_u32_e32 v8, vcc_lo, 0, v8, vcc_lo
	s_delay_alu instid0(VALU_DEP_2)
	s_and_b32 vcc_lo, exec_lo, s4
	s_cbranch_vccz .LBB376_12
.LBB376_10:                             ; =>This Inner Loop Header: Depth=1
	v_add_co_u32 v11, s4, v10, s2
	s_delay_alu instid0(VALU_DEP_1) | instskip(SKIP_1) | instid1(VALU_DEP_1)
	v_add_co_ci_u32_e64 v12, null, 0, s3, s4
	s_mov_b32 s4, exec_lo
	v_cmpx_gt_i64_e64 s[0:1], v[11:12]
	s_cbranch_execz .LBB376_9
; %bb.11:                               ;   in Loop: Header=BB376_10 Depth=1
	global_load_b64 v[11:12], v[7:8], off
	s_waitcnt vmcnt(0)
	v_sub_co_u32 v1, vcc_lo, v11, s16
	v_subrev_co_ci_u32_e32 v14, vcc_lo, 0, v12, vcc_lo
	s_delay_alu instid0(VALU_DEP_2) | instskip(NEXT) | instid1(VALU_DEP_1)
	v_mad_u64_u32 v[11:12], null, v1, 50, v[3:4]
	v_mov_b32_e32 v1, v12
	s_delay_alu instid0(VALU_DEP_1)
	v_mad_u64_u32 v[12:13], null, v14, 50, v[1:2]
	global_load_u16 v1, v[5:6], off
	global_load_u16 v11, v[11:12], off
	v_add_co_u32 v5, vcc_lo, 0x4e2, v5
	v_add_co_ci_u32_e32 v6, vcc_lo, 0, v6, vcc_lo
	s_waitcnt vmcnt(1)
	v_lshlrev_b32_e32 v1, 16, v1
	s_waitcnt vmcnt(0)
	v_lshlrev_b32_e32 v11, 16, v11
	s_delay_alu instid0(VALU_DEP_1)
	v_fmac_f32_e32 v2, v1, v11
	s_branch .LBB376_9
.LBB376_12:
	s_set_inst_prefetch_distance 0x2
	v_lshlrev_b32_e32 v1, 2, v0
	s_and_b32 vcc_lo, exec_lo, s9
	ds_store_b32 v1, v2
	s_waitcnt lgkmcnt(0)
	s_barrier
	buffer_gl0_inv
	s_cbranch_vccz .LBB376_24
; %bb.13:
	s_mov_b32 s0, exec_lo
	v_cmpx_gt_u16_e32 9, v9
	s_cbranch_execz .LBB376_15
; %bb.14:
	ds_load_2addr_b32 v[3:4], v1 offset1:16
	s_waitcnt lgkmcnt(0)
	v_add_f32_e32 v3, v4, v3
	ds_store_b32 v1, v3
.LBB376_15:
	s_or_b32 exec_lo, exec_lo, s0
	s_delay_alu instid0(SALU_CYCLE_1)
	s_mov_b32 s0, exec_lo
	s_waitcnt lgkmcnt(0)
	s_barrier
	buffer_gl0_inv
	v_cmpx_gt_u16_e32 8, v9
	s_cbranch_execz .LBB376_17
; %bb.16:
	ds_load_2addr_b32 v[3:4], v1 offset1:8
	s_waitcnt lgkmcnt(0)
	v_add_f32_e32 v3, v4, v3
	ds_store_b32 v1, v3
.LBB376_17:
	s_or_b32 exec_lo, exec_lo, s0
	s_delay_alu instid0(SALU_CYCLE_1)
	s_mov_b32 s0, exec_lo
	s_waitcnt lgkmcnt(0)
	s_barrier
	buffer_gl0_inv
	;; [unrolled: 14-line block ×3, first 2 shown]
	v_cmpx_gt_u16_e32 2, v9
	s_cbranch_execz .LBB376_21
; %bb.20:
	ds_load_2addr_b32 v[3:4], v1 offset1:2
	s_waitcnt lgkmcnt(0)
	v_add_f32_e32 v3, v4, v3
	ds_store_b32 v1, v3
.LBB376_21:
	s_or_b32 exec_lo, exec_lo, s0
	s_mov_b32 s1, 0
	s_mov_b32 s0, 0
	s_mov_b32 s2, exec_lo
	s_waitcnt lgkmcnt(0)
	s_barrier
	buffer_gl0_inv
                                        ; implicit-def: $vgpr3
                                        ; implicit-def: $vgpr4
	v_cmpx_gt_u32_e32 25, v0
	s_xor_b32 s2, exec_lo, s2
; %bb.22:
	v_mad_u32_u24 v3, v0, 25, 1
	v_mad_u32_u24 v4, 0x60, v0, v1
	s_mov_b32 s0, exec_lo
; %bb.23:
	s_or_b32 exec_lo, exec_lo, s2
	s_delay_alu instid0(SALU_CYCLE_1)
	s_and_b32 vcc_lo, exec_lo, s1
	s_cbranch_vccnz .LBB376_25
	s_branch .LBB376_36
.LBB376_24:
	s_mov_b32 s0, 0
                                        ; implicit-def: $vgpr3
                                        ; implicit-def: $vgpr4
	s_cbranch_execz .LBB376_36
.LBB376_25:
	s_mov_b32 s1, exec_lo
	v_cmpx_gt_u32_e32 0xe1, v0
	s_cbranch_execz .LBB376_27
; %bb.26:
	ds_load_b32 v3, v1 offset:1600
	ds_load_b32 v4, v1
	s_waitcnt lgkmcnt(0)
	v_add_f32_e32 v3, v3, v4
	ds_store_b32 v1, v3
.LBB376_27:
	s_or_b32 exec_lo, exec_lo, s1
	s_delay_alu instid0(SALU_CYCLE_1)
	s_mov_b32 s1, exec_lo
	s_waitcnt lgkmcnt(0)
	s_barrier
	buffer_gl0_inv
	v_cmpx_gt_u32_e32 0xc8, v0
	s_cbranch_execz .LBB376_29
; %bb.28:
	ds_load_2addr_b32 v[3:4], v1 offset1:200
	s_waitcnt lgkmcnt(0)
	v_add_f32_e32 v3, v4, v3
	ds_store_b32 v1, v3
.LBB376_29:
	s_or_b32 exec_lo, exec_lo, s1
	s_delay_alu instid0(SALU_CYCLE_1)
	s_mov_b32 s1, exec_lo
	s_waitcnt lgkmcnt(0)
	s_barrier
	buffer_gl0_inv
	v_cmpx_gt_u32_e32 0x64, v0
	s_cbranch_execz .LBB376_31
; %bb.30:
	ds_load_2addr_b32 v[3:4], v1 offset1:100
	s_waitcnt lgkmcnt(0)
	v_add_f32_e32 v3, v4, v3
	ds_store_b32 v1, v3
.LBB376_31:
	;; [unrolled: 14-line block ×3, first 2 shown]
	s_or_b32 exec_lo, exec_lo, s1
	s_delay_alu instid0(SALU_CYCLE_1)
	s_mov_b32 s1, exec_lo
	s_waitcnt lgkmcnt(0)
	buffer_gl0_inv
                                        ; implicit-def: $vgpr3
	v_cmpx_gt_u32_e32 25, v0
; %bb.34:
	v_add_nc_u32_e32 v3, 25, v0
	s_or_b32 s0, s0, exec_lo
                                        ; implicit-def: $vgpr2
; %bb.35:
	s_or_b32 exec_lo, exec_lo, s1
	v_mov_b32_e32 v4, v1
.LBB376_36:
	s_and_saveexec_b32 s1, s0
	s_cbranch_execz .LBB376_38
; %bb.37:
	v_lshlrev_b32_e32 v1, 2, v3
	ds_load_b32 v2, v4
	ds_load_b32 v1, v1
	s_waitcnt lgkmcnt(0)
	v_add_f32_e32 v2, v2, v1
.LBB376_38:
	s_or_b32 exec_lo, exec_lo, s1
	s_delay_alu instid0(SALU_CYCLE_1)
	s_mov_b32 s0, exec_lo
	v_cmpx_gt_u32_e32 25, v0
	s_cbranch_execz .LBB376_42
; %bb.39:
	v_cmp_eq_f32_e64 s1, s8, 0
	v_mul_f32_e32 v1, s12, v2
	s_mov_b32 s3, 0
	s_mul_i32 s0, s11, 0x64
	s_mul_i32 s2, s10, 0x64
	s_and_b32 vcc_lo, exec_lo, s1
	s_mul_hi_u32 s1, s10, 0x64
	s_cbranch_vccz .LBB376_43
; %bb.40:
	v_lshlrev_b32_e32 v2, 2, v0
	s_add_i32 s5, s1, s0
	s_add_u32 s4, s14, s2
	s_addc_u32 s5, s15, s5
	global_store_b32 v2, v1, s[4:5]
	s_and_not1_b32 vcc_lo, exec_lo, s3
	s_cbranch_vccnz .LBB376_42
.LBB376_41:
	v_lshlrev_b32_e32 v0, 2, v0
	s_add_i32 s1, s1, s0
	s_add_u32 s0, s14, s2
	s_addc_u32 s1, s15, s1
	global_load_b32 v2, v0, s[0:1]
	s_waitcnt vmcnt(0)
	v_fmac_f32_e32 v1, s8, v2
	global_store_b32 v0, v1, s[0:1]
.LBB376_42:
	s_nop 0
	s_sendmsg sendmsg(MSG_DEALLOC_VGPRS)
	s_endpgm
.LBB376_43:
	s_branch .LBB376_41
	.section	.rodata,"a",@progbits
	.p2align	6, 0x0
	.amdhsa_kernel _ZN9rocsparseL20bsrxmvn_17_32_kernelILj25Efll18rocsparse_bfloat16S1_fEEvT2_20rocsparse_direction_NS_24const_host_device_scalarIT0_EES2_PKS2_PKT1_SB_S8_PKT3_PKT4_S6_PT5_21rocsparse_index_base_b
		.amdhsa_group_segment_fixed_size 2500
		.amdhsa_private_segment_fixed_size 0
		.amdhsa_kernarg_size 104
		.amdhsa_user_sgpr_count 15
		.amdhsa_user_sgpr_dispatch_ptr 0
		.amdhsa_user_sgpr_queue_ptr 0
		.amdhsa_user_sgpr_kernarg_segment_ptr 1
		.amdhsa_user_sgpr_dispatch_id 0
		.amdhsa_user_sgpr_private_segment_size 0
		.amdhsa_wavefront_size32 1
		.amdhsa_uses_dynamic_stack 0
		.amdhsa_enable_private_segment 0
		.amdhsa_system_sgpr_workgroup_id_x 1
		.amdhsa_system_sgpr_workgroup_id_y 0
		.amdhsa_system_sgpr_workgroup_id_z 0
		.amdhsa_system_sgpr_workgroup_info 0
		.amdhsa_system_vgpr_workitem_id 0
		.amdhsa_next_free_vgpr 15
		.amdhsa_next_free_sgpr 24
		.amdhsa_reserve_vcc 1
		.amdhsa_float_round_mode_32 0
		.amdhsa_float_round_mode_16_64 0
		.amdhsa_float_denorm_mode_32 3
		.amdhsa_float_denorm_mode_16_64 3
		.amdhsa_dx10_clamp 1
		.amdhsa_ieee_mode 1
		.amdhsa_fp16_overflow 0
		.amdhsa_workgroup_processor_mode 1
		.amdhsa_memory_ordered 1
		.amdhsa_forward_progress 0
		.amdhsa_shared_vgpr_count 0
		.amdhsa_exception_fp_ieee_invalid_op 0
		.amdhsa_exception_fp_denorm_src 0
		.amdhsa_exception_fp_ieee_div_zero 0
		.amdhsa_exception_fp_ieee_overflow 0
		.amdhsa_exception_fp_ieee_underflow 0
		.amdhsa_exception_fp_ieee_inexact 0
		.amdhsa_exception_int_div_zero 0
	.end_amdhsa_kernel
	.section	.text._ZN9rocsparseL20bsrxmvn_17_32_kernelILj25Efll18rocsparse_bfloat16S1_fEEvT2_20rocsparse_direction_NS_24const_host_device_scalarIT0_EES2_PKS2_PKT1_SB_S8_PKT3_PKT4_S6_PT5_21rocsparse_index_base_b,"axG",@progbits,_ZN9rocsparseL20bsrxmvn_17_32_kernelILj25Efll18rocsparse_bfloat16S1_fEEvT2_20rocsparse_direction_NS_24const_host_device_scalarIT0_EES2_PKS2_PKT1_SB_S8_PKT3_PKT4_S6_PT5_21rocsparse_index_base_b,comdat
.Lfunc_end376:
	.size	_ZN9rocsparseL20bsrxmvn_17_32_kernelILj25Efll18rocsparse_bfloat16S1_fEEvT2_20rocsparse_direction_NS_24const_host_device_scalarIT0_EES2_PKS2_PKT1_SB_S8_PKT3_PKT4_S6_PT5_21rocsparse_index_base_b, .Lfunc_end376-_ZN9rocsparseL20bsrxmvn_17_32_kernelILj25Efll18rocsparse_bfloat16S1_fEEvT2_20rocsparse_direction_NS_24const_host_device_scalarIT0_EES2_PKS2_PKT1_SB_S8_PKT3_PKT4_S6_PT5_21rocsparse_index_base_b
                                        ; -- End function
	.section	.AMDGPU.csdata,"",@progbits
; Kernel info:
; codeLenInByte = 1612
; NumSgprs: 26
; NumVgprs: 15
; ScratchSize: 0
; MemoryBound: 0
; FloatMode: 240
; IeeeMode: 1
; LDSByteSize: 2500 bytes/workgroup (compile time only)
; SGPRBlocks: 3
; VGPRBlocks: 1
; NumSGPRsForWavesPerEU: 26
; NumVGPRsForWavesPerEU: 15
; Occupancy: 15
; WaveLimiterHint : 1
; COMPUTE_PGM_RSRC2:SCRATCH_EN: 0
; COMPUTE_PGM_RSRC2:USER_SGPR: 15
; COMPUTE_PGM_RSRC2:TRAP_HANDLER: 0
; COMPUTE_PGM_RSRC2:TGID_X_EN: 1
; COMPUTE_PGM_RSRC2:TGID_Y_EN: 0
; COMPUTE_PGM_RSRC2:TGID_Z_EN: 0
; COMPUTE_PGM_RSRC2:TIDIG_COMP_CNT: 0
	.section	.text._ZN9rocsparseL20bsrxmvn_17_32_kernelILj26Efll18rocsparse_bfloat16S1_fEEvT2_20rocsparse_direction_NS_24const_host_device_scalarIT0_EES2_PKS2_PKT1_SB_S8_PKT3_PKT4_S6_PT5_21rocsparse_index_base_b,"axG",@progbits,_ZN9rocsparseL20bsrxmvn_17_32_kernelILj26Efll18rocsparse_bfloat16S1_fEEvT2_20rocsparse_direction_NS_24const_host_device_scalarIT0_EES2_PKS2_PKT1_SB_S8_PKT3_PKT4_S6_PT5_21rocsparse_index_base_b,comdat
	.globl	_ZN9rocsparseL20bsrxmvn_17_32_kernelILj26Efll18rocsparse_bfloat16S1_fEEvT2_20rocsparse_direction_NS_24const_host_device_scalarIT0_EES2_PKS2_PKT1_SB_S8_PKT3_PKT4_S6_PT5_21rocsparse_index_base_b ; -- Begin function _ZN9rocsparseL20bsrxmvn_17_32_kernelILj26Efll18rocsparse_bfloat16S1_fEEvT2_20rocsparse_direction_NS_24const_host_device_scalarIT0_EES2_PKS2_PKT1_SB_S8_PKT3_PKT4_S6_PT5_21rocsparse_index_base_b
	.p2align	8
	.type	_ZN9rocsparseL20bsrxmvn_17_32_kernelILj26Efll18rocsparse_bfloat16S1_fEEvT2_20rocsparse_direction_NS_24const_host_device_scalarIT0_EES2_PKS2_PKT1_SB_S8_PKT3_PKT4_S6_PT5_21rocsparse_index_base_b,@function
_ZN9rocsparseL20bsrxmvn_17_32_kernelILj26Efll18rocsparse_bfloat16S1_fEEvT2_20rocsparse_direction_NS_24const_host_device_scalarIT0_EES2_PKS2_PKT1_SB_S8_PKT3_PKT4_S6_PT5_21rocsparse_index_base_b: ; @_ZN9rocsparseL20bsrxmvn_17_32_kernelILj26Efll18rocsparse_bfloat16S1_fEEvT2_20rocsparse_direction_NS_24const_host_device_scalarIT0_EES2_PKS2_PKT1_SB_S8_PKT3_PKT4_S6_PT5_21rocsparse_index_base_b
; %bb.0:
	s_clause 0x2
	s_load_b64 s[16:17], s[0:1], 0x60
	s_load_b64 s[12:13], s[0:1], 0x10
	;; [unrolled: 1-line block ×3, first 2 shown]
	s_mov_b32 s10, s15
	s_waitcnt lgkmcnt(0)
	s_bitcmp1_b32 s17, 0
	s_cselect_b32 s2, -1, 0
	s_delay_alu instid0(SALU_CYCLE_1)
	s_and_b32 vcc_lo, exec_lo, s2
	s_xor_b32 s2, s2, -1
	s_cbranch_vccnz .LBB377_2
; %bb.1:
	s_load_b32 s12, s[12:13], 0x0
.LBB377_2:
	s_and_not1_b32 vcc_lo, exec_lo, s2
	s_cbranch_vccnz .LBB377_4
; %bb.3:
	s_load_b32 s8, s[8:9], 0x0
.LBB377_4:
	s_waitcnt lgkmcnt(0)
	v_cmp_neq_f32_e64 s2, s12, 0
	v_cmp_neq_f32_e64 s3, s8, 1.0
	s_mov_b32 s11, 0
	s_delay_alu instid0(VALU_DEP_1) | instskip(NEXT) | instid1(SALU_CYCLE_1)
	s_or_b32 s2, s2, s3
	s_and_not1_b32 vcc_lo, exec_lo, s2
	s_cbranch_vccnz .LBB377_42
; %bb.5:
	s_clause 0x1
	s_load_b128 s[4:7], s[0:1], 0x20
	s_load_b64 s[14:15], s[0:1], 0x30
	s_waitcnt lgkmcnt(0)
	s_cmp_eq_u64 s[4:5], 0
	s_cbranch_scc1 .LBB377_7
; %bb.6:
	s_lshl_b64 s[2:3], s[10:11], 3
	s_delay_alu instid0(SALU_CYCLE_1)
	s_add_u32 s2, s4, s2
	s_addc_u32 s3, s5, s3
	s_load_b64 s[2:3], s[2:3], 0x0
	s_waitcnt lgkmcnt(0)
	s_sub_u32 s10, s2, s16
	s_subb_u32 s11, s3, 0
.LBB377_7:
	s_load_b32 s3, s[0:1], 0x8
	v_mul_u32_u24_e32 v1, 0x9d9, v0
	s_delay_alu instid0(VALU_DEP_1) | instskip(NEXT) | instid1(VALU_DEP_1)
	v_lshrrev_b32_e32 v1, 16, v1
	v_mul_lo_u16 v2, v1, 26
	s_delay_alu instid0(VALU_DEP_1)
	v_sub_nc_u16 v9, v0, v2
	v_mov_b32_e32 v2, 0
	s_waitcnt lgkmcnt(0)
	s_cmp_eq_u32 s3, 1
	s_cselect_b32 s2, -1, 0
	s_cmp_lg_u32 s3, 1
	s_cselect_b32 s9, -1, 0
	s_lshl_b64 s[4:5], s[10:11], 3
	s_delay_alu instid0(SALU_CYCLE_1)
	s_add_u32 s6, s6, s4
	s_addc_u32 s7, s7, s5
	s_add_u32 s3, s6, 8
	s_addc_u32 s13, s7, 0
	;; [unrolled: 2-line block ×3, first 2 shown]
	s_cmp_eq_u64 s[14:15], 0
	s_load_b64 s[14:15], s[0:1], 0x58
	s_cselect_b32 s5, s13, s5
	s_cselect_b32 s4, s3, s4
	s_load_b64 s[18:19], s[6:7], 0x0
	s_load_b64 s[20:21], s[4:5], 0x0
	s_waitcnt lgkmcnt(0)
	v_cmp_ge_i64_e64 s3, s[18:19], s[20:21]
	s_delay_alu instid0(VALU_DEP_1)
	s_and_b32 vcc_lo, exec_lo, s3
	s_cbranch_vccnz .LBB377_12
; %bb.8:
	v_dual_mov_b32 v2, 0 :: v_dual_and_b32 v1, 0xffff, v1
	v_cmp_gt_u32_e32 vcc_lo, 0x2a4, v0
	s_clause 0x1
	s_load_b128 s[4:7], s[0:1], 0x38
	s_load_b64 s[22:23], s[0:1], 0x48
	v_and_b32_e32 v4, 0xffff, v9
	v_subrev_nc_u32_e32 v3, 26, v1
	s_sub_u32 s0, s20, s16
	s_subb_u32 s1, s21, 0
	s_delay_alu instid0(VALU_DEP_1) | instskip(SKIP_1) | instid1(VALU_DEP_2)
	v_cndmask_b32_e32 v1, v3, v1, vcc_lo
	v_cmp_lt_u32_e32 vcc_lo, 0x2a3, v0
	v_cndmask_b32_e64 v1, v4, v1, s2
	v_cndmask_b32_e64 v10, 0, 1, vcc_lo
	s_sub_u32 s2, s18, s16
	s_subb_u32 s3, s19, 0
	s_mul_hi_u32 s13, s2, 0x548
	v_lshlrev_b64 v[3:4], 1, v[1:2]
	v_add_co_u32 v1, s18, s18, v10
	s_delay_alu instid0(VALU_DEP_1) | instskip(SKIP_2) | instid1(VALU_DEP_3)
	v_add_co_ci_u32_e64 v6, null, s19, 0, s18
	s_mul_i32 s17, s3, 0x548
	s_waitcnt lgkmcnt(0)
	v_add_co_u32 v3, vcc_lo, s22, v3
	v_add_co_ci_u32_e32 v4, vcc_lo, s23, v4, vcc_lo
	v_sub_co_u32 v5, vcc_lo, v1, s16
	v_subrev_co_ci_u32_e32 v6, vcc_lo, 0, v6, vcc_lo
	v_lshlrev_b32_e32 v1, 1, v0
	s_add_i32 s13, s13, s17
	s_mul_i32 s17, s2, 0x548
	s_delay_alu instid0(VALU_DEP_2) | instskip(SKIP_3) | instid1(VALU_DEP_1)
	v_lshlrev_b64 v[7:8], 3, v[5:6]
	s_add_u32 s6, s6, s17
	s_addc_u32 s7, s7, s13
	v_add_co_u32 v5, s6, s6, v1
	v_add_co_ci_u32_e64 v6, null, s7, 0, s6
	s_delay_alu instid0(VALU_DEP_3)
	v_add_co_u32 v7, vcc_lo, s4, v7
	v_add_co_ci_u32_e32 v8, vcc_lo, s5, v8, vcc_lo
	s_set_inst_prefetch_distance 0x1
	s_branch .LBB377_10
	.p2align	6
.LBB377_9:                              ;   in Loop: Header=BB377_10 Depth=1
	s_or_b32 exec_lo, exec_lo, s4
	s_add_u32 s2, s2, 1
	s_addc_u32 s3, s3, 0
	v_add_co_u32 v7, vcc_lo, v7, 8
	v_cmp_lt_i64_e64 s4, s[2:3], s[0:1]
	v_add_co_ci_u32_e32 v8, vcc_lo, 0, v8, vcc_lo
	s_delay_alu instid0(VALU_DEP_2)
	s_and_b32 vcc_lo, exec_lo, s4
	s_cbranch_vccz .LBB377_12
.LBB377_10:                             ; =>This Inner Loop Header: Depth=1
	v_add_co_u32 v11, s4, v10, s2
	s_delay_alu instid0(VALU_DEP_1) | instskip(SKIP_1) | instid1(VALU_DEP_1)
	v_add_co_ci_u32_e64 v12, null, 0, s3, s4
	s_mov_b32 s4, exec_lo
	v_cmpx_gt_i64_e64 s[0:1], v[11:12]
	s_cbranch_execz .LBB377_9
; %bb.11:                               ;   in Loop: Header=BB377_10 Depth=1
	global_load_b64 v[11:12], v[7:8], off
	s_waitcnt vmcnt(0)
	v_sub_co_u32 v1, vcc_lo, v11, s16
	v_subrev_co_ci_u32_e32 v14, vcc_lo, 0, v12, vcc_lo
	s_delay_alu instid0(VALU_DEP_2) | instskip(NEXT) | instid1(VALU_DEP_1)
	v_mad_u64_u32 v[11:12], null, v1, 52, v[3:4]
	v_mov_b32_e32 v1, v12
	s_delay_alu instid0(VALU_DEP_1)
	v_mad_u64_u32 v[12:13], null, v14, 52, v[1:2]
	global_load_u16 v1, v[5:6], off
	global_load_u16 v11, v[11:12], off
	v_add_co_u32 v5, vcc_lo, 0x548, v5
	v_add_co_ci_u32_e32 v6, vcc_lo, 0, v6, vcc_lo
	s_waitcnt vmcnt(1)
	v_lshlrev_b32_e32 v1, 16, v1
	s_waitcnt vmcnt(0)
	v_lshlrev_b32_e32 v11, 16, v11
	s_delay_alu instid0(VALU_DEP_1)
	v_fmac_f32_e32 v2, v1, v11
	s_branch .LBB377_9
.LBB377_12:
	s_set_inst_prefetch_distance 0x2
	v_lshlrev_b32_e32 v1, 2, v0
	s_and_b32 vcc_lo, exec_lo, s9
	ds_store_b32 v1, v2
	s_waitcnt lgkmcnt(0)
	s_barrier
	buffer_gl0_inv
	s_cbranch_vccz .LBB377_24
; %bb.13:
	s_mov_b32 s0, exec_lo
	v_cmpx_gt_u16_e32 10, v9
	s_cbranch_execz .LBB377_15
; %bb.14:
	ds_load_2addr_b32 v[3:4], v1 offset1:16
	s_waitcnt lgkmcnt(0)
	v_add_f32_e32 v3, v4, v3
	ds_store_b32 v1, v3
.LBB377_15:
	s_or_b32 exec_lo, exec_lo, s0
	s_delay_alu instid0(SALU_CYCLE_1)
	s_mov_b32 s0, exec_lo
	s_waitcnt lgkmcnt(0)
	s_barrier
	buffer_gl0_inv
	v_cmpx_gt_u16_e32 8, v9
	s_cbranch_execz .LBB377_17
; %bb.16:
	ds_load_2addr_b32 v[3:4], v1 offset1:8
	s_waitcnt lgkmcnt(0)
	v_add_f32_e32 v3, v4, v3
	ds_store_b32 v1, v3
.LBB377_17:
	s_or_b32 exec_lo, exec_lo, s0
	s_delay_alu instid0(SALU_CYCLE_1)
	s_mov_b32 s0, exec_lo
	s_waitcnt lgkmcnt(0)
	s_barrier
	buffer_gl0_inv
	;; [unrolled: 14-line block ×3, first 2 shown]
	v_cmpx_gt_u16_e32 2, v9
	s_cbranch_execz .LBB377_21
; %bb.20:
	ds_load_2addr_b32 v[3:4], v1 offset1:2
	s_waitcnt lgkmcnt(0)
	v_add_f32_e32 v3, v4, v3
	ds_store_b32 v1, v3
.LBB377_21:
	s_or_b32 exec_lo, exec_lo, s0
	s_mov_b32 s1, 0
	s_mov_b32 s0, 0
	s_mov_b32 s2, exec_lo
	s_waitcnt lgkmcnt(0)
	s_barrier
	buffer_gl0_inv
                                        ; implicit-def: $vgpr3
                                        ; implicit-def: $vgpr4
	v_cmpx_gt_u32_e32 26, v0
	s_xor_b32 s2, exec_lo, s2
; %bb.22:
	v_mul_u32_u24_e32 v3, 26, v0
	v_mad_u32_u24 v4, 0x64, v0, v1
	s_mov_b32 s0, exec_lo
	s_delay_alu instid0(VALU_DEP_2)
	v_or_b32_e32 v3, 1, v3
; %bb.23:
	s_or_b32 exec_lo, exec_lo, s2
	s_delay_alu instid0(SALU_CYCLE_1)
	s_and_b32 vcc_lo, exec_lo, s1
	s_cbranch_vccnz .LBB377_25
	s_branch .LBB377_36
.LBB377_24:
	s_mov_b32 s0, 0
                                        ; implicit-def: $vgpr3
                                        ; implicit-def: $vgpr4
	s_cbranch_execz .LBB377_36
.LBB377_25:
	s_mov_b32 s1, exec_lo
	v_cmpx_gt_u32_e32 0x104, v0
	s_cbranch_execz .LBB377_27
; %bb.26:
	ds_load_b32 v3, v1 offset:1664
	ds_load_b32 v4, v1
	s_waitcnt lgkmcnt(0)
	v_add_f32_e32 v3, v3, v4
	ds_store_b32 v1, v3
.LBB377_27:
	s_or_b32 exec_lo, exec_lo, s1
	s_delay_alu instid0(SALU_CYCLE_1)
	s_mov_b32 s1, exec_lo
	s_waitcnt lgkmcnt(0)
	s_barrier
	buffer_gl0_inv
	v_cmpx_gt_u32_e32 0xd0, v0
	s_cbranch_execz .LBB377_29
; %bb.28:
	ds_load_2addr_b32 v[3:4], v1 offset1:208
	s_waitcnt lgkmcnt(0)
	v_add_f32_e32 v3, v4, v3
	ds_store_b32 v1, v3
.LBB377_29:
	s_or_b32 exec_lo, exec_lo, s1
	s_delay_alu instid0(SALU_CYCLE_1)
	s_mov_b32 s1, exec_lo
	s_waitcnt lgkmcnt(0)
	s_barrier
	buffer_gl0_inv
	v_cmpx_gt_u32_e32 0x68, v0
	s_cbranch_execz .LBB377_31
; %bb.30:
	ds_load_2addr_b32 v[3:4], v1 offset1:104
	s_waitcnt lgkmcnt(0)
	v_add_f32_e32 v3, v4, v3
	ds_store_b32 v1, v3
.LBB377_31:
	;; [unrolled: 14-line block ×3, first 2 shown]
	s_or_b32 exec_lo, exec_lo, s1
	s_delay_alu instid0(SALU_CYCLE_1)
	s_mov_b32 s1, exec_lo
	s_waitcnt lgkmcnt(0)
	buffer_gl0_inv
                                        ; implicit-def: $vgpr3
	v_cmpx_gt_u32_e32 26, v0
; %bb.34:
	v_add_nc_u32_e32 v3, 26, v0
	s_or_b32 s0, s0, exec_lo
                                        ; implicit-def: $vgpr2
; %bb.35:
	s_or_b32 exec_lo, exec_lo, s1
	v_mov_b32_e32 v4, v1
.LBB377_36:
	s_and_saveexec_b32 s1, s0
	s_cbranch_execz .LBB377_38
; %bb.37:
	v_lshlrev_b32_e32 v1, 2, v3
	ds_load_b32 v2, v4
	ds_load_b32 v1, v1
	s_waitcnt lgkmcnt(0)
	v_add_f32_e32 v2, v2, v1
.LBB377_38:
	s_or_b32 exec_lo, exec_lo, s1
	s_delay_alu instid0(SALU_CYCLE_1)
	s_mov_b32 s0, exec_lo
	v_cmpx_gt_u32_e32 26, v0
	s_cbranch_execz .LBB377_42
; %bb.39:
	v_cmp_eq_f32_e64 s1, s8, 0
	v_mul_f32_e32 v1, s12, v2
	s_mov_b32 s3, 0
	s_mul_i32 s0, s11, 0x68
	s_mul_i32 s2, s10, 0x68
	s_and_b32 vcc_lo, exec_lo, s1
	s_mul_hi_u32 s1, s10, 0x68
	s_cbranch_vccz .LBB377_43
; %bb.40:
	v_lshlrev_b32_e32 v2, 2, v0
	s_add_i32 s5, s1, s0
	s_add_u32 s4, s14, s2
	s_addc_u32 s5, s15, s5
	global_store_b32 v2, v1, s[4:5]
	s_and_not1_b32 vcc_lo, exec_lo, s3
	s_cbranch_vccnz .LBB377_42
.LBB377_41:
	v_lshlrev_b32_e32 v0, 2, v0
	s_add_i32 s1, s1, s0
	s_add_u32 s0, s14, s2
	s_addc_u32 s1, s15, s1
	global_load_b32 v2, v0, s[0:1]
	s_waitcnt vmcnt(0)
	v_fmac_f32_e32 v1, s8, v2
	global_store_b32 v0, v1, s[0:1]
.LBB377_42:
	s_nop 0
	s_sendmsg sendmsg(MSG_DEALLOC_VGPRS)
	s_endpgm
.LBB377_43:
	s_branch .LBB377_41
	.section	.rodata,"a",@progbits
	.p2align	6, 0x0
	.amdhsa_kernel _ZN9rocsparseL20bsrxmvn_17_32_kernelILj26Efll18rocsparse_bfloat16S1_fEEvT2_20rocsparse_direction_NS_24const_host_device_scalarIT0_EES2_PKS2_PKT1_SB_S8_PKT3_PKT4_S6_PT5_21rocsparse_index_base_b
		.amdhsa_group_segment_fixed_size 2704
		.amdhsa_private_segment_fixed_size 0
		.amdhsa_kernarg_size 104
		.amdhsa_user_sgpr_count 15
		.amdhsa_user_sgpr_dispatch_ptr 0
		.amdhsa_user_sgpr_queue_ptr 0
		.amdhsa_user_sgpr_kernarg_segment_ptr 1
		.amdhsa_user_sgpr_dispatch_id 0
		.amdhsa_user_sgpr_private_segment_size 0
		.amdhsa_wavefront_size32 1
		.amdhsa_uses_dynamic_stack 0
		.amdhsa_enable_private_segment 0
		.amdhsa_system_sgpr_workgroup_id_x 1
		.amdhsa_system_sgpr_workgroup_id_y 0
		.amdhsa_system_sgpr_workgroup_id_z 0
		.amdhsa_system_sgpr_workgroup_info 0
		.amdhsa_system_vgpr_workitem_id 0
		.amdhsa_next_free_vgpr 15
		.amdhsa_next_free_sgpr 24
		.amdhsa_reserve_vcc 1
		.amdhsa_float_round_mode_32 0
		.amdhsa_float_round_mode_16_64 0
		.amdhsa_float_denorm_mode_32 3
		.amdhsa_float_denorm_mode_16_64 3
		.amdhsa_dx10_clamp 1
		.amdhsa_ieee_mode 1
		.amdhsa_fp16_overflow 0
		.amdhsa_workgroup_processor_mode 1
		.amdhsa_memory_ordered 1
		.amdhsa_forward_progress 0
		.amdhsa_shared_vgpr_count 0
		.amdhsa_exception_fp_ieee_invalid_op 0
		.amdhsa_exception_fp_denorm_src 0
		.amdhsa_exception_fp_ieee_div_zero 0
		.amdhsa_exception_fp_ieee_overflow 0
		.amdhsa_exception_fp_ieee_underflow 0
		.amdhsa_exception_fp_ieee_inexact 0
		.amdhsa_exception_int_div_zero 0
	.end_amdhsa_kernel
	.section	.text._ZN9rocsparseL20bsrxmvn_17_32_kernelILj26Efll18rocsparse_bfloat16S1_fEEvT2_20rocsparse_direction_NS_24const_host_device_scalarIT0_EES2_PKS2_PKT1_SB_S8_PKT3_PKT4_S6_PT5_21rocsparse_index_base_b,"axG",@progbits,_ZN9rocsparseL20bsrxmvn_17_32_kernelILj26Efll18rocsparse_bfloat16S1_fEEvT2_20rocsparse_direction_NS_24const_host_device_scalarIT0_EES2_PKS2_PKT1_SB_S8_PKT3_PKT4_S6_PT5_21rocsparse_index_base_b,comdat
.Lfunc_end377:
	.size	_ZN9rocsparseL20bsrxmvn_17_32_kernelILj26Efll18rocsparse_bfloat16S1_fEEvT2_20rocsparse_direction_NS_24const_host_device_scalarIT0_EES2_PKS2_PKT1_SB_S8_PKT3_PKT4_S6_PT5_21rocsparse_index_base_b, .Lfunc_end377-_ZN9rocsparseL20bsrxmvn_17_32_kernelILj26Efll18rocsparse_bfloat16S1_fEEvT2_20rocsparse_direction_NS_24const_host_device_scalarIT0_EES2_PKS2_PKT1_SB_S8_PKT3_PKT4_S6_PT5_21rocsparse_index_base_b
                                        ; -- End function
	.section	.AMDGPU.csdata,"",@progbits
; Kernel info:
; codeLenInByte = 1616
; NumSgprs: 26
; NumVgprs: 15
; ScratchSize: 0
; MemoryBound: 0
; FloatMode: 240
; IeeeMode: 1
; LDSByteSize: 2704 bytes/workgroup (compile time only)
; SGPRBlocks: 3
; VGPRBlocks: 1
; NumSGPRsForWavesPerEU: 26
; NumVGPRsForWavesPerEU: 15
; Occupancy: 11
; WaveLimiterHint : 1
; COMPUTE_PGM_RSRC2:SCRATCH_EN: 0
; COMPUTE_PGM_RSRC2:USER_SGPR: 15
; COMPUTE_PGM_RSRC2:TRAP_HANDLER: 0
; COMPUTE_PGM_RSRC2:TGID_X_EN: 1
; COMPUTE_PGM_RSRC2:TGID_Y_EN: 0
; COMPUTE_PGM_RSRC2:TGID_Z_EN: 0
; COMPUTE_PGM_RSRC2:TIDIG_COMP_CNT: 0
	.section	.text._ZN9rocsparseL20bsrxmvn_17_32_kernelILj27Efll18rocsparse_bfloat16S1_fEEvT2_20rocsparse_direction_NS_24const_host_device_scalarIT0_EES2_PKS2_PKT1_SB_S8_PKT3_PKT4_S6_PT5_21rocsparse_index_base_b,"axG",@progbits,_ZN9rocsparseL20bsrxmvn_17_32_kernelILj27Efll18rocsparse_bfloat16S1_fEEvT2_20rocsparse_direction_NS_24const_host_device_scalarIT0_EES2_PKS2_PKT1_SB_S8_PKT3_PKT4_S6_PT5_21rocsparse_index_base_b,comdat
	.globl	_ZN9rocsparseL20bsrxmvn_17_32_kernelILj27Efll18rocsparse_bfloat16S1_fEEvT2_20rocsparse_direction_NS_24const_host_device_scalarIT0_EES2_PKS2_PKT1_SB_S8_PKT3_PKT4_S6_PT5_21rocsparse_index_base_b ; -- Begin function _ZN9rocsparseL20bsrxmvn_17_32_kernelILj27Efll18rocsparse_bfloat16S1_fEEvT2_20rocsparse_direction_NS_24const_host_device_scalarIT0_EES2_PKS2_PKT1_SB_S8_PKT3_PKT4_S6_PT5_21rocsparse_index_base_b
	.p2align	8
	.type	_ZN9rocsparseL20bsrxmvn_17_32_kernelILj27Efll18rocsparse_bfloat16S1_fEEvT2_20rocsparse_direction_NS_24const_host_device_scalarIT0_EES2_PKS2_PKT1_SB_S8_PKT3_PKT4_S6_PT5_21rocsparse_index_base_b,@function
_ZN9rocsparseL20bsrxmvn_17_32_kernelILj27Efll18rocsparse_bfloat16S1_fEEvT2_20rocsparse_direction_NS_24const_host_device_scalarIT0_EES2_PKS2_PKT1_SB_S8_PKT3_PKT4_S6_PT5_21rocsparse_index_base_b: ; @_ZN9rocsparseL20bsrxmvn_17_32_kernelILj27Efll18rocsparse_bfloat16S1_fEEvT2_20rocsparse_direction_NS_24const_host_device_scalarIT0_EES2_PKS2_PKT1_SB_S8_PKT3_PKT4_S6_PT5_21rocsparse_index_base_b
; %bb.0:
	s_clause 0x2
	s_load_b64 s[16:17], s[0:1], 0x60
	s_load_b64 s[12:13], s[0:1], 0x10
	;; [unrolled: 1-line block ×3, first 2 shown]
	s_mov_b32 s10, s15
	s_waitcnt lgkmcnt(0)
	s_bitcmp1_b32 s17, 0
	s_cselect_b32 s2, -1, 0
	s_delay_alu instid0(SALU_CYCLE_1)
	s_and_b32 vcc_lo, exec_lo, s2
	s_xor_b32 s2, s2, -1
	s_cbranch_vccnz .LBB378_2
; %bb.1:
	s_load_b32 s12, s[12:13], 0x0
.LBB378_2:
	s_and_not1_b32 vcc_lo, exec_lo, s2
	s_cbranch_vccnz .LBB378_4
; %bb.3:
	s_load_b32 s8, s[8:9], 0x0
.LBB378_4:
	s_waitcnt lgkmcnt(0)
	v_cmp_neq_f32_e64 s2, s12, 0
	v_cmp_neq_f32_e64 s3, s8, 1.0
	s_mov_b32 s11, 0
	s_delay_alu instid0(VALU_DEP_1) | instskip(NEXT) | instid1(SALU_CYCLE_1)
	s_or_b32 s2, s2, s3
	s_and_not1_b32 vcc_lo, exec_lo, s2
	s_cbranch_vccnz .LBB378_42
; %bb.5:
	s_clause 0x1
	s_load_b128 s[4:7], s[0:1], 0x20
	s_load_b64 s[14:15], s[0:1], 0x30
	s_waitcnt lgkmcnt(0)
	s_cmp_eq_u64 s[4:5], 0
	s_cbranch_scc1 .LBB378_7
; %bb.6:
	s_lshl_b64 s[2:3], s[10:11], 3
	s_delay_alu instid0(SALU_CYCLE_1)
	s_add_u32 s2, s4, s2
	s_addc_u32 s3, s5, s3
	s_load_b64 s[2:3], s[2:3], 0x0
	s_waitcnt lgkmcnt(0)
	s_sub_u32 s10, s2, s16
	s_subb_u32 s11, s3, 0
.LBB378_7:
	s_load_b32 s3, s[0:1], 0x8
	v_mul_u32_u24_e32 v1, 0x97c, v0
	s_delay_alu instid0(VALU_DEP_1) | instskip(NEXT) | instid1(VALU_DEP_1)
	v_lshrrev_b32_e32 v1, 16, v1
	v_mul_lo_u16 v2, v1, 27
	s_delay_alu instid0(VALU_DEP_1)
	v_sub_nc_u16 v9, v0, v2
	v_mov_b32_e32 v2, 0
	s_waitcnt lgkmcnt(0)
	s_cmp_eq_u32 s3, 1
	s_cselect_b32 s2, -1, 0
	s_cmp_lg_u32 s3, 1
	s_cselect_b32 s9, -1, 0
	s_lshl_b64 s[4:5], s[10:11], 3
	s_delay_alu instid0(SALU_CYCLE_1)
	s_add_u32 s6, s6, s4
	s_addc_u32 s7, s7, s5
	s_add_u32 s3, s6, 8
	s_addc_u32 s13, s7, 0
	;; [unrolled: 2-line block ×3, first 2 shown]
	s_cmp_eq_u64 s[14:15], 0
	s_load_b64 s[14:15], s[0:1], 0x58
	s_cselect_b32 s5, s13, s5
	s_cselect_b32 s4, s3, s4
	s_load_b64 s[18:19], s[6:7], 0x0
	s_load_b64 s[20:21], s[4:5], 0x0
	s_waitcnt lgkmcnt(0)
	v_cmp_ge_i64_e64 s3, s[18:19], s[20:21]
	s_delay_alu instid0(VALU_DEP_1)
	s_and_b32 vcc_lo, exec_lo, s3
	s_cbranch_vccnz .LBB378_12
; %bb.8:
	v_dual_mov_b32 v2, 0 :: v_dual_and_b32 v1, 0xffff, v1
	v_cmp_gt_u32_e32 vcc_lo, 0x2d9, v0
	s_clause 0x1
	s_load_b128 s[4:7], s[0:1], 0x38
	s_load_b64 s[22:23], s[0:1], 0x48
	v_and_b32_e32 v4, 0xffff, v9
	v_subrev_nc_u32_e32 v3, 27, v1
	s_sub_u32 s0, s20, s16
	s_subb_u32 s1, s21, 0
	s_delay_alu instid0(VALU_DEP_1) | instskip(SKIP_1) | instid1(VALU_DEP_2)
	v_cndmask_b32_e32 v1, v3, v1, vcc_lo
	v_cmp_lt_u32_e32 vcc_lo, 0x2d8, v0
	v_cndmask_b32_e64 v1, v4, v1, s2
	v_cndmask_b32_e64 v10, 0, 1, vcc_lo
	s_sub_u32 s2, s18, s16
	s_subb_u32 s3, s19, 0
	s_mul_hi_u32 s13, s2, 0x5b2
	v_lshlrev_b64 v[3:4], 1, v[1:2]
	v_add_co_u32 v1, s18, s18, v10
	s_delay_alu instid0(VALU_DEP_1) | instskip(SKIP_2) | instid1(VALU_DEP_3)
	v_add_co_ci_u32_e64 v6, null, s19, 0, s18
	s_mul_i32 s17, s3, 0x5b2
	s_waitcnt lgkmcnt(0)
	v_add_co_u32 v3, vcc_lo, s22, v3
	v_add_co_ci_u32_e32 v4, vcc_lo, s23, v4, vcc_lo
	v_sub_co_u32 v5, vcc_lo, v1, s16
	v_subrev_co_ci_u32_e32 v6, vcc_lo, 0, v6, vcc_lo
	v_lshlrev_b32_e32 v1, 1, v0
	s_add_i32 s13, s13, s17
	s_mul_i32 s17, s2, 0x5b2
	s_delay_alu instid0(VALU_DEP_2) | instskip(SKIP_3) | instid1(VALU_DEP_1)
	v_lshlrev_b64 v[7:8], 3, v[5:6]
	s_add_u32 s6, s6, s17
	s_addc_u32 s7, s7, s13
	v_add_co_u32 v5, s6, s6, v1
	v_add_co_ci_u32_e64 v6, null, s7, 0, s6
	s_delay_alu instid0(VALU_DEP_3)
	v_add_co_u32 v7, vcc_lo, s4, v7
	v_add_co_ci_u32_e32 v8, vcc_lo, s5, v8, vcc_lo
	s_set_inst_prefetch_distance 0x1
	s_branch .LBB378_10
	.p2align	6
.LBB378_9:                              ;   in Loop: Header=BB378_10 Depth=1
	s_or_b32 exec_lo, exec_lo, s4
	s_add_u32 s2, s2, 1
	s_addc_u32 s3, s3, 0
	v_add_co_u32 v7, vcc_lo, v7, 8
	v_cmp_lt_i64_e64 s4, s[2:3], s[0:1]
	v_add_co_ci_u32_e32 v8, vcc_lo, 0, v8, vcc_lo
	s_delay_alu instid0(VALU_DEP_2)
	s_and_b32 vcc_lo, exec_lo, s4
	s_cbranch_vccz .LBB378_12
.LBB378_10:                             ; =>This Inner Loop Header: Depth=1
	v_add_co_u32 v11, s4, v10, s2
	s_delay_alu instid0(VALU_DEP_1) | instskip(SKIP_1) | instid1(VALU_DEP_1)
	v_add_co_ci_u32_e64 v12, null, 0, s3, s4
	s_mov_b32 s4, exec_lo
	v_cmpx_gt_i64_e64 s[0:1], v[11:12]
	s_cbranch_execz .LBB378_9
; %bb.11:                               ;   in Loop: Header=BB378_10 Depth=1
	global_load_b64 v[11:12], v[7:8], off
	s_waitcnt vmcnt(0)
	v_sub_co_u32 v1, vcc_lo, v11, s16
	v_subrev_co_ci_u32_e32 v14, vcc_lo, 0, v12, vcc_lo
	s_delay_alu instid0(VALU_DEP_2) | instskip(NEXT) | instid1(VALU_DEP_1)
	v_mad_u64_u32 v[11:12], null, v1, 54, v[3:4]
	v_mov_b32_e32 v1, v12
	s_delay_alu instid0(VALU_DEP_1)
	v_mad_u64_u32 v[12:13], null, v14, 54, v[1:2]
	global_load_u16 v1, v[5:6], off
	global_load_u16 v11, v[11:12], off
	v_add_co_u32 v5, vcc_lo, 0x5b2, v5
	v_add_co_ci_u32_e32 v6, vcc_lo, 0, v6, vcc_lo
	s_waitcnt vmcnt(1)
	v_lshlrev_b32_e32 v1, 16, v1
	s_waitcnt vmcnt(0)
	v_lshlrev_b32_e32 v11, 16, v11
	s_delay_alu instid0(VALU_DEP_1)
	v_fmac_f32_e32 v2, v1, v11
	s_branch .LBB378_9
.LBB378_12:
	s_set_inst_prefetch_distance 0x2
	v_lshlrev_b32_e32 v1, 2, v0
	s_and_b32 vcc_lo, exec_lo, s9
	ds_store_b32 v1, v2
	s_waitcnt lgkmcnt(0)
	s_barrier
	buffer_gl0_inv
	s_cbranch_vccz .LBB378_24
; %bb.13:
	s_mov_b32 s0, exec_lo
	v_cmpx_gt_u16_e32 11, v9
	s_cbranch_execz .LBB378_15
; %bb.14:
	ds_load_2addr_b32 v[3:4], v1 offset1:16
	s_waitcnt lgkmcnt(0)
	v_add_f32_e32 v3, v4, v3
	ds_store_b32 v1, v3
.LBB378_15:
	s_or_b32 exec_lo, exec_lo, s0
	s_delay_alu instid0(SALU_CYCLE_1)
	s_mov_b32 s0, exec_lo
	s_waitcnt lgkmcnt(0)
	s_barrier
	buffer_gl0_inv
	v_cmpx_gt_u16_e32 8, v9
	s_cbranch_execz .LBB378_17
; %bb.16:
	ds_load_2addr_b32 v[3:4], v1 offset1:8
	s_waitcnt lgkmcnt(0)
	v_add_f32_e32 v3, v4, v3
	ds_store_b32 v1, v3
.LBB378_17:
	s_or_b32 exec_lo, exec_lo, s0
	s_delay_alu instid0(SALU_CYCLE_1)
	s_mov_b32 s0, exec_lo
	s_waitcnt lgkmcnt(0)
	s_barrier
	buffer_gl0_inv
	;; [unrolled: 14-line block ×3, first 2 shown]
	v_cmpx_gt_u16_e32 2, v9
	s_cbranch_execz .LBB378_21
; %bb.20:
	ds_load_2addr_b32 v[3:4], v1 offset1:2
	s_waitcnt lgkmcnt(0)
	v_add_f32_e32 v3, v4, v3
	ds_store_b32 v1, v3
.LBB378_21:
	s_or_b32 exec_lo, exec_lo, s0
	s_mov_b32 s1, 0
	s_mov_b32 s0, 0
	s_mov_b32 s2, exec_lo
	s_waitcnt lgkmcnt(0)
	s_barrier
	buffer_gl0_inv
                                        ; implicit-def: $vgpr3
                                        ; implicit-def: $vgpr4
	v_cmpx_gt_u32_e32 27, v0
	s_xor_b32 s2, exec_lo, s2
; %bb.22:
	v_mad_u32_u24 v3, v0, 27, 1
	v_mad_u32_u24 v4, 0x68, v0, v1
	s_mov_b32 s0, exec_lo
; %bb.23:
	s_or_b32 exec_lo, exec_lo, s2
	s_delay_alu instid0(SALU_CYCLE_1)
	s_and_b32 vcc_lo, exec_lo, s1
	s_cbranch_vccnz .LBB378_25
	s_branch .LBB378_36
.LBB378_24:
	s_mov_b32 s0, 0
                                        ; implicit-def: $vgpr3
                                        ; implicit-def: $vgpr4
	s_cbranch_execz .LBB378_36
.LBB378_25:
	s_mov_b32 s1, exec_lo
	v_cmpx_gt_u32_e32 0x129, v0
	s_cbranch_execz .LBB378_27
; %bb.26:
	ds_load_b32 v3, v1 offset:1728
	ds_load_b32 v4, v1
	s_waitcnt lgkmcnt(0)
	v_add_f32_e32 v3, v3, v4
	ds_store_b32 v1, v3
.LBB378_27:
	s_or_b32 exec_lo, exec_lo, s1
	s_delay_alu instid0(SALU_CYCLE_1)
	s_mov_b32 s1, exec_lo
	s_waitcnt lgkmcnt(0)
	s_barrier
	buffer_gl0_inv
	v_cmpx_gt_u32_e32 0xd8, v0
	s_cbranch_execz .LBB378_29
; %bb.28:
	ds_load_2addr_b32 v[3:4], v1 offset1:216
	s_waitcnt lgkmcnt(0)
	v_add_f32_e32 v3, v4, v3
	ds_store_b32 v1, v3
.LBB378_29:
	s_or_b32 exec_lo, exec_lo, s1
	s_delay_alu instid0(SALU_CYCLE_1)
	s_mov_b32 s1, exec_lo
	s_waitcnt lgkmcnt(0)
	s_barrier
	buffer_gl0_inv
	v_cmpx_gt_u32_e32 0x6c, v0
	s_cbranch_execz .LBB378_31
; %bb.30:
	ds_load_2addr_b32 v[3:4], v1 offset1:108
	s_waitcnt lgkmcnt(0)
	v_add_f32_e32 v3, v4, v3
	ds_store_b32 v1, v3
.LBB378_31:
	;; [unrolled: 14-line block ×3, first 2 shown]
	s_or_b32 exec_lo, exec_lo, s1
	s_delay_alu instid0(SALU_CYCLE_1)
	s_mov_b32 s1, exec_lo
	s_waitcnt lgkmcnt(0)
	buffer_gl0_inv
                                        ; implicit-def: $vgpr3
	v_cmpx_gt_u32_e32 27, v0
; %bb.34:
	v_add_nc_u32_e32 v3, 27, v0
	s_or_b32 s0, s0, exec_lo
                                        ; implicit-def: $vgpr2
; %bb.35:
	s_or_b32 exec_lo, exec_lo, s1
	v_mov_b32_e32 v4, v1
.LBB378_36:
	s_and_saveexec_b32 s1, s0
	s_cbranch_execz .LBB378_38
; %bb.37:
	v_lshlrev_b32_e32 v1, 2, v3
	ds_load_b32 v2, v4
	ds_load_b32 v1, v1
	s_waitcnt lgkmcnt(0)
	v_add_f32_e32 v2, v2, v1
.LBB378_38:
	s_or_b32 exec_lo, exec_lo, s1
	s_delay_alu instid0(SALU_CYCLE_1)
	s_mov_b32 s0, exec_lo
	v_cmpx_gt_u32_e32 27, v0
	s_cbranch_execz .LBB378_42
; %bb.39:
	v_cmp_eq_f32_e64 s1, s8, 0
	v_mul_f32_e32 v1, s12, v2
	s_mov_b32 s3, 0
	s_mul_i32 s0, s11, 0x6c
	s_mul_i32 s2, s10, 0x6c
	s_and_b32 vcc_lo, exec_lo, s1
	s_mul_hi_u32 s1, s10, 0x6c
	s_cbranch_vccz .LBB378_43
; %bb.40:
	v_lshlrev_b32_e32 v2, 2, v0
	s_add_i32 s5, s1, s0
	s_add_u32 s4, s14, s2
	s_addc_u32 s5, s15, s5
	global_store_b32 v2, v1, s[4:5]
	s_and_not1_b32 vcc_lo, exec_lo, s3
	s_cbranch_vccnz .LBB378_42
.LBB378_41:
	v_lshlrev_b32_e32 v0, 2, v0
	s_add_i32 s1, s1, s0
	s_add_u32 s0, s14, s2
	s_addc_u32 s1, s15, s1
	global_load_b32 v2, v0, s[0:1]
	s_waitcnt vmcnt(0)
	v_fmac_f32_e32 v1, s8, v2
	global_store_b32 v0, v1, s[0:1]
.LBB378_42:
	s_nop 0
	s_sendmsg sendmsg(MSG_DEALLOC_VGPRS)
	s_endpgm
.LBB378_43:
	s_branch .LBB378_41
	.section	.rodata,"a",@progbits
	.p2align	6, 0x0
	.amdhsa_kernel _ZN9rocsparseL20bsrxmvn_17_32_kernelILj27Efll18rocsparse_bfloat16S1_fEEvT2_20rocsparse_direction_NS_24const_host_device_scalarIT0_EES2_PKS2_PKT1_SB_S8_PKT3_PKT4_S6_PT5_21rocsparse_index_base_b
		.amdhsa_group_segment_fixed_size 2916
		.amdhsa_private_segment_fixed_size 0
		.amdhsa_kernarg_size 104
		.amdhsa_user_sgpr_count 15
		.amdhsa_user_sgpr_dispatch_ptr 0
		.amdhsa_user_sgpr_queue_ptr 0
		.amdhsa_user_sgpr_kernarg_segment_ptr 1
		.amdhsa_user_sgpr_dispatch_id 0
		.amdhsa_user_sgpr_private_segment_size 0
		.amdhsa_wavefront_size32 1
		.amdhsa_uses_dynamic_stack 0
		.amdhsa_enable_private_segment 0
		.amdhsa_system_sgpr_workgroup_id_x 1
		.amdhsa_system_sgpr_workgroup_id_y 0
		.amdhsa_system_sgpr_workgroup_id_z 0
		.amdhsa_system_sgpr_workgroup_info 0
		.amdhsa_system_vgpr_workitem_id 0
		.amdhsa_next_free_vgpr 15
		.amdhsa_next_free_sgpr 24
		.amdhsa_reserve_vcc 1
		.amdhsa_float_round_mode_32 0
		.amdhsa_float_round_mode_16_64 0
		.amdhsa_float_denorm_mode_32 3
		.amdhsa_float_denorm_mode_16_64 3
		.amdhsa_dx10_clamp 1
		.amdhsa_ieee_mode 1
		.amdhsa_fp16_overflow 0
		.amdhsa_workgroup_processor_mode 1
		.amdhsa_memory_ordered 1
		.amdhsa_forward_progress 0
		.amdhsa_shared_vgpr_count 0
		.amdhsa_exception_fp_ieee_invalid_op 0
		.amdhsa_exception_fp_denorm_src 0
		.amdhsa_exception_fp_ieee_div_zero 0
		.amdhsa_exception_fp_ieee_overflow 0
		.amdhsa_exception_fp_ieee_underflow 0
		.amdhsa_exception_fp_ieee_inexact 0
		.amdhsa_exception_int_div_zero 0
	.end_amdhsa_kernel
	.section	.text._ZN9rocsparseL20bsrxmvn_17_32_kernelILj27Efll18rocsparse_bfloat16S1_fEEvT2_20rocsparse_direction_NS_24const_host_device_scalarIT0_EES2_PKS2_PKT1_SB_S8_PKT3_PKT4_S6_PT5_21rocsparse_index_base_b,"axG",@progbits,_ZN9rocsparseL20bsrxmvn_17_32_kernelILj27Efll18rocsparse_bfloat16S1_fEEvT2_20rocsparse_direction_NS_24const_host_device_scalarIT0_EES2_PKS2_PKT1_SB_S8_PKT3_PKT4_S6_PT5_21rocsparse_index_base_b,comdat
.Lfunc_end378:
	.size	_ZN9rocsparseL20bsrxmvn_17_32_kernelILj27Efll18rocsparse_bfloat16S1_fEEvT2_20rocsparse_direction_NS_24const_host_device_scalarIT0_EES2_PKS2_PKT1_SB_S8_PKT3_PKT4_S6_PT5_21rocsparse_index_base_b, .Lfunc_end378-_ZN9rocsparseL20bsrxmvn_17_32_kernelILj27Efll18rocsparse_bfloat16S1_fEEvT2_20rocsparse_direction_NS_24const_host_device_scalarIT0_EES2_PKS2_PKT1_SB_S8_PKT3_PKT4_S6_PT5_21rocsparse_index_base_b
                                        ; -- End function
	.section	.AMDGPU.csdata,"",@progbits
; Kernel info:
; codeLenInByte = 1612
; NumSgprs: 26
; NumVgprs: 15
; ScratchSize: 0
; MemoryBound: 0
; FloatMode: 240
; IeeeMode: 1
; LDSByteSize: 2916 bytes/workgroup (compile time only)
; SGPRBlocks: 3
; VGPRBlocks: 1
; NumSGPRsForWavesPerEU: 26
; NumVGPRsForWavesPerEU: 15
; Occupancy: 12
; WaveLimiterHint : 1
; COMPUTE_PGM_RSRC2:SCRATCH_EN: 0
; COMPUTE_PGM_RSRC2:USER_SGPR: 15
; COMPUTE_PGM_RSRC2:TRAP_HANDLER: 0
; COMPUTE_PGM_RSRC2:TGID_X_EN: 1
; COMPUTE_PGM_RSRC2:TGID_Y_EN: 0
; COMPUTE_PGM_RSRC2:TGID_Z_EN: 0
; COMPUTE_PGM_RSRC2:TIDIG_COMP_CNT: 0
	.section	.text._ZN9rocsparseL20bsrxmvn_17_32_kernelILj28Efll18rocsparse_bfloat16S1_fEEvT2_20rocsparse_direction_NS_24const_host_device_scalarIT0_EES2_PKS2_PKT1_SB_S8_PKT3_PKT4_S6_PT5_21rocsparse_index_base_b,"axG",@progbits,_ZN9rocsparseL20bsrxmvn_17_32_kernelILj28Efll18rocsparse_bfloat16S1_fEEvT2_20rocsparse_direction_NS_24const_host_device_scalarIT0_EES2_PKS2_PKT1_SB_S8_PKT3_PKT4_S6_PT5_21rocsparse_index_base_b,comdat
	.globl	_ZN9rocsparseL20bsrxmvn_17_32_kernelILj28Efll18rocsparse_bfloat16S1_fEEvT2_20rocsparse_direction_NS_24const_host_device_scalarIT0_EES2_PKS2_PKT1_SB_S8_PKT3_PKT4_S6_PT5_21rocsparse_index_base_b ; -- Begin function _ZN9rocsparseL20bsrxmvn_17_32_kernelILj28Efll18rocsparse_bfloat16S1_fEEvT2_20rocsparse_direction_NS_24const_host_device_scalarIT0_EES2_PKS2_PKT1_SB_S8_PKT3_PKT4_S6_PT5_21rocsparse_index_base_b
	.p2align	8
	.type	_ZN9rocsparseL20bsrxmvn_17_32_kernelILj28Efll18rocsparse_bfloat16S1_fEEvT2_20rocsparse_direction_NS_24const_host_device_scalarIT0_EES2_PKS2_PKT1_SB_S8_PKT3_PKT4_S6_PT5_21rocsparse_index_base_b,@function
_ZN9rocsparseL20bsrxmvn_17_32_kernelILj28Efll18rocsparse_bfloat16S1_fEEvT2_20rocsparse_direction_NS_24const_host_device_scalarIT0_EES2_PKS2_PKT1_SB_S8_PKT3_PKT4_S6_PT5_21rocsparse_index_base_b: ; @_ZN9rocsparseL20bsrxmvn_17_32_kernelILj28Efll18rocsparse_bfloat16S1_fEEvT2_20rocsparse_direction_NS_24const_host_device_scalarIT0_EES2_PKS2_PKT1_SB_S8_PKT3_PKT4_S6_PT5_21rocsparse_index_base_b
; %bb.0:
	s_clause 0x2
	s_load_b64 s[16:17], s[0:1], 0x60
	s_load_b64 s[12:13], s[0:1], 0x10
	;; [unrolled: 1-line block ×3, first 2 shown]
	s_mov_b32 s10, s15
	s_waitcnt lgkmcnt(0)
	s_bitcmp1_b32 s17, 0
	s_cselect_b32 s2, -1, 0
	s_delay_alu instid0(SALU_CYCLE_1)
	s_and_b32 vcc_lo, exec_lo, s2
	s_xor_b32 s2, s2, -1
	s_cbranch_vccnz .LBB379_2
; %bb.1:
	s_load_b32 s12, s[12:13], 0x0
.LBB379_2:
	s_and_not1_b32 vcc_lo, exec_lo, s2
	s_cbranch_vccnz .LBB379_4
; %bb.3:
	s_load_b32 s8, s[8:9], 0x0
.LBB379_4:
	s_waitcnt lgkmcnt(0)
	v_cmp_neq_f32_e64 s2, s12, 0
	v_cmp_neq_f32_e64 s3, s8, 1.0
	s_mov_b32 s11, 0
	s_delay_alu instid0(VALU_DEP_1) | instskip(NEXT) | instid1(SALU_CYCLE_1)
	s_or_b32 s2, s2, s3
	s_and_not1_b32 vcc_lo, exec_lo, s2
	s_cbranch_vccnz .LBB379_42
; %bb.5:
	s_clause 0x1
	s_load_b128 s[4:7], s[0:1], 0x20
	s_load_b64 s[14:15], s[0:1], 0x30
	s_waitcnt lgkmcnt(0)
	s_cmp_eq_u64 s[4:5], 0
	s_cbranch_scc1 .LBB379_7
; %bb.6:
	s_lshl_b64 s[2:3], s[10:11], 3
	s_delay_alu instid0(SALU_CYCLE_1)
	s_add_u32 s2, s4, s2
	s_addc_u32 s3, s5, s3
	s_load_b64 s[2:3], s[2:3], 0x0
	s_waitcnt lgkmcnt(0)
	s_sub_u32 s10, s2, s16
	s_subb_u32 s11, s3, 0
.LBB379_7:
	s_load_b32 s3, s[0:1], 0x8
	v_mul_u32_u24_e32 v1, 0x925, v0
	s_delay_alu instid0(VALU_DEP_1) | instskip(NEXT) | instid1(VALU_DEP_1)
	v_lshrrev_b32_e32 v1, 16, v1
	v_mul_lo_u16 v2, v1, 28
	s_delay_alu instid0(VALU_DEP_1)
	v_sub_nc_u16 v9, v0, v2
	v_mov_b32_e32 v2, 0
	s_waitcnt lgkmcnt(0)
	s_cmp_eq_u32 s3, 1
	s_cselect_b32 s2, -1, 0
	s_cmp_lg_u32 s3, 1
	s_cselect_b32 s9, -1, 0
	s_lshl_b64 s[4:5], s[10:11], 3
	s_delay_alu instid0(SALU_CYCLE_1)
	s_add_u32 s6, s6, s4
	s_addc_u32 s7, s7, s5
	s_add_u32 s3, s6, 8
	s_addc_u32 s13, s7, 0
	;; [unrolled: 2-line block ×3, first 2 shown]
	s_cmp_eq_u64 s[14:15], 0
	s_load_b64 s[14:15], s[0:1], 0x58
	s_cselect_b32 s5, s13, s5
	s_cselect_b32 s4, s3, s4
	s_load_b64 s[18:19], s[6:7], 0x0
	s_load_b64 s[20:21], s[4:5], 0x0
	s_waitcnt lgkmcnt(0)
	v_cmp_ge_i64_e64 s3, s[18:19], s[20:21]
	s_delay_alu instid0(VALU_DEP_1)
	s_and_b32 vcc_lo, exec_lo, s3
	s_cbranch_vccnz .LBB379_12
; %bb.8:
	v_dual_mov_b32 v2, 0 :: v_dual_and_b32 v1, 0xffff, v1
	v_cmp_gt_u32_e32 vcc_lo, 0x310, v0
	s_clause 0x1
	s_load_b128 s[4:7], s[0:1], 0x38
	s_load_b64 s[22:23], s[0:1], 0x48
	v_and_b32_e32 v4, 0xffff, v9
	v_subrev_nc_u32_e32 v3, 28, v1
	s_sub_u32 s0, s20, s16
	s_subb_u32 s1, s21, 0
	s_delay_alu instid0(VALU_DEP_1) | instskip(SKIP_1) | instid1(VALU_DEP_2)
	v_cndmask_b32_e32 v1, v3, v1, vcc_lo
	v_cmp_lt_u32_e32 vcc_lo, 0x30f, v0
	v_cndmask_b32_e64 v1, v4, v1, s2
	v_cndmask_b32_e64 v10, 0, 1, vcc_lo
	s_sub_u32 s2, s18, s16
	s_subb_u32 s3, s19, 0
	s_mul_hi_u32 s13, s2, 0x620
	v_lshlrev_b64 v[3:4], 1, v[1:2]
	v_add_co_u32 v1, s18, s18, v10
	s_delay_alu instid0(VALU_DEP_1) | instskip(SKIP_2) | instid1(VALU_DEP_3)
	v_add_co_ci_u32_e64 v6, null, s19, 0, s18
	s_mul_i32 s17, s3, 0x620
	s_waitcnt lgkmcnt(0)
	v_add_co_u32 v3, vcc_lo, s22, v3
	v_add_co_ci_u32_e32 v4, vcc_lo, s23, v4, vcc_lo
	v_sub_co_u32 v5, vcc_lo, v1, s16
	v_subrev_co_ci_u32_e32 v6, vcc_lo, 0, v6, vcc_lo
	v_lshlrev_b32_e32 v1, 1, v0
	s_add_i32 s13, s13, s17
	s_mul_i32 s17, s2, 0x620
	s_delay_alu instid0(VALU_DEP_2) | instskip(SKIP_3) | instid1(VALU_DEP_1)
	v_lshlrev_b64 v[7:8], 3, v[5:6]
	s_add_u32 s6, s6, s17
	s_addc_u32 s7, s7, s13
	v_add_co_u32 v5, s6, s6, v1
	v_add_co_ci_u32_e64 v6, null, s7, 0, s6
	s_delay_alu instid0(VALU_DEP_3)
	v_add_co_u32 v7, vcc_lo, s4, v7
	v_add_co_ci_u32_e32 v8, vcc_lo, s5, v8, vcc_lo
	s_set_inst_prefetch_distance 0x1
	s_branch .LBB379_10
	.p2align	6
.LBB379_9:                              ;   in Loop: Header=BB379_10 Depth=1
	s_or_b32 exec_lo, exec_lo, s4
	s_add_u32 s2, s2, 1
	s_addc_u32 s3, s3, 0
	v_add_co_u32 v7, vcc_lo, v7, 8
	v_cmp_lt_i64_e64 s4, s[2:3], s[0:1]
	v_add_co_ci_u32_e32 v8, vcc_lo, 0, v8, vcc_lo
	s_delay_alu instid0(VALU_DEP_2)
	s_and_b32 vcc_lo, exec_lo, s4
	s_cbranch_vccz .LBB379_12
.LBB379_10:                             ; =>This Inner Loop Header: Depth=1
	v_add_co_u32 v11, s4, v10, s2
	s_delay_alu instid0(VALU_DEP_1) | instskip(SKIP_1) | instid1(VALU_DEP_1)
	v_add_co_ci_u32_e64 v12, null, 0, s3, s4
	s_mov_b32 s4, exec_lo
	v_cmpx_gt_i64_e64 s[0:1], v[11:12]
	s_cbranch_execz .LBB379_9
; %bb.11:                               ;   in Loop: Header=BB379_10 Depth=1
	global_load_b64 v[11:12], v[7:8], off
	s_waitcnt vmcnt(0)
	v_sub_co_u32 v1, vcc_lo, v11, s16
	v_subrev_co_ci_u32_e32 v14, vcc_lo, 0, v12, vcc_lo
	s_delay_alu instid0(VALU_DEP_2) | instskip(NEXT) | instid1(VALU_DEP_1)
	v_mad_u64_u32 v[11:12], null, v1, 56, v[3:4]
	v_mov_b32_e32 v1, v12
	s_delay_alu instid0(VALU_DEP_1)
	v_mad_u64_u32 v[12:13], null, v14, 56, v[1:2]
	global_load_u16 v1, v[5:6], off
	global_load_u16 v11, v[11:12], off
	v_add_co_u32 v5, vcc_lo, 0x620, v5
	v_add_co_ci_u32_e32 v6, vcc_lo, 0, v6, vcc_lo
	s_waitcnt vmcnt(1)
	v_lshlrev_b32_e32 v1, 16, v1
	s_waitcnt vmcnt(0)
	v_lshlrev_b32_e32 v11, 16, v11
	s_delay_alu instid0(VALU_DEP_1)
	v_fmac_f32_e32 v2, v1, v11
	s_branch .LBB379_9
.LBB379_12:
	s_set_inst_prefetch_distance 0x2
	v_lshlrev_b32_e32 v1, 2, v0
	s_and_b32 vcc_lo, exec_lo, s9
	ds_store_b32 v1, v2
	s_waitcnt lgkmcnt(0)
	s_barrier
	buffer_gl0_inv
	s_cbranch_vccz .LBB379_24
; %bb.13:
	s_mov_b32 s0, exec_lo
	v_cmpx_gt_u16_e32 12, v9
	s_cbranch_execz .LBB379_15
; %bb.14:
	ds_load_2addr_b32 v[3:4], v1 offset1:16
	s_waitcnt lgkmcnt(0)
	v_add_f32_e32 v3, v4, v3
	ds_store_b32 v1, v3
.LBB379_15:
	s_or_b32 exec_lo, exec_lo, s0
	s_delay_alu instid0(SALU_CYCLE_1)
	s_mov_b32 s0, exec_lo
	s_waitcnt lgkmcnt(0)
	s_barrier
	buffer_gl0_inv
	v_cmpx_gt_u16_e32 8, v9
	s_cbranch_execz .LBB379_17
; %bb.16:
	ds_load_2addr_b32 v[3:4], v1 offset1:8
	s_waitcnt lgkmcnt(0)
	v_add_f32_e32 v3, v4, v3
	ds_store_b32 v1, v3
.LBB379_17:
	s_or_b32 exec_lo, exec_lo, s0
	s_delay_alu instid0(SALU_CYCLE_1)
	s_mov_b32 s0, exec_lo
	s_waitcnt lgkmcnt(0)
	s_barrier
	buffer_gl0_inv
	;; [unrolled: 14-line block ×3, first 2 shown]
	v_cmpx_gt_u16_e32 2, v9
	s_cbranch_execz .LBB379_21
; %bb.20:
	ds_load_2addr_b32 v[3:4], v1 offset1:2
	s_waitcnt lgkmcnt(0)
	v_add_f32_e32 v3, v4, v3
	ds_store_b32 v1, v3
.LBB379_21:
	s_or_b32 exec_lo, exec_lo, s0
	s_mov_b32 s1, 0
	s_mov_b32 s0, 0
	s_mov_b32 s2, exec_lo
	s_waitcnt lgkmcnt(0)
	s_barrier
	buffer_gl0_inv
                                        ; implicit-def: $vgpr3
                                        ; implicit-def: $vgpr4
	v_cmpx_gt_u32_e32 28, v0
	s_xor_b32 s2, exec_lo, s2
; %bb.22:
	v_mul_u32_u24_e32 v3, 28, v0
	v_mad_u32_u24 v4, 0x6c, v0, v1
	s_mov_b32 s0, exec_lo
	s_delay_alu instid0(VALU_DEP_2)
	v_or_b32_e32 v3, 1, v3
; %bb.23:
	s_or_b32 exec_lo, exec_lo, s2
	s_delay_alu instid0(SALU_CYCLE_1)
	s_and_b32 vcc_lo, exec_lo, s1
	s_cbranch_vccnz .LBB379_25
	s_branch .LBB379_36
.LBB379_24:
	s_mov_b32 s0, 0
                                        ; implicit-def: $vgpr3
                                        ; implicit-def: $vgpr4
	s_cbranch_execz .LBB379_36
.LBB379_25:
	s_mov_b32 s1, exec_lo
	v_cmpx_gt_u32_e32 0x150, v0
	s_cbranch_execz .LBB379_27
; %bb.26:
	ds_load_2addr_stride64_b32 v[3:4], v1 offset1:7
	s_waitcnt lgkmcnt(0)
	v_add_f32_e32 v3, v4, v3
	ds_store_b32 v1, v3
.LBB379_27:
	s_or_b32 exec_lo, exec_lo, s1
	s_delay_alu instid0(SALU_CYCLE_1)
	s_mov_b32 s1, exec_lo
	s_waitcnt lgkmcnt(0)
	s_barrier
	buffer_gl0_inv
	v_cmpx_gt_u32_e32 0xe0, v0
	s_cbranch_execz .LBB379_29
; %bb.28:
	ds_load_2addr_b32 v[3:4], v1 offset1:224
	s_waitcnt lgkmcnt(0)
	v_add_f32_e32 v3, v4, v3
	ds_store_b32 v1, v3
.LBB379_29:
	s_or_b32 exec_lo, exec_lo, s1
	s_delay_alu instid0(SALU_CYCLE_1)
	s_mov_b32 s1, exec_lo
	s_waitcnt lgkmcnt(0)
	s_barrier
	buffer_gl0_inv
	v_cmpx_gt_u32_e32 0x70, v0
	s_cbranch_execz .LBB379_31
; %bb.30:
	ds_load_2addr_b32 v[3:4], v1 offset1:112
	s_waitcnt lgkmcnt(0)
	v_add_f32_e32 v3, v4, v3
	ds_store_b32 v1, v3
.LBB379_31:
	;; [unrolled: 14-line block ×3, first 2 shown]
	s_or_b32 exec_lo, exec_lo, s1
	s_delay_alu instid0(SALU_CYCLE_1)
	s_mov_b32 s1, exec_lo
	s_waitcnt lgkmcnt(0)
	buffer_gl0_inv
                                        ; implicit-def: $vgpr3
	v_cmpx_gt_u32_e32 28, v0
; %bb.34:
	v_add_nc_u32_e32 v3, 28, v0
	s_or_b32 s0, s0, exec_lo
                                        ; implicit-def: $vgpr2
; %bb.35:
	s_or_b32 exec_lo, exec_lo, s1
	v_mov_b32_e32 v4, v1
.LBB379_36:
	s_and_saveexec_b32 s1, s0
	s_cbranch_execz .LBB379_38
; %bb.37:
	v_lshlrev_b32_e32 v1, 2, v3
	ds_load_b32 v2, v4
	ds_load_b32 v1, v1
	s_waitcnt lgkmcnt(0)
	v_add_f32_e32 v2, v2, v1
.LBB379_38:
	s_or_b32 exec_lo, exec_lo, s1
	s_delay_alu instid0(SALU_CYCLE_1)
	s_mov_b32 s0, exec_lo
	v_cmpx_gt_u32_e32 28, v0
	s_cbranch_execz .LBB379_42
; %bb.39:
	v_cmp_eq_f32_e64 s1, s8, 0
	v_mul_f32_e32 v1, s12, v2
	s_mov_b32 s3, 0
	s_mul_i32 s0, s11, 0x70
	s_mul_i32 s2, s10, 0x70
	s_and_b32 vcc_lo, exec_lo, s1
	s_mul_hi_u32 s1, s10, 0x70
	s_cbranch_vccz .LBB379_43
; %bb.40:
	v_lshlrev_b32_e32 v2, 2, v0
	s_add_i32 s5, s1, s0
	s_add_u32 s4, s14, s2
	s_addc_u32 s5, s15, s5
	global_store_b32 v2, v1, s[4:5]
	s_and_not1_b32 vcc_lo, exec_lo, s3
	s_cbranch_vccnz .LBB379_42
.LBB379_41:
	v_lshlrev_b32_e32 v0, 2, v0
	s_add_i32 s1, s1, s0
	s_add_u32 s0, s14, s2
	s_addc_u32 s1, s15, s1
	global_load_b32 v2, v0, s[0:1]
	s_waitcnt vmcnt(0)
	v_fmac_f32_e32 v1, s8, v2
	global_store_b32 v0, v1, s[0:1]
.LBB379_42:
	s_nop 0
	s_sendmsg sendmsg(MSG_DEALLOC_VGPRS)
	s_endpgm
.LBB379_43:
	s_branch .LBB379_41
	.section	.rodata,"a",@progbits
	.p2align	6, 0x0
	.amdhsa_kernel _ZN9rocsparseL20bsrxmvn_17_32_kernelILj28Efll18rocsparse_bfloat16S1_fEEvT2_20rocsparse_direction_NS_24const_host_device_scalarIT0_EES2_PKS2_PKT1_SB_S8_PKT3_PKT4_S6_PT5_21rocsparse_index_base_b
		.amdhsa_group_segment_fixed_size 3136
		.amdhsa_private_segment_fixed_size 0
		.amdhsa_kernarg_size 104
		.amdhsa_user_sgpr_count 15
		.amdhsa_user_sgpr_dispatch_ptr 0
		.amdhsa_user_sgpr_queue_ptr 0
		.amdhsa_user_sgpr_kernarg_segment_ptr 1
		.amdhsa_user_sgpr_dispatch_id 0
		.amdhsa_user_sgpr_private_segment_size 0
		.amdhsa_wavefront_size32 1
		.amdhsa_uses_dynamic_stack 0
		.amdhsa_enable_private_segment 0
		.amdhsa_system_sgpr_workgroup_id_x 1
		.amdhsa_system_sgpr_workgroup_id_y 0
		.amdhsa_system_sgpr_workgroup_id_z 0
		.amdhsa_system_sgpr_workgroup_info 0
		.amdhsa_system_vgpr_workitem_id 0
		.amdhsa_next_free_vgpr 15
		.amdhsa_next_free_sgpr 24
		.amdhsa_reserve_vcc 1
		.amdhsa_float_round_mode_32 0
		.amdhsa_float_round_mode_16_64 0
		.amdhsa_float_denorm_mode_32 3
		.amdhsa_float_denorm_mode_16_64 3
		.amdhsa_dx10_clamp 1
		.amdhsa_ieee_mode 1
		.amdhsa_fp16_overflow 0
		.amdhsa_workgroup_processor_mode 1
		.amdhsa_memory_ordered 1
		.amdhsa_forward_progress 0
		.amdhsa_shared_vgpr_count 0
		.amdhsa_exception_fp_ieee_invalid_op 0
		.amdhsa_exception_fp_denorm_src 0
		.amdhsa_exception_fp_ieee_div_zero 0
		.amdhsa_exception_fp_ieee_overflow 0
		.amdhsa_exception_fp_ieee_underflow 0
		.amdhsa_exception_fp_ieee_inexact 0
		.amdhsa_exception_int_div_zero 0
	.end_amdhsa_kernel
	.section	.text._ZN9rocsparseL20bsrxmvn_17_32_kernelILj28Efll18rocsparse_bfloat16S1_fEEvT2_20rocsparse_direction_NS_24const_host_device_scalarIT0_EES2_PKS2_PKT1_SB_S8_PKT3_PKT4_S6_PT5_21rocsparse_index_base_b,"axG",@progbits,_ZN9rocsparseL20bsrxmvn_17_32_kernelILj28Efll18rocsparse_bfloat16S1_fEEvT2_20rocsparse_direction_NS_24const_host_device_scalarIT0_EES2_PKS2_PKT1_SB_S8_PKT3_PKT4_S6_PT5_21rocsparse_index_base_b,comdat
.Lfunc_end379:
	.size	_ZN9rocsparseL20bsrxmvn_17_32_kernelILj28Efll18rocsparse_bfloat16S1_fEEvT2_20rocsparse_direction_NS_24const_host_device_scalarIT0_EES2_PKS2_PKT1_SB_S8_PKT3_PKT4_S6_PT5_21rocsparse_index_base_b, .Lfunc_end379-_ZN9rocsparseL20bsrxmvn_17_32_kernelILj28Efll18rocsparse_bfloat16S1_fEEvT2_20rocsparse_direction_NS_24const_host_device_scalarIT0_EES2_PKS2_PKT1_SB_S8_PKT3_PKT4_S6_PT5_21rocsparse_index_base_b
                                        ; -- End function
	.section	.AMDGPU.csdata,"",@progbits
; Kernel info:
; codeLenInByte = 1608
; NumSgprs: 26
; NumVgprs: 15
; ScratchSize: 0
; MemoryBound: 0
; FloatMode: 240
; IeeeMode: 1
; LDSByteSize: 3136 bytes/workgroup (compile time only)
; SGPRBlocks: 3
; VGPRBlocks: 1
; NumSGPRsForWavesPerEU: 26
; NumVGPRsForWavesPerEU: 15
; Occupancy: 13
; WaveLimiterHint : 1
; COMPUTE_PGM_RSRC2:SCRATCH_EN: 0
; COMPUTE_PGM_RSRC2:USER_SGPR: 15
; COMPUTE_PGM_RSRC2:TRAP_HANDLER: 0
; COMPUTE_PGM_RSRC2:TGID_X_EN: 1
; COMPUTE_PGM_RSRC2:TGID_Y_EN: 0
; COMPUTE_PGM_RSRC2:TGID_Z_EN: 0
; COMPUTE_PGM_RSRC2:TIDIG_COMP_CNT: 0
	.section	.text._ZN9rocsparseL20bsrxmvn_17_32_kernelILj29Efll18rocsparse_bfloat16S1_fEEvT2_20rocsparse_direction_NS_24const_host_device_scalarIT0_EES2_PKS2_PKT1_SB_S8_PKT3_PKT4_S6_PT5_21rocsparse_index_base_b,"axG",@progbits,_ZN9rocsparseL20bsrxmvn_17_32_kernelILj29Efll18rocsparse_bfloat16S1_fEEvT2_20rocsparse_direction_NS_24const_host_device_scalarIT0_EES2_PKS2_PKT1_SB_S8_PKT3_PKT4_S6_PT5_21rocsparse_index_base_b,comdat
	.globl	_ZN9rocsparseL20bsrxmvn_17_32_kernelILj29Efll18rocsparse_bfloat16S1_fEEvT2_20rocsparse_direction_NS_24const_host_device_scalarIT0_EES2_PKS2_PKT1_SB_S8_PKT3_PKT4_S6_PT5_21rocsparse_index_base_b ; -- Begin function _ZN9rocsparseL20bsrxmvn_17_32_kernelILj29Efll18rocsparse_bfloat16S1_fEEvT2_20rocsparse_direction_NS_24const_host_device_scalarIT0_EES2_PKS2_PKT1_SB_S8_PKT3_PKT4_S6_PT5_21rocsparse_index_base_b
	.p2align	8
	.type	_ZN9rocsparseL20bsrxmvn_17_32_kernelILj29Efll18rocsparse_bfloat16S1_fEEvT2_20rocsparse_direction_NS_24const_host_device_scalarIT0_EES2_PKS2_PKT1_SB_S8_PKT3_PKT4_S6_PT5_21rocsparse_index_base_b,@function
_ZN9rocsparseL20bsrxmvn_17_32_kernelILj29Efll18rocsparse_bfloat16S1_fEEvT2_20rocsparse_direction_NS_24const_host_device_scalarIT0_EES2_PKS2_PKT1_SB_S8_PKT3_PKT4_S6_PT5_21rocsparse_index_base_b: ; @_ZN9rocsparseL20bsrxmvn_17_32_kernelILj29Efll18rocsparse_bfloat16S1_fEEvT2_20rocsparse_direction_NS_24const_host_device_scalarIT0_EES2_PKS2_PKT1_SB_S8_PKT3_PKT4_S6_PT5_21rocsparse_index_base_b
; %bb.0:
	s_clause 0x2
	s_load_b64 s[16:17], s[0:1], 0x60
	s_load_b64 s[12:13], s[0:1], 0x10
	;; [unrolled: 1-line block ×3, first 2 shown]
	s_mov_b32 s10, s15
	s_waitcnt lgkmcnt(0)
	s_bitcmp1_b32 s17, 0
	s_cselect_b32 s2, -1, 0
	s_delay_alu instid0(SALU_CYCLE_1)
	s_and_b32 vcc_lo, exec_lo, s2
	s_xor_b32 s2, s2, -1
	s_cbranch_vccnz .LBB380_2
; %bb.1:
	s_load_b32 s12, s[12:13], 0x0
.LBB380_2:
	s_and_not1_b32 vcc_lo, exec_lo, s2
	s_cbranch_vccnz .LBB380_4
; %bb.3:
	s_load_b32 s8, s[8:9], 0x0
.LBB380_4:
	s_waitcnt lgkmcnt(0)
	v_cmp_neq_f32_e64 s2, s12, 0
	v_cmp_neq_f32_e64 s3, s8, 1.0
	s_mov_b32 s11, 0
	s_delay_alu instid0(VALU_DEP_1) | instskip(NEXT) | instid1(SALU_CYCLE_1)
	s_or_b32 s2, s2, s3
	s_and_not1_b32 vcc_lo, exec_lo, s2
	s_cbranch_vccnz .LBB380_42
; %bb.5:
	s_clause 0x1
	s_load_b128 s[4:7], s[0:1], 0x20
	s_load_b64 s[14:15], s[0:1], 0x30
	s_waitcnt lgkmcnt(0)
	s_cmp_eq_u64 s[4:5], 0
	s_cbranch_scc1 .LBB380_7
; %bb.6:
	s_lshl_b64 s[2:3], s[10:11], 3
	s_delay_alu instid0(SALU_CYCLE_1)
	s_add_u32 s2, s4, s2
	s_addc_u32 s3, s5, s3
	s_load_b64 s[2:3], s[2:3], 0x0
	s_waitcnt lgkmcnt(0)
	s_sub_u32 s10, s2, s16
	s_subb_u32 s11, s3, 0
.LBB380_7:
	s_load_b32 s3, s[0:1], 0x8
	v_mul_u32_u24_e32 v1, 0x8d4, v0
	s_delay_alu instid0(VALU_DEP_1) | instskip(NEXT) | instid1(VALU_DEP_1)
	v_lshrrev_b32_e32 v1, 16, v1
	v_mul_lo_u16 v2, v1, 29
	s_delay_alu instid0(VALU_DEP_1)
	v_sub_nc_u16 v9, v0, v2
	v_mov_b32_e32 v2, 0
	s_waitcnt lgkmcnt(0)
	s_cmp_eq_u32 s3, 1
	s_cselect_b32 s2, -1, 0
	s_cmp_lg_u32 s3, 1
	s_cselect_b32 s9, -1, 0
	s_lshl_b64 s[4:5], s[10:11], 3
	s_delay_alu instid0(SALU_CYCLE_1)
	s_add_u32 s6, s6, s4
	s_addc_u32 s7, s7, s5
	s_add_u32 s3, s6, 8
	s_addc_u32 s13, s7, 0
	;; [unrolled: 2-line block ×3, first 2 shown]
	s_cmp_eq_u64 s[14:15], 0
	s_load_b64 s[14:15], s[0:1], 0x58
	s_cselect_b32 s5, s13, s5
	s_cselect_b32 s4, s3, s4
	s_load_b64 s[18:19], s[6:7], 0x0
	s_load_b64 s[20:21], s[4:5], 0x0
	s_waitcnt lgkmcnt(0)
	v_cmp_ge_i64_e64 s3, s[18:19], s[20:21]
	s_delay_alu instid0(VALU_DEP_1)
	s_and_b32 vcc_lo, exec_lo, s3
	s_cbranch_vccnz .LBB380_12
; %bb.8:
	v_dual_mov_b32 v2, 0 :: v_dual_and_b32 v1, 0xffff, v1
	v_cmp_gt_u32_e32 vcc_lo, 0x349, v0
	s_clause 0x1
	s_load_b128 s[4:7], s[0:1], 0x38
	s_load_b64 s[22:23], s[0:1], 0x48
	v_and_b32_e32 v4, 0xffff, v9
	v_subrev_nc_u32_e32 v3, 29, v1
	s_sub_u32 s0, s20, s16
	s_subb_u32 s1, s21, 0
	s_delay_alu instid0(VALU_DEP_1) | instskip(SKIP_1) | instid1(VALU_DEP_2)
	v_cndmask_b32_e32 v1, v3, v1, vcc_lo
	v_cmp_lt_u32_e32 vcc_lo, 0x348, v0
	v_cndmask_b32_e64 v1, v4, v1, s2
	v_cndmask_b32_e64 v10, 0, 1, vcc_lo
	s_sub_u32 s2, s18, s16
	s_subb_u32 s3, s19, 0
	s_mul_hi_u32 s13, s2, 0x692
	v_lshlrev_b64 v[3:4], 1, v[1:2]
	v_add_co_u32 v1, s18, s18, v10
	s_delay_alu instid0(VALU_DEP_1) | instskip(SKIP_2) | instid1(VALU_DEP_3)
	v_add_co_ci_u32_e64 v6, null, s19, 0, s18
	s_mul_i32 s17, s3, 0x692
	s_waitcnt lgkmcnt(0)
	v_add_co_u32 v3, vcc_lo, s22, v3
	v_add_co_ci_u32_e32 v4, vcc_lo, s23, v4, vcc_lo
	v_sub_co_u32 v5, vcc_lo, v1, s16
	v_subrev_co_ci_u32_e32 v6, vcc_lo, 0, v6, vcc_lo
	v_lshlrev_b32_e32 v1, 1, v0
	s_add_i32 s13, s13, s17
	s_mul_i32 s17, s2, 0x692
	s_delay_alu instid0(VALU_DEP_2) | instskip(SKIP_3) | instid1(VALU_DEP_1)
	v_lshlrev_b64 v[7:8], 3, v[5:6]
	s_add_u32 s6, s6, s17
	s_addc_u32 s7, s7, s13
	v_add_co_u32 v5, s6, s6, v1
	v_add_co_ci_u32_e64 v6, null, s7, 0, s6
	s_delay_alu instid0(VALU_DEP_3)
	v_add_co_u32 v7, vcc_lo, s4, v7
	v_add_co_ci_u32_e32 v8, vcc_lo, s5, v8, vcc_lo
	s_set_inst_prefetch_distance 0x1
	s_branch .LBB380_10
	.p2align	6
.LBB380_9:                              ;   in Loop: Header=BB380_10 Depth=1
	s_or_b32 exec_lo, exec_lo, s4
	s_add_u32 s2, s2, 1
	s_addc_u32 s3, s3, 0
	v_add_co_u32 v7, vcc_lo, v7, 8
	v_cmp_lt_i64_e64 s4, s[2:3], s[0:1]
	v_add_co_ci_u32_e32 v8, vcc_lo, 0, v8, vcc_lo
	s_delay_alu instid0(VALU_DEP_2)
	s_and_b32 vcc_lo, exec_lo, s4
	s_cbranch_vccz .LBB380_12
.LBB380_10:                             ; =>This Inner Loop Header: Depth=1
	v_add_co_u32 v11, s4, v10, s2
	s_delay_alu instid0(VALU_DEP_1) | instskip(SKIP_1) | instid1(VALU_DEP_1)
	v_add_co_ci_u32_e64 v12, null, 0, s3, s4
	s_mov_b32 s4, exec_lo
	v_cmpx_gt_i64_e64 s[0:1], v[11:12]
	s_cbranch_execz .LBB380_9
; %bb.11:                               ;   in Loop: Header=BB380_10 Depth=1
	global_load_b64 v[11:12], v[7:8], off
	s_waitcnt vmcnt(0)
	v_sub_co_u32 v1, vcc_lo, v11, s16
	v_subrev_co_ci_u32_e32 v14, vcc_lo, 0, v12, vcc_lo
	s_delay_alu instid0(VALU_DEP_2) | instskip(NEXT) | instid1(VALU_DEP_1)
	v_mad_u64_u32 v[11:12], null, v1, 58, v[3:4]
	v_mov_b32_e32 v1, v12
	s_delay_alu instid0(VALU_DEP_1)
	v_mad_u64_u32 v[12:13], null, v14, 58, v[1:2]
	global_load_u16 v1, v[5:6], off
	global_load_u16 v11, v[11:12], off
	v_add_co_u32 v5, vcc_lo, 0x692, v5
	v_add_co_ci_u32_e32 v6, vcc_lo, 0, v6, vcc_lo
	s_waitcnt vmcnt(1)
	v_lshlrev_b32_e32 v1, 16, v1
	s_waitcnt vmcnt(0)
	v_lshlrev_b32_e32 v11, 16, v11
	s_delay_alu instid0(VALU_DEP_1)
	v_fmac_f32_e32 v2, v1, v11
	s_branch .LBB380_9
.LBB380_12:
	s_set_inst_prefetch_distance 0x2
	v_lshlrev_b32_e32 v1, 2, v0
	s_and_b32 vcc_lo, exec_lo, s9
	ds_store_b32 v1, v2
	s_waitcnt lgkmcnt(0)
	s_barrier
	buffer_gl0_inv
	s_cbranch_vccz .LBB380_24
; %bb.13:
	s_mov_b32 s0, exec_lo
	v_cmpx_gt_u16_e32 13, v9
	s_cbranch_execz .LBB380_15
; %bb.14:
	ds_load_2addr_b32 v[3:4], v1 offset1:16
	s_waitcnt lgkmcnt(0)
	v_add_f32_e32 v3, v4, v3
	ds_store_b32 v1, v3
.LBB380_15:
	s_or_b32 exec_lo, exec_lo, s0
	s_delay_alu instid0(SALU_CYCLE_1)
	s_mov_b32 s0, exec_lo
	s_waitcnt lgkmcnt(0)
	s_barrier
	buffer_gl0_inv
	v_cmpx_gt_u16_e32 8, v9
	s_cbranch_execz .LBB380_17
; %bb.16:
	ds_load_2addr_b32 v[3:4], v1 offset1:8
	s_waitcnt lgkmcnt(0)
	v_add_f32_e32 v3, v4, v3
	ds_store_b32 v1, v3
.LBB380_17:
	s_or_b32 exec_lo, exec_lo, s0
	s_delay_alu instid0(SALU_CYCLE_1)
	s_mov_b32 s0, exec_lo
	s_waitcnt lgkmcnt(0)
	s_barrier
	buffer_gl0_inv
	;; [unrolled: 14-line block ×3, first 2 shown]
	v_cmpx_gt_u16_e32 2, v9
	s_cbranch_execz .LBB380_21
; %bb.20:
	ds_load_2addr_b32 v[3:4], v1 offset1:2
	s_waitcnt lgkmcnt(0)
	v_add_f32_e32 v3, v4, v3
	ds_store_b32 v1, v3
.LBB380_21:
	s_or_b32 exec_lo, exec_lo, s0
	s_mov_b32 s1, 0
	s_mov_b32 s0, 0
	s_mov_b32 s2, exec_lo
	s_waitcnt lgkmcnt(0)
	s_barrier
	buffer_gl0_inv
                                        ; implicit-def: $vgpr3
                                        ; implicit-def: $vgpr4
	v_cmpx_gt_u32_e32 29, v0
	s_xor_b32 s2, exec_lo, s2
; %bb.22:
	v_mad_u32_u24 v3, v0, 29, 1
	v_mad_u32_u24 v4, 0x70, v0, v1
	s_mov_b32 s0, exec_lo
; %bb.23:
	s_or_b32 exec_lo, exec_lo, s2
	s_delay_alu instid0(SALU_CYCLE_1)
	s_and_b32 vcc_lo, exec_lo, s1
	s_cbranch_vccnz .LBB380_25
	s_branch .LBB380_36
.LBB380_24:
	s_mov_b32 s0, 0
                                        ; implicit-def: $vgpr3
                                        ; implicit-def: $vgpr4
	s_cbranch_execz .LBB380_36
.LBB380_25:
	s_mov_b32 s1, exec_lo
	v_cmpx_gt_u32_e32 0x179, v0
	s_cbranch_execz .LBB380_27
; %bb.26:
	ds_load_b32 v3, v1 offset:1856
	ds_load_b32 v4, v1
	s_waitcnt lgkmcnt(0)
	v_add_f32_e32 v3, v3, v4
	ds_store_b32 v1, v3
.LBB380_27:
	s_or_b32 exec_lo, exec_lo, s1
	s_delay_alu instid0(SALU_CYCLE_1)
	s_mov_b32 s1, exec_lo
	s_waitcnt lgkmcnt(0)
	s_barrier
	buffer_gl0_inv
	v_cmpx_gt_u32_e32 0xe8, v0
	s_cbranch_execz .LBB380_29
; %bb.28:
	ds_load_2addr_b32 v[3:4], v1 offset1:232
	s_waitcnt lgkmcnt(0)
	v_add_f32_e32 v3, v4, v3
	ds_store_b32 v1, v3
.LBB380_29:
	s_or_b32 exec_lo, exec_lo, s1
	s_delay_alu instid0(SALU_CYCLE_1)
	s_mov_b32 s1, exec_lo
	s_waitcnt lgkmcnt(0)
	s_barrier
	buffer_gl0_inv
	v_cmpx_gt_u32_e32 0x74, v0
	s_cbranch_execz .LBB380_31
; %bb.30:
	ds_load_2addr_b32 v[3:4], v1 offset1:116
	s_waitcnt lgkmcnt(0)
	v_add_f32_e32 v3, v4, v3
	ds_store_b32 v1, v3
.LBB380_31:
	;; [unrolled: 14-line block ×3, first 2 shown]
	s_or_b32 exec_lo, exec_lo, s1
	s_delay_alu instid0(SALU_CYCLE_1)
	s_mov_b32 s1, exec_lo
	s_waitcnt lgkmcnt(0)
	buffer_gl0_inv
                                        ; implicit-def: $vgpr3
	v_cmpx_gt_u32_e32 29, v0
; %bb.34:
	v_add_nc_u32_e32 v3, 29, v0
	s_or_b32 s0, s0, exec_lo
                                        ; implicit-def: $vgpr2
; %bb.35:
	s_or_b32 exec_lo, exec_lo, s1
	v_mov_b32_e32 v4, v1
.LBB380_36:
	s_and_saveexec_b32 s1, s0
	s_cbranch_execz .LBB380_38
; %bb.37:
	v_lshlrev_b32_e32 v1, 2, v3
	ds_load_b32 v2, v4
	ds_load_b32 v1, v1
	s_waitcnt lgkmcnt(0)
	v_add_f32_e32 v2, v2, v1
.LBB380_38:
	s_or_b32 exec_lo, exec_lo, s1
	s_delay_alu instid0(SALU_CYCLE_1)
	s_mov_b32 s0, exec_lo
	v_cmpx_gt_u32_e32 29, v0
	s_cbranch_execz .LBB380_42
; %bb.39:
	v_cmp_eq_f32_e64 s1, s8, 0
	v_mul_f32_e32 v1, s12, v2
	s_mov_b32 s3, 0
	s_mul_i32 s0, s11, 0x74
	s_mul_i32 s2, s10, 0x74
	s_and_b32 vcc_lo, exec_lo, s1
	s_mul_hi_u32 s1, s10, 0x74
	s_cbranch_vccz .LBB380_43
; %bb.40:
	v_lshlrev_b32_e32 v2, 2, v0
	s_add_i32 s5, s1, s0
	s_add_u32 s4, s14, s2
	s_addc_u32 s5, s15, s5
	global_store_b32 v2, v1, s[4:5]
	s_and_not1_b32 vcc_lo, exec_lo, s3
	s_cbranch_vccnz .LBB380_42
.LBB380_41:
	v_lshlrev_b32_e32 v0, 2, v0
	s_add_i32 s1, s1, s0
	s_add_u32 s0, s14, s2
	s_addc_u32 s1, s15, s1
	global_load_b32 v2, v0, s[0:1]
	s_waitcnt vmcnt(0)
	v_fmac_f32_e32 v1, s8, v2
	global_store_b32 v0, v1, s[0:1]
.LBB380_42:
	s_nop 0
	s_sendmsg sendmsg(MSG_DEALLOC_VGPRS)
	s_endpgm
.LBB380_43:
	s_branch .LBB380_41
	.section	.rodata,"a",@progbits
	.p2align	6, 0x0
	.amdhsa_kernel _ZN9rocsparseL20bsrxmvn_17_32_kernelILj29Efll18rocsparse_bfloat16S1_fEEvT2_20rocsparse_direction_NS_24const_host_device_scalarIT0_EES2_PKS2_PKT1_SB_S8_PKT3_PKT4_S6_PT5_21rocsparse_index_base_b
		.amdhsa_group_segment_fixed_size 3364
		.amdhsa_private_segment_fixed_size 0
		.amdhsa_kernarg_size 104
		.amdhsa_user_sgpr_count 15
		.amdhsa_user_sgpr_dispatch_ptr 0
		.amdhsa_user_sgpr_queue_ptr 0
		.amdhsa_user_sgpr_kernarg_segment_ptr 1
		.amdhsa_user_sgpr_dispatch_id 0
		.amdhsa_user_sgpr_private_segment_size 0
		.amdhsa_wavefront_size32 1
		.amdhsa_uses_dynamic_stack 0
		.amdhsa_enable_private_segment 0
		.amdhsa_system_sgpr_workgroup_id_x 1
		.amdhsa_system_sgpr_workgroup_id_y 0
		.amdhsa_system_sgpr_workgroup_id_z 0
		.amdhsa_system_sgpr_workgroup_info 0
		.amdhsa_system_vgpr_workitem_id 0
		.amdhsa_next_free_vgpr 15
		.amdhsa_next_free_sgpr 24
		.amdhsa_reserve_vcc 1
		.amdhsa_float_round_mode_32 0
		.amdhsa_float_round_mode_16_64 0
		.amdhsa_float_denorm_mode_32 3
		.amdhsa_float_denorm_mode_16_64 3
		.amdhsa_dx10_clamp 1
		.amdhsa_ieee_mode 1
		.amdhsa_fp16_overflow 0
		.amdhsa_workgroup_processor_mode 1
		.amdhsa_memory_ordered 1
		.amdhsa_forward_progress 0
		.amdhsa_shared_vgpr_count 0
		.amdhsa_exception_fp_ieee_invalid_op 0
		.amdhsa_exception_fp_denorm_src 0
		.amdhsa_exception_fp_ieee_div_zero 0
		.amdhsa_exception_fp_ieee_overflow 0
		.amdhsa_exception_fp_ieee_underflow 0
		.amdhsa_exception_fp_ieee_inexact 0
		.amdhsa_exception_int_div_zero 0
	.end_amdhsa_kernel
	.section	.text._ZN9rocsparseL20bsrxmvn_17_32_kernelILj29Efll18rocsparse_bfloat16S1_fEEvT2_20rocsparse_direction_NS_24const_host_device_scalarIT0_EES2_PKS2_PKT1_SB_S8_PKT3_PKT4_S6_PT5_21rocsparse_index_base_b,"axG",@progbits,_ZN9rocsparseL20bsrxmvn_17_32_kernelILj29Efll18rocsparse_bfloat16S1_fEEvT2_20rocsparse_direction_NS_24const_host_device_scalarIT0_EES2_PKS2_PKT1_SB_S8_PKT3_PKT4_S6_PT5_21rocsparse_index_base_b,comdat
.Lfunc_end380:
	.size	_ZN9rocsparseL20bsrxmvn_17_32_kernelILj29Efll18rocsparse_bfloat16S1_fEEvT2_20rocsparse_direction_NS_24const_host_device_scalarIT0_EES2_PKS2_PKT1_SB_S8_PKT3_PKT4_S6_PT5_21rocsparse_index_base_b, .Lfunc_end380-_ZN9rocsparseL20bsrxmvn_17_32_kernelILj29Efll18rocsparse_bfloat16S1_fEEvT2_20rocsparse_direction_NS_24const_host_device_scalarIT0_EES2_PKS2_PKT1_SB_S8_PKT3_PKT4_S6_PT5_21rocsparse_index_base_b
                                        ; -- End function
	.section	.AMDGPU.csdata,"",@progbits
; Kernel info:
; codeLenInByte = 1612
; NumSgprs: 26
; NumVgprs: 15
; ScratchSize: 0
; MemoryBound: 0
; FloatMode: 240
; IeeeMode: 1
; LDSByteSize: 3364 bytes/workgroup (compile time only)
; SGPRBlocks: 3
; VGPRBlocks: 1
; NumSGPRsForWavesPerEU: 26
; NumVGPRsForWavesPerEU: 15
; Occupancy: 14
; WaveLimiterHint : 1
; COMPUTE_PGM_RSRC2:SCRATCH_EN: 0
; COMPUTE_PGM_RSRC2:USER_SGPR: 15
; COMPUTE_PGM_RSRC2:TRAP_HANDLER: 0
; COMPUTE_PGM_RSRC2:TGID_X_EN: 1
; COMPUTE_PGM_RSRC2:TGID_Y_EN: 0
; COMPUTE_PGM_RSRC2:TGID_Z_EN: 0
; COMPUTE_PGM_RSRC2:TIDIG_COMP_CNT: 0
	.section	.text._ZN9rocsparseL20bsrxmvn_17_32_kernelILj30Efll18rocsparse_bfloat16S1_fEEvT2_20rocsparse_direction_NS_24const_host_device_scalarIT0_EES2_PKS2_PKT1_SB_S8_PKT3_PKT4_S6_PT5_21rocsparse_index_base_b,"axG",@progbits,_ZN9rocsparseL20bsrxmvn_17_32_kernelILj30Efll18rocsparse_bfloat16S1_fEEvT2_20rocsparse_direction_NS_24const_host_device_scalarIT0_EES2_PKS2_PKT1_SB_S8_PKT3_PKT4_S6_PT5_21rocsparse_index_base_b,comdat
	.globl	_ZN9rocsparseL20bsrxmvn_17_32_kernelILj30Efll18rocsparse_bfloat16S1_fEEvT2_20rocsparse_direction_NS_24const_host_device_scalarIT0_EES2_PKS2_PKT1_SB_S8_PKT3_PKT4_S6_PT5_21rocsparse_index_base_b ; -- Begin function _ZN9rocsparseL20bsrxmvn_17_32_kernelILj30Efll18rocsparse_bfloat16S1_fEEvT2_20rocsparse_direction_NS_24const_host_device_scalarIT0_EES2_PKS2_PKT1_SB_S8_PKT3_PKT4_S6_PT5_21rocsparse_index_base_b
	.p2align	8
	.type	_ZN9rocsparseL20bsrxmvn_17_32_kernelILj30Efll18rocsparse_bfloat16S1_fEEvT2_20rocsparse_direction_NS_24const_host_device_scalarIT0_EES2_PKS2_PKT1_SB_S8_PKT3_PKT4_S6_PT5_21rocsparse_index_base_b,@function
_ZN9rocsparseL20bsrxmvn_17_32_kernelILj30Efll18rocsparse_bfloat16S1_fEEvT2_20rocsparse_direction_NS_24const_host_device_scalarIT0_EES2_PKS2_PKT1_SB_S8_PKT3_PKT4_S6_PT5_21rocsparse_index_base_b: ; @_ZN9rocsparseL20bsrxmvn_17_32_kernelILj30Efll18rocsparse_bfloat16S1_fEEvT2_20rocsparse_direction_NS_24const_host_device_scalarIT0_EES2_PKS2_PKT1_SB_S8_PKT3_PKT4_S6_PT5_21rocsparse_index_base_b
; %bb.0:
	s_clause 0x2
	s_load_b64 s[16:17], s[0:1], 0x60
	s_load_b64 s[12:13], s[0:1], 0x10
	;; [unrolled: 1-line block ×3, first 2 shown]
	s_mov_b32 s10, s15
	s_waitcnt lgkmcnt(0)
	s_bitcmp1_b32 s17, 0
	s_cselect_b32 s2, -1, 0
	s_delay_alu instid0(SALU_CYCLE_1)
	s_and_b32 vcc_lo, exec_lo, s2
	s_xor_b32 s2, s2, -1
	s_cbranch_vccnz .LBB381_2
; %bb.1:
	s_load_b32 s12, s[12:13], 0x0
.LBB381_2:
	s_and_not1_b32 vcc_lo, exec_lo, s2
	s_cbranch_vccnz .LBB381_4
; %bb.3:
	s_load_b32 s8, s[8:9], 0x0
.LBB381_4:
	s_waitcnt lgkmcnt(0)
	v_cmp_neq_f32_e64 s2, s12, 0
	v_cmp_neq_f32_e64 s3, s8, 1.0
	s_mov_b32 s11, 0
	s_delay_alu instid0(VALU_DEP_1) | instskip(NEXT) | instid1(SALU_CYCLE_1)
	s_or_b32 s2, s2, s3
	s_and_not1_b32 vcc_lo, exec_lo, s2
	s_cbranch_vccnz .LBB381_42
; %bb.5:
	s_clause 0x1
	s_load_b128 s[4:7], s[0:1], 0x20
	s_load_b64 s[14:15], s[0:1], 0x30
	s_waitcnt lgkmcnt(0)
	s_cmp_eq_u64 s[4:5], 0
	s_cbranch_scc1 .LBB381_7
; %bb.6:
	s_lshl_b64 s[2:3], s[10:11], 3
	s_delay_alu instid0(SALU_CYCLE_1)
	s_add_u32 s2, s4, s2
	s_addc_u32 s3, s5, s3
	s_load_b64 s[2:3], s[2:3], 0x0
	s_waitcnt lgkmcnt(0)
	s_sub_u32 s10, s2, s16
	s_subb_u32 s11, s3, 0
.LBB381_7:
	s_load_b32 s3, s[0:1], 0x8
	v_mul_u32_u24_e32 v1, 0x889, v0
	s_delay_alu instid0(VALU_DEP_1) | instskip(NEXT) | instid1(VALU_DEP_1)
	v_lshrrev_b32_e32 v1, 16, v1
	v_mul_lo_u16 v2, v1, 30
	s_delay_alu instid0(VALU_DEP_1)
	v_sub_nc_u16 v9, v0, v2
	v_mov_b32_e32 v2, 0
	s_waitcnt lgkmcnt(0)
	s_cmp_eq_u32 s3, 1
	s_cselect_b32 s2, -1, 0
	s_cmp_lg_u32 s3, 1
	s_cselect_b32 s9, -1, 0
	s_lshl_b64 s[4:5], s[10:11], 3
	s_delay_alu instid0(SALU_CYCLE_1)
	s_add_u32 s6, s6, s4
	s_addc_u32 s7, s7, s5
	s_add_u32 s3, s6, 8
	s_addc_u32 s13, s7, 0
	;; [unrolled: 2-line block ×3, first 2 shown]
	s_cmp_eq_u64 s[14:15], 0
	s_load_b64 s[14:15], s[0:1], 0x58
	s_cselect_b32 s5, s13, s5
	s_cselect_b32 s4, s3, s4
	s_load_b64 s[18:19], s[6:7], 0x0
	s_load_b64 s[20:21], s[4:5], 0x0
	s_waitcnt lgkmcnt(0)
	v_cmp_ge_i64_e64 s3, s[18:19], s[20:21]
	s_delay_alu instid0(VALU_DEP_1)
	s_and_b32 vcc_lo, exec_lo, s3
	s_cbranch_vccnz .LBB381_12
; %bb.8:
	v_dual_mov_b32 v2, 0 :: v_dual_and_b32 v1, 0xffff, v1
	v_cmp_gt_u32_e32 vcc_lo, 0x384, v0
	s_clause 0x1
	s_load_b128 s[4:7], s[0:1], 0x38
	s_load_b64 s[22:23], s[0:1], 0x48
	v_and_b32_e32 v4, 0xffff, v9
	v_subrev_nc_u32_e32 v3, 30, v1
	s_sub_u32 s0, s20, s16
	s_subb_u32 s1, s21, 0
	s_delay_alu instid0(VALU_DEP_1) | instskip(SKIP_1) | instid1(VALU_DEP_2)
	v_cndmask_b32_e32 v1, v3, v1, vcc_lo
	v_cmp_lt_u32_e32 vcc_lo, 0x383, v0
	v_cndmask_b32_e64 v1, v4, v1, s2
	v_cndmask_b32_e64 v10, 0, 1, vcc_lo
	s_sub_u32 s2, s18, s16
	s_subb_u32 s3, s19, 0
	s_mul_hi_u32 s13, s2, 0x708
	v_lshlrev_b64 v[3:4], 1, v[1:2]
	v_add_co_u32 v1, s18, s18, v10
	s_delay_alu instid0(VALU_DEP_1) | instskip(SKIP_2) | instid1(VALU_DEP_3)
	v_add_co_ci_u32_e64 v6, null, s19, 0, s18
	s_mul_i32 s17, s3, 0x708
	s_waitcnt lgkmcnt(0)
	v_add_co_u32 v3, vcc_lo, s22, v3
	v_add_co_ci_u32_e32 v4, vcc_lo, s23, v4, vcc_lo
	v_sub_co_u32 v5, vcc_lo, v1, s16
	v_subrev_co_ci_u32_e32 v6, vcc_lo, 0, v6, vcc_lo
	v_lshlrev_b32_e32 v1, 1, v0
	s_add_i32 s13, s13, s17
	s_mul_i32 s17, s2, 0x708
	s_delay_alu instid0(VALU_DEP_2) | instskip(SKIP_3) | instid1(VALU_DEP_1)
	v_lshlrev_b64 v[7:8], 3, v[5:6]
	s_add_u32 s6, s6, s17
	s_addc_u32 s7, s7, s13
	v_add_co_u32 v5, s6, s6, v1
	v_add_co_ci_u32_e64 v6, null, s7, 0, s6
	s_delay_alu instid0(VALU_DEP_3)
	v_add_co_u32 v7, vcc_lo, s4, v7
	v_add_co_ci_u32_e32 v8, vcc_lo, s5, v8, vcc_lo
	s_set_inst_prefetch_distance 0x1
	s_branch .LBB381_10
	.p2align	6
.LBB381_9:                              ;   in Loop: Header=BB381_10 Depth=1
	s_or_b32 exec_lo, exec_lo, s4
	s_add_u32 s2, s2, 1
	s_addc_u32 s3, s3, 0
	v_add_co_u32 v7, vcc_lo, v7, 8
	v_cmp_lt_i64_e64 s4, s[2:3], s[0:1]
	v_add_co_ci_u32_e32 v8, vcc_lo, 0, v8, vcc_lo
	s_delay_alu instid0(VALU_DEP_2)
	s_and_b32 vcc_lo, exec_lo, s4
	s_cbranch_vccz .LBB381_12
.LBB381_10:                             ; =>This Inner Loop Header: Depth=1
	v_add_co_u32 v11, s4, v10, s2
	s_delay_alu instid0(VALU_DEP_1) | instskip(SKIP_1) | instid1(VALU_DEP_1)
	v_add_co_ci_u32_e64 v12, null, 0, s3, s4
	s_mov_b32 s4, exec_lo
	v_cmpx_gt_i64_e64 s[0:1], v[11:12]
	s_cbranch_execz .LBB381_9
; %bb.11:                               ;   in Loop: Header=BB381_10 Depth=1
	global_load_b64 v[11:12], v[7:8], off
	s_waitcnt vmcnt(0)
	v_sub_co_u32 v1, vcc_lo, v11, s16
	v_subrev_co_ci_u32_e32 v14, vcc_lo, 0, v12, vcc_lo
	s_delay_alu instid0(VALU_DEP_2) | instskip(NEXT) | instid1(VALU_DEP_1)
	v_mad_u64_u32 v[11:12], null, v1, 60, v[3:4]
	v_mov_b32_e32 v1, v12
	s_delay_alu instid0(VALU_DEP_1)
	v_mad_u64_u32 v[12:13], null, v14, 60, v[1:2]
	global_load_u16 v1, v[5:6], off
	global_load_u16 v11, v[11:12], off
	v_add_co_u32 v5, vcc_lo, 0x708, v5
	v_add_co_ci_u32_e32 v6, vcc_lo, 0, v6, vcc_lo
	s_waitcnt vmcnt(1)
	v_lshlrev_b32_e32 v1, 16, v1
	s_waitcnt vmcnt(0)
	v_lshlrev_b32_e32 v11, 16, v11
	s_delay_alu instid0(VALU_DEP_1)
	v_fmac_f32_e32 v2, v1, v11
	s_branch .LBB381_9
.LBB381_12:
	s_set_inst_prefetch_distance 0x2
	v_lshlrev_b32_e32 v1, 2, v0
	s_and_b32 vcc_lo, exec_lo, s9
	ds_store_b32 v1, v2
	s_waitcnt lgkmcnt(0)
	s_barrier
	buffer_gl0_inv
	s_cbranch_vccz .LBB381_24
; %bb.13:
	s_mov_b32 s0, exec_lo
	v_cmpx_gt_u16_e32 14, v9
	s_cbranch_execz .LBB381_15
; %bb.14:
	ds_load_2addr_b32 v[3:4], v1 offset1:16
	s_waitcnt lgkmcnt(0)
	v_add_f32_e32 v3, v4, v3
	ds_store_b32 v1, v3
.LBB381_15:
	s_or_b32 exec_lo, exec_lo, s0
	s_delay_alu instid0(SALU_CYCLE_1)
	s_mov_b32 s0, exec_lo
	s_waitcnt lgkmcnt(0)
	s_barrier
	buffer_gl0_inv
	v_cmpx_gt_u16_e32 8, v9
	s_cbranch_execz .LBB381_17
; %bb.16:
	ds_load_2addr_b32 v[3:4], v1 offset1:8
	s_waitcnt lgkmcnt(0)
	v_add_f32_e32 v3, v4, v3
	ds_store_b32 v1, v3
.LBB381_17:
	s_or_b32 exec_lo, exec_lo, s0
	s_delay_alu instid0(SALU_CYCLE_1)
	s_mov_b32 s0, exec_lo
	s_waitcnt lgkmcnt(0)
	s_barrier
	buffer_gl0_inv
	;; [unrolled: 14-line block ×3, first 2 shown]
	v_cmpx_gt_u16_e32 2, v9
	s_cbranch_execz .LBB381_21
; %bb.20:
	ds_load_2addr_b32 v[3:4], v1 offset1:2
	s_waitcnt lgkmcnt(0)
	v_add_f32_e32 v3, v4, v3
	ds_store_b32 v1, v3
.LBB381_21:
	s_or_b32 exec_lo, exec_lo, s0
	s_mov_b32 s1, 0
	s_mov_b32 s0, 0
	s_mov_b32 s2, exec_lo
	s_waitcnt lgkmcnt(0)
	s_barrier
	buffer_gl0_inv
                                        ; implicit-def: $vgpr3
                                        ; implicit-def: $vgpr4
	v_cmpx_gt_u32_e32 30, v0
	s_xor_b32 s2, exec_lo, s2
; %bb.22:
	v_mul_u32_u24_e32 v3, 30, v0
	v_mad_u32_u24 v4, 0x74, v0, v1
	s_mov_b32 s0, exec_lo
	s_delay_alu instid0(VALU_DEP_2)
	v_or_b32_e32 v3, 1, v3
; %bb.23:
	s_or_b32 exec_lo, exec_lo, s2
	s_delay_alu instid0(SALU_CYCLE_1)
	s_and_b32 vcc_lo, exec_lo, s1
	s_cbranch_vccnz .LBB381_25
	s_branch .LBB381_36
.LBB381_24:
	s_mov_b32 s0, 0
                                        ; implicit-def: $vgpr3
                                        ; implicit-def: $vgpr4
	s_cbranch_execz .LBB381_36
.LBB381_25:
	s_mov_b32 s1, exec_lo
	v_cmpx_gt_u32_e32 0x1a4, v0
	s_cbranch_execz .LBB381_27
; %bb.26:
	ds_load_b32 v3, v1 offset:1920
	ds_load_b32 v4, v1
	s_waitcnt lgkmcnt(0)
	v_add_f32_e32 v3, v3, v4
	ds_store_b32 v1, v3
.LBB381_27:
	s_or_b32 exec_lo, exec_lo, s1
	s_delay_alu instid0(SALU_CYCLE_1)
	s_mov_b32 s1, exec_lo
	s_waitcnt lgkmcnt(0)
	s_barrier
	buffer_gl0_inv
	v_cmpx_gt_u32_e32 0xf0, v0
	s_cbranch_execz .LBB381_29
; %bb.28:
	ds_load_2addr_b32 v[3:4], v1 offset1:240
	s_waitcnt lgkmcnt(0)
	v_add_f32_e32 v3, v4, v3
	ds_store_b32 v1, v3
.LBB381_29:
	s_or_b32 exec_lo, exec_lo, s1
	s_delay_alu instid0(SALU_CYCLE_1)
	s_mov_b32 s1, exec_lo
	s_waitcnt lgkmcnt(0)
	s_barrier
	buffer_gl0_inv
	v_cmpx_gt_u32_e32 0x78, v0
	s_cbranch_execz .LBB381_31
; %bb.30:
	ds_load_2addr_b32 v[3:4], v1 offset1:120
	s_waitcnt lgkmcnt(0)
	v_add_f32_e32 v3, v4, v3
	ds_store_b32 v1, v3
.LBB381_31:
	;; [unrolled: 14-line block ×3, first 2 shown]
	s_or_b32 exec_lo, exec_lo, s1
	s_delay_alu instid0(SALU_CYCLE_1)
	s_mov_b32 s1, exec_lo
	s_waitcnt lgkmcnt(0)
	buffer_gl0_inv
                                        ; implicit-def: $vgpr3
	v_cmpx_gt_u32_e32 30, v0
; %bb.34:
	v_add_nc_u32_e32 v3, 30, v0
	s_or_b32 s0, s0, exec_lo
                                        ; implicit-def: $vgpr2
; %bb.35:
	s_or_b32 exec_lo, exec_lo, s1
	v_mov_b32_e32 v4, v1
.LBB381_36:
	s_and_saveexec_b32 s1, s0
	s_cbranch_execz .LBB381_38
; %bb.37:
	v_lshlrev_b32_e32 v1, 2, v3
	ds_load_b32 v2, v4
	ds_load_b32 v1, v1
	s_waitcnt lgkmcnt(0)
	v_add_f32_e32 v2, v2, v1
.LBB381_38:
	s_or_b32 exec_lo, exec_lo, s1
	s_delay_alu instid0(SALU_CYCLE_1)
	s_mov_b32 s0, exec_lo
	v_cmpx_gt_u32_e32 30, v0
	s_cbranch_execz .LBB381_42
; %bb.39:
	v_cmp_eq_f32_e64 s1, s8, 0
	v_mul_f32_e32 v1, s12, v2
	s_mov_b32 s3, 0
	s_mul_i32 s0, s11, 0x78
	s_mul_i32 s2, s10, 0x78
	s_and_b32 vcc_lo, exec_lo, s1
	s_mul_hi_u32 s1, s10, 0x78
	s_cbranch_vccz .LBB381_43
; %bb.40:
	v_lshlrev_b32_e32 v2, 2, v0
	s_add_i32 s5, s1, s0
	s_add_u32 s4, s14, s2
	s_addc_u32 s5, s15, s5
	global_store_b32 v2, v1, s[4:5]
	s_and_not1_b32 vcc_lo, exec_lo, s3
	s_cbranch_vccnz .LBB381_42
.LBB381_41:
	v_lshlrev_b32_e32 v0, 2, v0
	s_add_i32 s1, s1, s0
	s_add_u32 s0, s14, s2
	s_addc_u32 s1, s15, s1
	global_load_b32 v2, v0, s[0:1]
	s_waitcnt vmcnt(0)
	v_fmac_f32_e32 v1, s8, v2
	global_store_b32 v0, v1, s[0:1]
.LBB381_42:
	s_nop 0
	s_sendmsg sendmsg(MSG_DEALLOC_VGPRS)
	s_endpgm
.LBB381_43:
	s_branch .LBB381_41
	.section	.rodata,"a",@progbits
	.p2align	6, 0x0
	.amdhsa_kernel _ZN9rocsparseL20bsrxmvn_17_32_kernelILj30Efll18rocsparse_bfloat16S1_fEEvT2_20rocsparse_direction_NS_24const_host_device_scalarIT0_EES2_PKS2_PKT1_SB_S8_PKT3_PKT4_S6_PT5_21rocsparse_index_base_b
		.amdhsa_group_segment_fixed_size 3600
		.amdhsa_private_segment_fixed_size 0
		.amdhsa_kernarg_size 104
		.amdhsa_user_sgpr_count 15
		.amdhsa_user_sgpr_dispatch_ptr 0
		.amdhsa_user_sgpr_queue_ptr 0
		.amdhsa_user_sgpr_kernarg_segment_ptr 1
		.amdhsa_user_sgpr_dispatch_id 0
		.amdhsa_user_sgpr_private_segment_size 0
		.amdhsa_wavefront_size32 1
		.amdhsa_uses_dynamic_stack 0
		.amdhsa_enable_private_segment 0
		.amdhsa_system_sgpr_workgroup_id_x 1
		.amdhsa_system_sgpr_workgroup_id_y 0
		.amdhsa_system_sgpr_workgroup_id_z 0
		.amdhsa_system_sgpr_workgroup_info 0
		.amdhsa_system_vgpr_workitem_id 0
		.amdhsa_next_free_vgpr 15
		.amdhsa_next_free_sgpr 24
		.amdhsa_reserve_vcc 1
		.amdhsa_float_round_mode_32 0
		.amdhsa_float_round_mode_16_64 0
		.amdhsa_float_denorm_mode_32 3
		.amdhsa_float_denorm_mode_16_64 3
		.amdhsa_dx10_clamp 1
		.amdhsa_ieee_mode 1
		.amdhsa_fp16_overflow 0
		.amdhsa_workgroup_processor_mode 1
		.amdhsa_memory_ordered 1
		.amdhsa_forward_progress 0
		.amdhsa_shared_vgpr_count 0
		.amdhsa_exception_fp_ieee_invalid_op 0
		.amdhsa_exception_fp_denorm_src 0
		.amdhsa_exception_fp_ieee_div_zero 0
		.amdhsa_exception_fp_ieee_overflow 0
		.amdhsa_exception_fp_ieee_underflow 0
		.amdhsa_exception_fp_ieee_inexact 0
		.amdhsa_exception_int_div_zero 0
	.end_amdhsa_kernel
	.section	.text._ZN9rocsparseL20bsrxmvn_17_32_kernelILj30Efll18rocsparse_bfloat16S1_fEEvT2_20rocsparse_direction_NS_24const_host_device_scalarIT0_EES2_PKS2_PKT1_SB_S8_PKT3_PKT4_S6_PT5_21rocsparse_index_base_b,"axG",@progbits,_ZN9rocsparseL20bsrxmvn_17_32_kernelILj30Efll18rocsparse_bfloat16S1_fEEvT2_20rocsparse_direction_NS_24const_host_device_scalarIT0_EES2_PKS2_PKT1_SB_S8_PKT3_PKT4_S6_PT5_21rocsparse_index_base_b,comdat
.Lfunc_end381:
	.size	_ZN9rocsparseL20bsrxmvn_17_32_kernelILj30Efll18rocsparse_bfloat16S1_fEEvT2_20rocsparse_direction_NS_24const_host_device_scalarIT0_EES2_PKS2_PKT1_SB_S8_PKT3_PKT4_S6_PT5_21rocsparse_index_base_b, .Lfunc_end381-_ZN9rocsparseL20bsrxmvn_17_32_kernelILj30Efll18rocsparse_bfloat16S1_fEEvT2_20rocsparse_direction_NS_24const_host_device_scalarIT0_EES2_PKS2_PKT1_SB_S8_PKT3_PKT4_S6_PT5_21rocsparse_index_base_b
                                        ; -- End function
	.section	.AMDGPU.csdata,"",@progbits
; Kernel info:
; codeLenInByte = 1616
; NumSgprs: 26
; NumVgprs: 15
; ScratchSize: 0
; MemoryBound: 0
; FloatMode: 240
; IeeeMode: 1
; LDSByteSize: 3600 bytes/workgroup (compile time only)
; SGPRBlocks: 3
; VGPRBlocks: 1
; NumSGPRsForWavesPerEU: 26
; NumVGPRsForWavesPerEU: 15
; Occupancy: 15
; WaveLimiterHint : 1
; COMPUTE_PGM_RSRC2:SCRATCH_EN: 0
; COMPUTE_PGM_RSRC2:USER_SGPR: 15
; COMPUTE_PGM_RSRC2:TRAP_HANDLER: 0
; COMPUTE_PGM_RSRC2:TGID_X_EN: 1
; COMPUTE_PGM_RSRC2:TGID_Y_EN: 0
; COMPUTE_PGM_RSRC2:TGID_Z_EN: 0
; COMPUTE_PGM_RSRC2:TIDIG_COMP_CNT: 0
	.section	.text._ZN9rocsparseL20bsrxmvn_17_32_kernelILj31Efll18rocsparse_bfloat16S1_fEEvT2_20rocsparse_direction_NS_24const_host_device_scalarIT0_EES2_PKS2_PKT1_SB_S8_PKT3_PKT4_S6_PT5_21rocsparse_index_base_b,"axG",@progbits,_ZN9rocsparseL20bsrxmvn_17_32_kernelILj31Efll18rocsparse_bfloat16S1_fEEvT2_20rocsparse_direction_NS_24const_host_device_scalarIT0_EES2_PKS2_PKT1_SB_S8_PKT3_PKT4_S6_PT5_21rocsparse_index_base_b,comdat
	.globl	_ZN9rocsparseL20bsrxmvn_17_32_kernelILj31Efll18rocsparse_bfloat16S1_fEEvT2_20rocsparse_direction_NS_24const_host_device_scalarIT0_EES2_PKS2_PKT1_SB_S8_PKT3_PKT4_S6_PT5_21rocsparse_index_base_b ; -- Begin function _ZN9rocsparseL20bsrxmvn_17_32_kernelILj31Efll18rocsparse_bfloat16S1_fEEvT2_20rocsparse_direction_NS_24const_host_device_scalarIT0_EES2_PKS2_PKT1_SB_S8_PKT3_PKT4_S6_PT5_21rocsparse_index_base_b
	.p2align	8
	.type	_ZN9rocsparseL20bsrxmvn_17_32_kernelILj31Efll18rocsparse_bfloat16S1_fEEvT2_20rocsparse_direction_NS_24const_host_device_scalarIT0_EES2_PKS2_PKT1_SB_S8_PKT3_PKT4_S6_PT5_21rocsparse_index_base_b,@function
_ZN9rocsparseL20bsrxmvn_17_32_kernelILj31Efll18rocsparse_bfloat16S1_fEEvT2_20rocsparse_direction_NS_24const_host_device_scalarIT0_EES2_PKS2_PKT1_SB_S8_PKT3_PKT4_S6_PT5_21rocsparse_index_base_b: ; @_ZN9rocsparseL20bsrxmvn_17_32_kernelILj31Efll18rocsparse_bfloat16S1_fEEvT2_20rocsparse_direction_NS_24const_host_device_scalarIT0_EES2_PKS2_PKT1_SB_S8_PKT3_PKT4_S6_PT5_21rocsparse_index_base_b
; %bb.0:
	s_clause 0x2
	s_load_b64 s[16:17], s[0:1], 0x60
	s_load_b64 s[12:13], s[0:1], 0x10
	;; [unrolled: 1-line block ×3, first 2 shown]
	s_mov_b32 s10, s15
	s_waitcnt lgkmcnt(0)
	s_bitcmp1_b32 s17, 0
	s_cselect_b32 s2, -1, 0
	s_delay_alu instid0(SALU_CYCLE_1)
	s_and_b32 vcc_lo, exec_lo, s2
	s_xor_b32 s2, s2, -1
	s_cbranch_vccnz .LBB382_2
; %bb.1:
	s_load_b32 s12, s[12:13], 0x0
.LBB382_2:
	s_and_not1_b32 vcc_lo, exec_lo, s2
	s_cbranch_vccnz .LBB382_4
; %bb.3:
	s_load_b32 s8, s[8:9], 0x0
.LBB382_4:
	s_waitcnt lgkmcnt(0)
	v_cmp_neq_f32_e64 s2, s12, 0
	v_cmp_neq_f32_e64 s3, s8, 1.0
	s_mov_b32 s11, 0
	s_delay_alu instid0(VALU_DEP_1) | instskip(NEXT) | instid1(SALU_CYCLE_1)
	s_or_b32 s2, s2, s3
	s_and_not1_b32 vcc_lo, exec_lo, s2
	s_cbranch_vccnz .LBB382_42
; %bb.5:
	s_clause 0x1
	s_load_b128 s[4:7], s[0:1], 0x20
	s_load_b64 s[14:15], s[0:1], 0x30
	s_waitcnt lgkmcnt(0)
	s_cmp_eq_u64 s[4:5], 0
	s_cbranch_scc1 .LBB382_7
; %bb.6:
	s_lshl_b64 s[2:3], s[10:11], 3
	s_delay_alu instid0(SALU_CYCLE_1)
	s_add_u32 s2, s4, s2
	s_addc_u32 s3, s5, s3
	s_load_b64 s[2:3], s[2:3], 0x0
	s_waitcnt lgkmcnt(0)
	s_sub_u32 s10, s2, s16
	s_subb_u32 s11, s3, 0
.LBB382_7:
	s_load_b32 s3, s[0:1], 0x8
	v_mul_u32_u24_e32 v1, 0x843, v0
	s_delay_alu instid0(VALU_DEP_1) | instskip(NEXT) | instid1(VALU_DEP_1)
	v_lshrrev_b32_e32 v1, 16, v1
	v_mul_lo_u16 v2, v1, 31
	s_delay_alu instid0(VALU_DEP_1)
	v_sub_nc_u16 v9, v0, v2
	v_mov_b32_e32 v2, 0
	s_waitcnt lgkmcnt(0)
	s_cmp_eq_u32 s3, 1
	s_cselect_b32 s2, -1, 0
	s_cmp_lg_u32 s3, 1
	s_cselect_b32 s9, -1, 0
	s_lshl_b64 s[4:5], s[10:11], 3
	s_delay_alu instid0(SALU_CYCLE_1)
	s_add_u32 s6, s6, s4
	s_addc_u32 s7, s7, s5
	s_add_u32 s3, s6, 8
	s_addc_u32 s13, s7, 0
	;; [unrolled: 2-line block ×3, first 2 shown]
	s_cmp_eq_u64 s[14:15], 0
	s_load_b64 s[14:15], s[0:1], 0x58
	s_cselect_b32 s5, s13, s5
	s_cselect_b32 s4, s3, s4
	s_load_b64 s[18:19], s[6:7], 0x0
	s_load_b64 s[20:21], s[4:5], 0x0
	s_waitcnt lgkmcnt(0)
	v_cmp_ge_i64_e64 s3, s[18:19], s[20:21]
	s_delay_alu instid0(VALU_DEP_1)
	s_and_b32 vcc_lo, exec_lo, s3
	s_cbranch_vccnz .LBB382_12
; %bb.8:
	v_dual_mov_b32 v2, 0 :: v_dual_and_b32 v1, 0xffff, v1
	v_cmp_gt_u32_e32 vcc_lo, 0x3c1, v0
	s_clause 0x1
	s_load_b128 s[4:7], s[0:1], 0x38
	s_load_b64 s[22:23], s[0:1], 0x48
	v_and_b32_e32 v4, 0xffff, v9
	v_subrev_nc_u32_e32 v3, 31, v1
	s_sub_u32 s0, s20, s16
	s_subb_u32 s1, s21, 0
	s_delay_alu instid0(VALU_DEP_1) | instskip(SKIP_1) | instid1(VALU_DEP_2)
	v_cndmask_b32_e32 v1, v3, v1, vcc_lo
	v_cmp_lt_u32_e32 vcc_lo, 0x3c0, v0
	v_cndmask_b32_e64 v1, v4, v1, s2
	v_cndmask_b32_e64 v10, 0, 1, vcc_lo
	s_sub_u32 s2, s18, s16
	s_subb_u32 s3, s19, 0
	s_mul_hi_u32 s13, s2, 0x782
	v_lshlrev_b64 v[3:4], 1, v[1:2]
	v_add_co_u32 v1, s18, s18, v10
	s_delay_alu instid0(VALU_DEP_1) | instskip(SKIP_2) | instid1(VALU_DEP_3)
	v_add_co_ci_u32_e64 v6, null, s19, 0, s18
	s_mul_i32 s17, s3, 0x782
	s_waitcnt lgkmcnt(0)
	v_add_co_u32 v3, vcc_lo, s22, v3
	v_add_co_ci_u32_e32 v4, vcc_lo, s23, v4, vcc_lo
	v_sub_co_u32 v5, vcc_lo, v1, s16
	v_subrev_co_ci_u32_e32 v6, vcc_lo, 0, v6, vcc_lo
	v_lshlrev_b32_e32 v1, 1, v0
	s_add_i32 s13, s13, s17
	s_mul_i32 s17, s2, 0x782
	s_delay_alu instid0(VALU_DEP_2) | instskip(SKIP_3) | instid1(VALU_DEP_1)
	v_lshlrev_b64 v[7:8], 3, v[5:6]
	s_add_u32 s6, s6, s17
	s_addc_u32 s7, s7, s13
	v_add_co_u32 v5, s6, s6, v1
	v_add_co_ci_u32_e64 v6, null, s7, 0, s6
	s_delay_alu instid0(VALU_DEP_3)
	v_add_co_u32 v7, vcc_lo, s4, v7
	v_add_co_ci_u32_e32 v8, vcc_lo, s5, v8, vcc_lo
	s_set_inst_prefetch_distance 0x1
	s_branch .LBB382_10
	.p2align	6
.LBB382_9:                              ;   in Loop: Header=BB382_10 Depth=1
	s_or_b32 exec_lo, exec_lo, s4
	s_add_u32 s2, s2, 1
	s_addc_u32 s3, s3, 0
	v_add_co_u32 v7, vcc_lo, v7, 8
	v_cmp_lt_i64_e64 s4, s[2:3], s[0:1]
	v_add_co_ci_u32_e32 v8, vcc_lo, 0, v8, vcc_lo
	s_delay_alu instid0(VALU_DEP_2)
	s_and_b32 vcc_lo, exec_lo, s4
	s_cbranch_vccz .LBB382_12
.LBB382_10:                             ; =>This Inner Loop Header: Depth=1
	v_add_co_u32 v11, s4, v10, s2
	s_delay_alu instid0(VALU_DEP_1) | instskip(SKIP_1) | instid1(VALU_DEP_1)
	v_add_co_ci_u32_e64 v12, null, 0, s3, s4
	s_mov_b32 s4, exec_lo
	v_cmpx_gt_i64_e64 s[0:1], v[11:12]
	s_cbranch_execz .LBB382_9
; %bb.11:                               ;   in Loop: Header=BB382_10 Depth=1
	global_load_b64 v[11:12], v[7:8], off
	s_waitcnt vmcnt(0)
	v_sub_co_u32 v1, vcc_lo, v11, s16
	v_subrev_co_ci_u32_e32 v14, vcc_lo, 0, v12, vcc_lo
	s_delay_alu instid0(VALU_DEP_2) | instskip(NEXT) | instid1(VALU_DEP_1)
	v_mad_u64_u32 v[11:12], null, v1, 62, v[3:4]
	v_mov_b32_e32 v1, v12
	s_delay_alu instid0(VALU_DEP_1)
	v_mad_u64_u32 v[12:13], null, v14, 62, v[1:2]
	global_load_u16 v1, v[5:6], off
	global_load_u16 v11, v[11:12], off
	v_add_co_u32 v5, vcc_lo, 0x782, v5
	v_add_co_ci_u32_e32 v6, vcc_lo, 0, v6, vcc_lo
	s_waitcnt vmcnt(1)
	v_lshlrev_b32_e32 v1, 16, v1
	s_waitcnt vmcnt(0)
	v_lshlrev_b32_e32 v11, 16, v11
	s_delay_alu instid0(VALU_DEP_1)
	v_fmac_f32_e32 v2, v1, v11
	s_branch .LBB382_9
.LBB382_12:
	s_set_inst_prefetch_distance 0x2
	v_lshlrev_b32_e32 v1, 2, v0
	s_and_b32 vcc_lo, exec_lo, s9
	ds_store_b32 v1, v2
	s_waitcnt lgkmcnt(0)
	s_barrier
	buffer_gl0_inv
	s_cbranch_vccz .LBB382_24
; %bb.13:
	s_mov_b32 s0, exec_lo
	v_cmpx_gt_u16_e32 15, v9
	s_cbranch_execz .LBB382_15
; %bb.14:
	ds_load_2addr_b32 v[3:4], v1 offset1:16
	s_waitcnt lgkmcnt(0)
	v_add_f32_e32 v3, v4, v3
	ds_store_b32 v1, v3
.LBB382_15:
	s_or_b32 exec_lo, exec_lo, s0
	s_delay_alu instid0(SALU_CYCLE_1)
	s_mov_b32 s0, exec_lo
	s_waitcnt lgkmcnt(0)
	s_barrier
	buffer_gl0_inv
	v_cmpx_gt_u16_e32 8, v9
	s_cbranch_execz .LBB382_17
; %bb.16:
	ds_load_2addr_b32 v[3:4], v1 offset1:8
	s_waitcnt lgkmcnt(0)
	v_add_f32_e32 v3, v4, v3
	ds_store_b32 v1, v3
.LBB382_17:
	s_or_b32 exec_lo, exec_lo, s0
	s_delay_alu instid0(SALU_CYCLE_1)
	s_mov_b32 s0, exec_lo
	s_waitcnt lgkmcnt(0)
	s_barrier
	buffer_gl0_inv
	;; [unrolled: 14-line block ×3, first 2 shown]
	v_cmpx_gt_u16_e32 2, v9
	s_cbranch_execz .LBB382_21
; %bb.20:
	ds_load_2addr_b32 v[3:4], v1 offset1:2
	s_waitcnt lgkmcnt(0)
	v_add_f32_e32 v3, v4, v3
	ds_store_b32 v1, v3
.LBB382_21:
	s_or_b32 exec_lo, exec_lo, s0
	s_mov_b32 s1, 0
	s_mov_b32 s0, 0
	s_mov_b32 s2, exec_lo
	s_waitcnt lgkmcnt(0)
	s_barrier
	buffer_gl0_inv
                                        ; implicit-def: $vgpr3
                                        ; implicit-def: $vgpr4
	v_cmpx_gt_u32_e32 31, v0
	s_xor_b32 s2, exec_lo, s2
; %bb.22:
	v_mad_u32_u24 v3, v0, 31, 1
	v_mad_u32_u24 v4, 0x78, v0, v1
	s_mov_b32 s0, exec_lo
; %bb.23:
	s_or_b32 exec_lo, exec_lo, s2
	s_delay_alu instid0(SALU_CYCLE_1)
	s_and_b32 vcc_lo, exec_lo, s1
	s_cbranch_vccnz .LBB382_25
	s_branch .LBB382_36
.LBB382_24:
	s_mov_b32 s0, 0
                                        ; implicit-def: $vgpr3
                                        ; implicit-def: $vgpr4
	s_cbranch_execz .LBB382_36
.LBB382_25:
	s_mov_b32 s1, exec_lo
	v_cmpx_gt_u32_e32 0x1d1, v0
	s_cbranch_execz .LBB382_27
; %bb.26:
	ds_load_b32 v3, v1 offset:1984
	ds_load_b32 v4, v1
	s_waitcnt lgkmcnt(0)
	v_add_f32_e32 v3, v3, v4
	ds_store_b32 v1, v3
.LBB382_27:
	s_or_b32 exec_lo, exec_lo, s1
	s_delay_alu instid0(SALU_CYCLE_1)
	s_mov_b32 s1, exec_lo
	s_waitcnt lgkmcnt(0)
	s_barrier
	buffer_gl0_inv
	v_cmpx_gt_u32_e32 0xf8, v0
	s_cbranch_execz .LBB382_29
; %bb.28:
	ds_load_2addr_b32 v[3:4], v1 offset1:248
	s_waitcnt lgkmcnt(0)
	v_add_f32_e32 v3, v4, v3
	ds_store_b32 v1, v3
.LBB382_29:
	s_or_b32 exec_lo, exec_lo, s1
	s_delay_alu instid0(SALU_CYCLE_1)
	s_mov_b32 s1, exec_lo
	s_waitcnt lgkmcnt(0)
	s_barrier
	buffer_gl0_inv
	v_cmpx_gt_u32_e32 0x7c, v0
	s_cbranch_execz .LBB382_31
; %bb.30:
	ds_load_2addr_b32 v[3:4], v1 offset1:124
	s_waitcnt lgkmcnt(0)
	v_add_f32_e32 v3, v4, v3
	ds_store_b32 v1, v3
.LBB382_31:
	;; [unrolled: 14-line block ×3, first 2 shown]
	s_or_b32 exec_lo, exec_lo, s1
	s_delay_alu instid0(SALU_CYCLE_1)
	s_mov_b32 s1, exec_lo
	s_waitcnt lgkmcnt(0)
	buffer_gl0_inv
                                        ; implicit-def: $vgpr3
	v_cmpx_gt_u32_e32 31, v0
; %bb.34:
	v_add_nc_u32_e32 v3, 31, v0
	s_or_b32 s0, s0, exec_lo
                                        ; implicit-def: $vgpr2
; %bb.35:
	s_or_b32 exec_lo, exec_lo, s1
	v_mov_b32_e32 v4, v1
.LBB382_36:
	s_and_saveexec_b32 s1, s0
	s_cbranch_execz .LBB382_38
; %bb.37:
	v_lshlrev_b32_e32 v1, 2, v3
	ds_load_b32 v2, v4
	ds_load_b32 v1, v1
	s_waitcnt lgkmcnt(0)
	v_add_f32_e32 v2, v2, v1
.LBB382_38:
	s_or_b32 exec_lo, exec_lo, s1
	s_delay_alu instid0(SALU_CYCLE_1)
	s_mov_b32 s0, exec_lo
	v_cmpx_gt_u32_e32 31, v0
	s_cbranch_execz .LBB382_42
; %bb.39:
	v_cmp_eq_f32_e64 s1, s8, 0
	v_mul_f32_e32 v1, s12, v2
	s_mov_b32 s3, 0
	s_mul_i32 s0, s11, 0x7c
	s_mul_i32 s2, s10, 0x7c
	s_and_b32 vcc_lo, exec_lo, s1
	s_mul_hi_u32 s1, s10, 0x7c
	s_cbranch_vccz .LBB382_43
; %bb.40:
	v_lshlrev_b32_e32 v2, 2, v0
	s_add_i32 s5, s1, s0
	s_add_u32 s4, s14, s2
	s_addc_u32 s5, s15, s5
	global_store_b32 v2, v1, s[4:5]
	s_and_not1_b32 vcc_lo, exec_lo, s3
	s_cbranch_vccnz .LBB382_42
.LBB382_41:
	v_lshlrev_b32_e32 v0, 2, v0
	s_add_i32 s1, s1, s0
	s_add_u32 s0, s14, s2
	s_addc_u32 s1, s15, s1
	global_load_b32 v2, v0, s[0:1]
	s_waitcnt vmcnt(0)
	v_fmac_f32_e32 v1, s8, v2
	global_store_b32 v0, v1, s[0:1]
.LBB382_42:
	s_nop 0
	s_sendmsg sendmsg(MSG_DEALLOC_VGPRS)
	s_endpgm
.LBB382_43:
	s_branch .LBB382_41
	.section	.rodata,"a",@progbits
	.p2align	6, 0x0
	.amdhsa_kernel _ZN9rocsparseL20bsrxmvn_17_32_kernelILj31Efll18rocsparse_bfloat16S1_fEEvT2_20rocsparse_direction_NS_24const_host_device_scalarIT0_EES2_PKS2_PKT1_SB_S8_PKT3_PKT4_S6_PT5_21rocsparse_index_base_b
		.amdhsa_group_segment_fixed_size 3844
		.amdhsa_private_segment_fixed_size 0
		.amdhsa_kernarg_size 104
		.amdhsa_user_sgpr_count 15
		.amdhsa_user_sgpr_dispatch_ptr 0
		.amdhsa_user_sgpr_queue_ptr 0
		.amdhsa_user_sgpr_kernarg_segment_ptr 1
		.amdhsa_user_sgpr_dispatch_id 0
		.amdhsa_user_sgpr_private_segment_size 0
		.amdhsa_wavefront_size32 1
		.amdhsa_uses_dynamic_stack 0
		.amdhsa_enable_private_segment 0
		.amdhsa_system_sgpr_workgroup_id_x 1
		.amdhsa_system_sgpr_workgroup_id_y 0
		.amdhsa_system_sgpr_workgroup_id_z 0
		.amdhsa_system_sgpr_workgroup_info 0
		.amdhsa_system_vgpr_workitem_id 0
		.amdhsa_next_free_vgpr 15
		.amdhsa_next_free_sgpr 24
		.amdhsa_reserve_vcc 1
		.amdhsa_float_round_mode_32 0
		.amdhsa_float_round_mode_16_64 0
		.amdhsa_float_denorm_mode_32 3
		.amdhsa_float_denorm_mode_16_64 3
		.amdhsa_dx10_clamp 1
		.amdhsa_ieee_mode 1
		.amdhsa_fp16_overflow 0
		.amdhsa_workgroup_processor_mode 1
		.amdhsa_memory_ordered 1
		.amdhsa_forward_progress 0
		.amdhsa_shared_vgpr_count 0
		.amdhsa_exception_fp_ieee_invalid_op 0
		.amdhsa_exception_fp_denorm_src 0
		.amdhsa_exception_fp_ieee_div_zero 0
		.amdhsa_exception_fp_ieee_overflow 0
		.amdhsa_exception_fp_ieee_underflow 0
		.amdhsa_exception_fp_ieee_inexact 0
		.amdhsa_exception_int_div_zero 0
	.end_amdhsa_kernel
	.section	.text._ZN9rocsparseL20bsrxmvn_17_32_kernelILj31Efll18rocsparse_bfloat16S1_fEEvT2_20rocsparse_direction_NS_24const_host_device_scalarIT0_EES2_PKS2_PKT1_SB_S8_PKT3_PKT4_S6_PT5_21rocsparse_index_base_b,"axG",@progbits,_ZN9rocsparseL20bsrxmvn_17_32_kernelILj31Efll18rocsparse_bfloat16S1_fEEvT2_20rocsparse_direction_NS_24const_host_device_scalarIT0_EES2_PKS2_PKT1_SB_S8_PKT3_PKT4_S6_PT5_21rocsparse_index_base_b,comdat
.Lfunc_end382:
	.size	_ZN9rocsparseL20bsrxmvn_17_32_kernelILj31Efll18rocsparse_bfloat16S1_fEEvT2_20rocsparse_direction_NS_24const_host_device_scalarIT0_EES2_PKS2_PKT1_SB_S8_PKT3_PKT4_S6_PT5_21rocsparse_index_base_b, .Lfunc_end382-_ZN9rocsparseL20bsrxmvn_17_32_kernelILj31Efll18rocsparse_bfloat16S1_fEEvT2_20rocsparse_direction_NS_24const_host_device_scalarIT0_EES2_PKS2_PKT1_SB_S8_PKT3_PKT4_S6_PT5_21rocsparse_index_base_b
                                        ; -- End function
	.section	.AMDGPU.csdata,"",@progbits
; Kernel info:
; codeLenInByte = 1612
; NumSgprs: 26
; NumVgprs: 15
; ScratchSize: 0
; MemoryBound: 0
; FloatMode: 240
; IeeeMode: 1
; LDSByteSize: 3844 bytes/workgroup (compile time only)
; SGPRBlocks: 3
; VGPRBlocks: 1
; NumSGPRsForWavesPerEU: 26
; NumVGPRsForWavesPerEU: 15
; Occupancy: 16
; WaveLimiterHint : 1
; COMPUTE_PGM_RSRC2:SCRATCH_EN: 0
; COMPUTE_PGM_RSRC2:USER_SGPR: 15
; COMPUTE_PGM_RSRC2:TRAP_HANDLER: 0
; COMPUTE_PGM_RSRC2:TGID_X_EN: 1
; COMPUTE_PGM_RSRC2:TGID_Y_EN: 0
; COMPUTE_PGM_RSRC2:TGID_Z_EN: 0
; COMPUTE_PGM_RSRC2:TIDIG_COMP_CNT: 0
	.section	.text._ZN9rocsparseL20bsrxmvn_17_32_kernelILj32Efll18rocsparse_bfloat16S1_fEEvT2_20rocsparse_direction_NS_24const_host_device_scalarIT0_EES2_PKS2_PKT1_SB_S8_PKT3_PKT4_S6_PT5_21rocsparse_index_base_b,"axG",@progbits,_ZN9rocsparseL20bsrxmvn_17_32_kernelILj32Efll18rocsparse_bfloat16S1_fEEvT2_20rocsparse_direction_NS_24const_host_device_scalarIT0_EES2_PKS2_PKT1_SB_S8_PKT3_PKT4_S6_PT5_21rocsparse_index_base_b,comdat
	.globl	_ZN9rocsparseL20bsrxmvn_17_32_kernelILj32Efll18rocsparse_bfloat16S1_fEEvT2_20rocsparse_direction_NS_24const_host_device_scalarIT0_EES2_PKS2_PKT1_SB_S8_PKT3_PKT4_S6_PT5_21rocsparse_index_base_b ; -- Begin function _ZN9rocsparseL20bsrxmvn_17_32_kernelILj32Efll18rocsparse_bfloat16S1_fEEvT2_20rocsparse_direction_NS_24const_host_device_scalarIT0_EES2_PKS2_PKT1_SB_S8_PKT3_PKT4_S6_PT5_21rocsparse_index_base_b
	.p2align	8
	.type	_ZN9rocsparseL20bsrxmvn_17_32_kernelILj32Efll18rocsparse_bfloat16S1_fEEvT2_20rocsparse_direction_NS_24const_host_device_scalarIT0_EES2_PKS2_PKT1_SB_S8_PKT3_PKT4_S6_PT5_21rocsparse_index_base_b,@function
_ZN9rocsparseL20bsrxmvn_17_32_kernelILj32Efll18rocsparse_bfloat16S1_fEEvT2_20rocsparse_direction_NS_24const_host_device_scalarIT0_EES2_PKS2_PKT1_SB_S8_PKT3_PKT4_S6_PT5_21rocsparse_index_base_b: ; @_ZN9rocsparseL20bsrxmvn_17_32_kernelILj32Efll18rocsparse_bfloat16S1_fEEvT2_20rocsparse_direction_NS_24const_host_device_scalarIT0_EES2_PKS2_PKT1_SB_S8_PKT3_PKT4_S6_PT5_21rocsparse_index_base_b
; %bb.0:
	s_mov_b32 s10, s15
	s_clause 0x2
	s_load_b64 s[14:15], s[0:1], 0x60
	s_load_b64 s[12:13], s[0:1], 0x10
	;; [unrolled: 1-line block ×3, first 2 shown]
	s_waitcnt lgkmcnt(0)
	s_bitcmp1_b32 s15, 0
	s_cselect_b32 s2, -1, 0
	s_delay_alu instid0(SALU_CYCLE_1)
	s_and_b32 vcc_lo, exec_lo, s2
	s_xor_b32 s2, s2, -1
	s_cbranch_vccnz .LBB383_2
; %bb.1:
	s_load_b32 s12, s[12:13], 0x0
.LBB383_2:
	s_and_not1_b32 vcc_lo, exec_lo, s2
	s_cbranch_vccnz .LBB383_4
; %bb.3:
	s_load_b32 s8, s[8:9], 0x0
.LBB383_4:
	s_waitcnt lgkmcnt(0)
	v_cmp_neq_f32_e64 s2, s12, 0
	v_cmp_neq_f32_e64 s3, s8, 1.0
	s_mov_b32 s11, 0
	s_delay_alu instid0(VALU_DEP_1) | instskip(NEXT) | instid1(SALU_CYCLE_1)
	s_or_b32 s2, s2, s3
	s_and_not1_b32 vcc_lo, exec_lo, s2
	s_cbranch_vccnz .LBB383_40
; %bb.5:
	s_clause 0x1
	s_load_b128 s[4:7], s[0:1], 0x20
	s_load_b64 s[16:17], s[0:1], 0x30
	s_mov_b32 s15, s11
	s_waitcnt lgkmcnt(0)
	s_cmp_eq_u64 s[4:5], 0
	s_cbranch_scc1 .LBB383_7
; %bb.6:
	s_lshl_b64 s[2:3], s[10:11], 3
	s_delay_alu instid0(SALU_CYCLE_1)
	s_add_u32 s2, s4, s2
	s_addc_u32 s3, s5, s3
	s_load_b64 s[2:3], s[2:3], 0x0
	s_waitcnt lgkmcnt(0)
	s_sub_u32 s10, s2, s14
	s_subb_u32 s11, s3, 0
.LBB383_7:
	s_load_b32 s3, s[0:1], 0x8
	v_dual_mov_b32 v3, 0 :: v_dual_and_b32 v4, 31, v0
	s_waitcnt lgkmcnt(0)
	s_cmp_eq_u32 s3, 1
	s_cselect_b32 s2, -1, 0
	s_cmp_lg_u32 s3, 1
	s_cselect_b32 s9, -1, 0
	s_lshl_b64 s[4:5], s[10:11], 3
	s_delay_alu instid0(SALU_CYCLE_1)
	s_add_u32 s6, s6, s4
	s_addc_u32 s7, s7, s5
	s_add_u32 s3, s6, 8
	s_addc_u32 s13, s7, 0
	;; [unrolled: 2-line block ×3, first 2 shown]
	s_cmp_eq_u64 s[16:17], 0
	s_cselect_b32 s5, s13, s5
	s_cselect_b32 s4, s3, s4
	s_load_b64 s[6:7], s[6:7], 0x0
	s_load_b64 s[16:17], s[4:5], 0x0
	;; [unrolled: 1-line block ×3, first 2 shown]
	s_waitcnt lgkmcnt(0)
	v_cmp_ge_i64_e64 s3, s[6:7], s[16:17]
	s_delay_alu instid0(VALU_DEP_1)
	s_and_b32 vcc_lo, exec_lo, s3
	s_cbranch_vccnz .LBB383_10
; %bb.8:
	s_clause 0x1
	s_load_b64 s[18:19], s[0:1], 0x48
	s_load_b128 s[20:23], s[0:1], 0x38
	v_lshrrev_b32_e32 v1, 5, v0
	s_sub_u32 s0, s16, s14
	s_subb_u32 s1, s17, 0
	v_mov_b32_e32 v3, 0
	s_delay_alu instid0(VALU_DEP_2)
	v_cndmask_b32_e64 v1, v4, v1, s2
	s_sub_u32 s2, s6, s14
	s_subb_u32 s3, s7, 0
	s_lshl_b64 s[6:7], s[6:7], 3
	s_lshl_b64 s[16:17], s[2:3], 11
	v_lshlrev_b32_e32 v1, 1, v1
	v_lshl_or_b32 v2, v0, 1, s16
	v_mov_b32_e32 v7, s17
	s_lshl_b64 s[24:25], s[14:15], 3
	s_delay_alu instid0(SALU_CYCLE_1)
	s_sub_u32 s6, s6, s24
	s_subb_u32 s7, s7, s25
	s_waitcnt lgkmcnt(0)
	v_add_co_u32 v5, s13, s18, v1
	v_add_co_u32 v1, vcc_lo, s22, v2
	v_add_co_ci_u32_e64 v6, null, s19, 0, s13
	v_add_co_ci_u32_e32 v2, vcc_lo, s23, v7, vcc_lo
	s_add_u32 s6, s20, s6
	s_addc_u32 s7, s21, s7
	.p2align	6
.LBB383_9:                              ; =>This Inner Loop Header: Depth=1
	s_load_b64 s[16:17], s[6:7], 0x0
	s_waitcnt lgkmcnt(0)
	s_sub_u32 s16, s16, s14
	s_subb_u32 s17, s17, 0
	s_delay_alu instid0(SALU_CYCLE_1)
	s_lshl_b64 s[16:17], s[16:17], 6
	s_add_u32 s2, s2, 1
	v_add_co_u32 v7, vcc_lo, v5, s16
	v_add_co_ci_u32_e32 v8, vcc_lo, s17, v6, vcc_lo
	s_addc_u32 s3, s3, 0
	s_add_u32 s6, s6, 8
	global_load_u16 v9, v[1:2], off
	global_load_u16 v7, v[7:8], off
	v_cmp_lt_i64_e64 s13, s[2:3], s[0:1]
	v_add_co_u32 v1, vcc_lo, 0x800, v1
	v_add_co_ci_u32_e32 v2, vcc_lo, 0, v2, vcc_lo
	s_addc_u32 s7, s7, 0
	s_delay_alu instid0(VALU_DEP_3) | instskip(SKIP_4) | instid1(VALU_DEP_1)
	s_and_b32 vcc_lo, exec_lo, s13
	s_waitcnt vmcnt(1)
	v_lshlrev_b32_e32 v8, 16, v9
	s_waitcnt vmcnt(0)
	v_lshlrev_b32_e32 v7, 16, v7
	v_fmac_f32_e32 v3, v8, v7
	s_cbranch_vccnz .LBB383_9
.LBB383_10:
	v_lshlrev_b32_e32 v1, 2, v0
	s_and_b32 vcc_lo, exec_lo, s9
	ds_store_b32 v1, v3
	s_waitcnt lgkmcnt(0)
	s_barrier
	buffer_gl0_inv
	s_cbranch_vccz .LBB383_22
; %bb.11:
	s_mov_b32 s0, exec_lo
	v_cmpx_gt_u32_e32 16, v4
	s_cbranch_execz .LBB383_13
; %bb.12:
	ds_load_2addr_b32 v[5:6], v1 offset1:16
	s_waitcnt lgkmcnt(0)
	v_add_f32_e32 v2, v6, v5
	ds_store_b32 v1, v2
.LBB383_13:
	s_or_b32 exec_lo, exec_lo, s0
	s_delay_alu instid0(SALU_CYCLE_1)
	s_mov_b32 s0, exec_lo
	s_waitcnt lgkmcnt(0)
	s_barrier
	buffer_gl0_inv
	v_cmpx_gt_u32_e32 8, v4
	s_cbranch_execz .LBB383_15
; %bb.14:
	ds_load_2addr_b32 v[5:6], v1 offset1:8
	s_waitcnt lgkmcnt(0)
	v_add_f32_e32 v2, v6, v5
	ds_store_b32 v1, v2
.LBB383_15:
	s_or_b32 exec_lo, exec_lo, s0
	s_delay_alu instid0(SALU_CYCLE_1)
	s_mov_b32 s0, exec_lo
	s_waitcnt lgkmcnt(0)
	s_barrier
	buffer_gl0_inv
	;; [unrolled: 14-line block ×3, first 2 shown]
	v_cmpx_gt_u32_e32 2, v4
	s_cbranch_execz .LBB383_19
; %bb.18:
	ds_load_2addr_b32 v[4:5], v1 offset1:2
	s_waitcnt lgkmcnt(0)
	v_add_f32_e32 v2, v5, v4
	ds_store_b32 v1, v2
.LBB383_19:
	s_or_b32 exec_lo, exec_lo, s0
	s_mov_b32 s1, 0
	s_mov_b32 s0, 0
	s_mov_b32 s2, exec_lo
	s_waitcnt lgkmcnt(0)
	s_barrier
	buffer_gl0_inv
                                        ; implicit-def: $vgpr2
                                        ; implicit-def: $vgpr4
	v_cmpx_gt_u32_e32 32, v0
	s_xor_b32 s2, exec_lo, s2
; %bb.20:
	v_lshl_or_b32 v2, v0, 5, 1
	v_mad_u32_u24 v4, 0x7c, v0, v1
	s_mov_b32 s0, exec_lo
; %bb.21:
	s_or_b32 exec_lo, exec_lo, s2
	s_delay_alu instid0(SALU_CYCLE_1)
	s_and_b32 vcc_lo, exec_lo, s1
	s_cbranch_vccnz .LBB383_23
	s_branch .LBB383_34
.LBB383_22:
	s_mov_b32 s0, 0
                                        ; implicit-def: $vgpr2
                                        ; implicit-def: $vgpr4
	s_cbranch_execz .LBB383_34
.LBB383_23:
	s_mov_b32 s1, exec_lo
	v_cmpx_gt_u32_e32 0x200, v0
	s_cbranch_execz .LBB383_25
; %bb.24:
	ds_load_2addr_stride64_b32 v[4:5], v1 offset1:8
	s_waitcnt lgkmcnt(0)
	v_add_f32_e32 v2, v5, v4
	ds_store_b32 v1, v2
.LBB383_25:
	s_or_b32 exec_lo, exec_lo, s1
	s_delay_alu instid0(SALU_CYCLE_1)
	s_mov_b32 s1, exec_lo
	s_waitcnt lgkmcnt(0)
	s_barrier
	buffer_gl0_inv
	v_cmpx_gt_u32_e32 0x100, v0
	s_cbranch_execz .LBB383_27
; %bb.26:
	ds_load_2addr_stride64_b32 v[4:5], v1 offset1:4
	s_waitcnt lgkmcnt(0)
	v_add_f32_e32 v2, v5, v4
	ds_store_b32 v1, v2
.LBB383_27:
	s_or_b32 exec_lo, exec_lo, s1
	s_delay_alu instid0(SALU_CYCLE_1)
	s_mov_b32 s1, exec_lo
	s_waitcnt lgkmcnt(0)
	s_barrier
	buffer_gl0_inv
	;; [unrolled: 14-line block ×3, first 2 shown]
	v_cmpx_gt_u32_e32 64, v0
	s_cbranch_execz .LBB383_31
; %bb.30:
	ds_load_2addr_stride64_b32 v[4:5], v1 offset1:1
	s_waitcnt lgkmcnt(0)
	v_add_f32_e32 v2, v5, v4
	ds_store_b32 v1, v2
.LBB383_31:
	s_or_b32 exec_lo, exec_lo, s1
	s_delay_alu instid0(SALU_CYCLE_1)
	s_mov_b32 s1, exec_lo
	s_waitcnt lgkmcnt(0)
	buffer_gl0_inv
                                        ; implicit-def: $vgpr2
	v_cmpx_gt_u32_e32 32, v0
; %bb.32:
	v_or_b32_e32 v2, 32, v0
	s_or_b32 s0, s0, exec_lo
                                        ; implicit-def: $vgpr3
; %bb.33:
	s_or_b32 exec_lo, exec_lo, s1
	v_mov_b32_e32 v4, v1
.LBB383_34:
	s_and_saveexec_b32 s1, s0
	s_cbranch_execz .LBB383_36
; %bb.35:
	v_lshlrev_b32_e32 v1, 2, v2
	ds_load_b32 v2, v4
	ds_load_b32 v1, v1
	s_waitcnt lgkmcnt(0)
	v_add_f32_e32 v3, v2, v1
.LBB383_36:
	s_or_b32 exec_lo, exec_lo, s1
	s_delay_alu instid0(SALU_CYCLE_1)
	s_mov_b32 s0, exec_lo
	v_cmpx_gt_u32_e32 32, v0
	s_cbranch_execz .LBB383_40
; %bb.37:
	v_cmp_eq_f32_e64 s0, s8, 0
	v_mul_f32_e32 v1, s12, v3
	s_delay_alu instid0(VALU_DEP_2)
	s_and_b32 vcc_lo, exec_lo, s0
	s_mov_b32 s0, 0
	s_cbranch_vccz .LBB383_41
; %bb.38:
	s_lshl_b64 s[2:3], s[10:11], 7
	v_lshlrev_b32_e32 v2, 2, v0
	s_add_u32 s2, s4, s2
	s_addc_u32 s3, s5, s3
	global_store_b32 v2, v1, s[2:3]
	s_and_not1_b32 vcc_lo, exec_lo, s0
	s_cbranch_vccnz .LBB383_40
.LBB383_39:
	s_lshl_b64 s[0:1], s[10:11], 7
	v_lshlrev_b32_e32 v0, 2, v0
	s_add_u32 s0, s4, s0
	s_addc_u32 s1, s5, s1
	global_load_b32 v2, v0, s[0:1]
	s_waitcnt vmcnt(0)
	v_fmac_f32_e32 v1, s8, v2
	global_store_b32 v0, v1, s[0:1]
.LBB383_40:
	s_nop 0
	s_sendmsg sendmsg(MSG_DEALLOC_VGPRS)
	s_endpgm
.LBB383_41:
	s_branch .LBB383_39
	.section	.rodata,"a",@progbits
	.p2align	6, 0x0
	.amdhsa_kernel _ZN9rocsparseL20bsrxmvn_17_32_kernelILj32Efll18rocsparse_bfloat16S1_fEEvT2_20rocsparse_direction_NS_24const_host_device_scalarIT0_EES2_PKS2_PKT1_SB_S8_PKT3_PKT4_S6_PT5_21rocsparse_index_base_b
		.amdhsa_group_segment_fixed_size 4096
		.amdhsa_private_segment_fixed_size 0
		.amdhsa_kernarg_size 104
		.amdhsa_user_sgpr_count 15
		.amdhsa_user_sgpr_dispatch_ptr 0
		.amdhsa_user_sgpr_queue_ptr 0
		.amdhsa_user_sgpr_kernarg_segment_ptr 1
		.amdhsa_user_sgpr_dispatch_id 0
		.amdhsa_user_sgpr_private_segment_size 0
		.amdhsa_wavefront_size32 1
		.amdhsa_uses_dynamic_stack 0
		.amdhsa_enable_private_segment 0
		.amdhsa_system_sgpr_workgroup_id_x 1
		.amdhsa_system_sgpr_workgroup_id_y 0
		.amdhsa_system_sgpr_workgroup_id_z 0
		.amdhsa_system_sgpr_workgroup_info 0
		.amdhsa_system_vgpr_workitem_id 0
		.amdhsa_next_free_vgpr 10
		.amdhsa_next_free_sgpr 26
		.amdhsa_reserve_vcc 1
		.amdhsa_float_round_mode_32 0
		.amdhsa_float_round_mode_16_64 0
		.amdhsa_float_denorm_mode_32 3
		.amdhsa_float_denorm_mode_16_64 3
		.amdhsa_dx10_clamp 1
		.amdhsa_ieee_mode 1
		.amdhsa_fp16_overflow 0
		.amdhsa_workgroup_processor_mode 1
		.amdhsa_memory_ordered 1
		.amdhsa_forward_progress 0
		.amdhsa_shared_vgpr_count 0
		.amdhsa_exception_fp_ieee_invalid_op 0
		.amdhsa_exception_fp_denorm_src 0
		.amdhsa_exception_fp_ieee_div_zero 0
		.amdhsa_exception_fp_ieee_overflow 0
		.amdhsa_exception_fp_ieee_underflow 0
		.amdhsa_exception_fp_ieee_inexact 0
		.amdhsa_exception_int_div_zero 0
	.end_amdhsa_kernel
	.section	.text._ZN9rocsparseL20bsrxmvn_17_32_kernelILj32Efll18rocsparse_bfloat16S1_fEEvT2_20rocsparse_direction_NS_24const_host_device_scalarIT0_EES2_PKS2_PKT1_SB_S8_PKT3_PKT4_S6_PT5_21rocsparse_index_base_b,"axG",@progbits,_ZN9rocsparseL20bsrxmvn_17_32_kernelILj32Efll18rocsparse_bfloat16S1_fEEvT2_20rocsparse_direction_NS_24const_host_device_scalarIT0_EES2_PKS2_PKT1_SB_S8_PKT3_PKT4_S6_PT5_21rocsparse_index_base_b,comdat
.Lfunc_end383:
	.size	_ZN9rocsparseL20bsrxmvn_17_32_kernelILj32Efll18rocsparse_bfloat16S1_fEEvT2_20rocsparse_direction_NS_24const_host_device_scalarIT0_EES2_PKS2_PKT1_SB_S8_PKT3_PKT4_S6_PT5_21rocsparse_index_base_b, .Lfunc_end383-_ZN9rocsparseL20bsrxmvn_17_32_kernelILj32Efll18rocsparse_bfloat16S1_fEEvT2_20rocsparse_direction_NS_24const_host_device_scalarIT0_EES2_PKS2_PKT1_SB_S8_PKT3_PKT4_S6_PT5_21rocsparse_index_base_b
                                        ; -- End function
	.section	.AMDGPU.csdata,"",@progbits
; Kernel info:
; codeLenInByte = 1376
; NumSgprs: 28
; NumVgprs: 10
; ScratchSize: 0
; MemoryBound: 0
; FloatMode: 240
; IeeeMode: 1
; LDSByteSize: 4096 bytes/workgroup (compile time only)
; SGPRBlocks: 3
; VGPRBlocks: 1
; NumSGPRsForWavesPerEU: 28
; NumVGPRsForWavesPerEU: 10
; Occupancy: 16
; WaveLimiterHint : 1
; COMPUTE_PGM_RSRC2:SCRATCH_EN: 0
; COMPUTE_PGM_RSRC2:USER_SGPR: 15
; COMPUTE_PGM_RSRC2:TRAP_HANDLER: 0
; COMPUTE_PGM_RSRC2:TGID_X_EN: 1
; COMPUTE_PGM_RSRC2:TGID_Y_EN: 0
; COMPUTE_PGM_RSRC2:TGID_Z_EN: 0
; COMPUTE_PGM_RSRC2:TIDIG_COMP_CNT: 0
	.section	.text._ZN9rocsparseL20bsrxmvn_17_32_kernelILj17E21rocsparse_complex_numIfEiifS2_S2_EEvT2_20rocsparse_direction_NS_24const_host_device_scalarIT0_EES3_PKS3_PKT1_SC_S9_PKT3_PKT4_S7_PT5_21rocsparse_index_base_b,"axG",@progbits,_ZN9rocsparseL20bsrxmvn_17_32_kernelILj17E21rocsparse_complex_numIfEiifS2_S2_EEvT2_20rocsparse_direction_NS_24const_host_device_scalarIT0_EES3_PKS3_PKT1_SC_S9_PKT3_PKT4_S7_PT5_21rocsparse_index_base_b,comdat
	.globl	_ZN9rocsparseL20bsrxmvn_17_32_kernelILj17E21rocsparse_complex_numIfEiifS2_S2_EEvT2_20rocsparse_direction_NS_24const_host_device_scalarIT0_EES3_PKS3_PKT1_SC_S9_PKT3_PKT4_S7_PT5_21rocsparse_index_base_b ; -- Begin function _ZN9rocsparseL20bsrxmvn_17_32_kernelILj17E21rocsparse_complex_numIfEiifS2_S2_EEvT2_20rocsparse_direction_NS_24const_host_device_scalarIT0_EES3_PKS3_PKT1_SC_S9_PKT3_PKT4_S7_PT5_21rocsparse_index_base_b
	.p2align	8
	.type	_ZN9rocsparseL20bsrxmvn_17_32_kernelILj17E21rocsparse_complex_numIfEiifS2_S2_EEvT2_20rocsparse_direction_NS_24const_host_device_scalarIT0_EES3_PKS3_PKT1_SC_S9_PKT3_PKT4_S7_PT5_21rocsparse_index_base_b,@function
_ZN9rocsparseL20bsrxmvn_17_32_kernelILj17E21rocsparse_complex_numIfEiifS2_S2_EEvT2_20rocsparse_direction_NS_24const_host_device_scalarIT0_EES3_PKS3_PKT1_SC_S9_PKT3_PKT4_S7_PT5_21rocsparse_index_base_b: ; @_ZN9rocsparseL20bsrxmvn_17_32_kernelILj17E21rocsparse_complex_numIfEiifS2_S2_EEvT2_20rocsparse_direction_NS_24const_host_device_scalarIT0_EES3_PKS3_PKT1_SC_S9_PKT3_PKT4_S7_PT5_21rocsparse_index_base_b
; %bb.0:
	s_clause 0x2
	s_load_b64 s[10:11], s[0:1], 0x58
	s_load_b64 s[4:5], s[0:1], 0x8
	;; [unrolled: 1-line block ×3, first 2 shown]
	s_mov_b32 s8, s15
	s_waitcnt lgkmcnt(0)
	s_bitcmp1_b32 s11, 0
	v_mov_b32_e32 v10, s4
	s_cselect_b32 s6, -1, 0
	s_delay_alu instid0(SALU_CYCLE_1)
	s_and_b32 vcc_lo, exec_lo, s6
	s_xor_b32 s6, s6, -1
	s_cbranch_vccz .LBB384_15
; %bb.1:
	v_cndmask_b32_e64 v1, 0, 1, s6
	v_mov_b32_e32 v11, s5
	s_and_not1_b32 vcc_lo, exec_lo, s6
	s_cbranch_vccz .LBB384_16
.LBB384_2:
	s_delay_alu instid0(VALU_DEP_2)
	v_cmp_ne_u32_e32 vcc_lo, 1, v1
	v_mov_b32_e32 v8, s2
	s_cbranch_vccz .LBB384_17
.LBB384_3:
	v_cmp_ne_u32_e32 vcc_lo, 1, v1
	v_mov_b32_e32 v9, s3
	s_cbranch_vccnz .LBB384_5
.LBB384_4:
	v_dual_mov_b32 v1, s2 :: v_dual_mov_b32 v2, s3
	flat_load_b32 v9, v[1:2] offset:4
.LBB384_5:
	s_waitcnt vmcnt(0) lgkmcnt(0)
	v_cmp_eq_f32_e32 vcc_lo, 0, v10
	v_cmp_eq_f32_e64 s2, 0, v11
	s_delay_alu instid0(VALU_DEP_1)
	s_and_b32 s4, vcc_lo, s2
	s_mov_b32 s2, -1
	s_and_saveexec_b32 s3, s4
; %bb.6:
	v_cmp_neq_f32_e32 vcc_lo, 1.0, v8
	v_cmp_neq_f32_e64 s2, 0, v9
	s_delay_alu instid0(VALU_DEP_1) | instskip(NEXT) | instid1(SALU_CYCLE_1)
	s_or_b32 s2, vcc_lo, s2
	s_or_not1_b32 s2, s2, exec_lo
; %bb.7:
	s_or_b32 exec_lo, exec_lo, s3
	s_and_saveexec_b32 s3, s2
	s_cbranch_execz .LBB384_44
; %bb.8:
	s_clause 0x1
	s_load_b128 s[4:7], s[0:1], 0x18
	s_load_b64 s[2:3], s[0:1], 0x28
	s_waitcnt lgkmcnt(0)
	s_cmp_eq_u64 s[4:5], 0
	s_cbranch_scc1 .LBB384_10
; %bb.9:
	s_ashr_i32 s9, s8, 31
	s_delay_alu instid0(SALU_CYCLE_1) | instskip(NEXT) | instid1(SALU_CYCLE_1)
	s_lshl_b64 s[8:9], s[8:9], 2
	s_add_u32 s4, s4, s8
	s_addc_u32 s5, s5, s9
	s_load_b32 s4, s[4:5], 0x0
	s_waitcnt lgkmcnt(0)
	s_sub_i32 s8, s4, s10
.LBB384_10:
	s_load_b32 s4, s[0:1], 0x4
	v_mul_u32_u24_e32 v1, 0xf10, v0
	v_mov_b32_e32 v2, 0
	s_delay_alu instid0(VALU_DEP_2) | instskip(NEXT) | instid1(VALU_DEP_1)
	v_lshrrev_b32_e32 v3, 16, v1
	v_mul_lo_u16 v1, v3, 17
	s_delay_alu instid0(VALU_DEP_1)
	v_sub_nc_u16 v12, v0, v1
	v_mov_b32_e32 v1, 0
	s_waitcnt lgkmcnt(0)
	s_cmp_eq_u32 s4, 1
	s_cselect_b32 vcc_lo, -1, 0
	s_cmp_lg_u32 s4, 1
	s_cselect_b32 s11, -1, 0
	s_ashr_i32 s9, s8, 31
	s_delay_alu instid0(SALU_CYCLE_1) | instskip(NEXT) | instid1(SALU_CYCLE_1)
	s_lshl_b64 s[4:5], s[8:9], 2
	s_add_u32 s6, s6, s4
	s_addc_u32 s7, s7, s5
	s_add_u32 s9, s6, 4
	s_addc_u32 s12, s7, 0
	;; [unrolled: 2-line block ×3, first 2 shown]
	s_cmp_eq_u64 s[2:3], 0
	s_cselect_b32 s3, s12, s5
	s_cselect_b32 s2, s9, s4
	s_load_b32 s12, s[6:7], 0x0
	s_load_b32 s9, s[2:3], 0x0
	s_load_b64 s[2:3], s[0:1], 0x50
	s_waitcnt lgkmcnt(0)
	s_cmp_ge_i32 s12, s9
	s_cbranch_scc1 .LBB384_18
; %bb.11:
	v_mul_lo_u16 v1, v3, 31
	s_clause 0x1
	s_load_b128 s[4:7], s[0:1], 0x30
	s_load_b64 s[0:1], s[0:1], 0x40
	v_and_b32_e32 v5, 0xffff, v12
	s_sub_i32 s12, s12, s10
	v_lshrrev_b16 v1, 9, v1
	s_mul_i32 s14, s12, 0x484
	s_sub_i32 s9, s9, s10
	s_mul_hi_i32 s13, s12, 0x484
	s_delay_alu instid0(VALU_DEP_1) | instskip(NEXT) | instid1(VALU_DEP_1)
	v_mul_lo_u16 v1, v1, 17
	v_sub_nc_u16 v1, v3, v1
	s_delay_alu instid0(VALU_DEP_1)
	v_and_b32_e32 v1, 0xff, v1
	v_and_b32_e32 v2, 0xffff, v0
	s_waitcnt lgkmcnt(0)
	s_add_u32 s6, s6, s14
	s_addc_u32 s7, s7, s13
	v_cndmask_b32_e32 v5, v5, v1, vcc_lo
	v_mul_u32_u24_e32 v6, 0xe3, v2
	v_mov_b32_e32 v2, 0
	v_lshlrev_b32_e32 v4, 2, v0
	s_delay_alu instid0(VALU_DEP_3) | instskip(NEXT) | instid1(VALU_DEP_3)
	v_lshrrev_b32_e32 v13, 16, v6
	v_mov_b32_e32 v1, v2
	s_delay_alu instid0(VALU_DEP_3) | instskip(NEXT) | instid1(VALU_DEP_1)
	v_add_co_u32 v3, s6, s6, v4
	v_add_co_ci_u32_e64 v4, null, s7, 0, s6
	s_set_inst_prefetch_distance 0x1
	s_branch .LBB384_13
	.p2align	6
.LBB384_12:                             ;   in Loop: Header=BB384_13 Depth=1
	s_or_b32 exec_lo, exec_lo, s6
	s_add_i32 s12, s12, 1
	s_delay_alu instid0(SALU_CYCLE_1)
	s_cmp_lt_i32 s12, s9
	s_cbranch_scc0 .LBB384_18
.LBB384_13:                             ; =>This Inner Loop Header: Depth=1
	v_add_nc_u32_e32 v6, s12, v13
	s_mov_b32 s6, exec_lo
	s_delay_alu instid0(VALU_DEP_1)
	v_cmpx_gt_i32_e64 s9, v6
	s_cbranch_execz .LBB384_12
; %bb.14:                               ;   in Loop: Header=BB384_13 Depth=1
	v_ashrrev_i32_e32 v7, 31, v6
	s_delay_alu instid0(VALU_DEP_1) | instskip(NEXT) | instid1(VALU_DEP_1)
	v_lshlrev_b64 v[6:7], 2, v[6:7]
	v_add_co_u32 v6, vcc_lo, s4, v6
	s_delay_alu instid0(VALU_DEP_2) | instskip(SKIP_3) | instid1(VALU_DEP_1)
	v_add_co_ci_u32_e32 v7, vcc_lo, s5, v7, vcc_lo
	global_load_b32 v6, v[6:7], off
	s_waitcnt vmcnt(0)
	v_subrev_nc_u32_e32 v14, s10, v6
	v_mad_u64_u32 v[6:7], null, v14, 17, v[5:6]
	s_delay_alu instid0(VALU_DEP_1) | instskip(NEXT) | instid1(VALU_DEP_1)
	v_ashrrev_i32_e32 v7, 31, v6
	v_lshlrev_b64 v[6:7], 3, v[6:7]
	s_delay_alu instid0(VALU_DEP_1) | instskip(NEXT) | instid1(VALU_DEP_2)
	v_add_co_u32 v6, vcc_lo, s0, v6
	v_add_co_ci_u32_e32 v7, vcc_lo, s1, v7, vcc_lo
	global_load_b32 v14, v[3:4], off
	global_load_b64 v[6:7], v[6:7], off
	v_add_co_u32 v3, vcc_lo, 0x484, v3
	v_add_co_ci_u32_e32 v4, vcc_lo, 0, v4, vcc_lo
	s_waitcnt vmcnt(0)
	v_fmac_f32_e32 v1, v14, v6
	s_delay_alu instid0(VALU_DEP_1) | instskip(NEXT) | instid1(VALU_DEP_1)
	v_dual_fmac_f32 v2, 0, v6 :: v_dual_fmac_f32 v1, 0x80000000, v7
	v_fmac_f32_e32 v2, v14, v7
	s_branch .LBB384_12
.LBB384_15:
	v_dual_mov_b32 v1, s4 :: v_dual_mov_b32 v2, s5
	flat_load_b32 v10, v[1:2]
	v_cndmask_b32_e64 v1, 0, 1, s6
	v_mov_b32_e32 v11, s5
	s_and_not1_b32 vcc_lo, exec_lo, s6
	s_cbranch_vccnz .LBB384_2
.LBB384_16:
	v_dual_mov_b32 v2, s4 :: v_dual_mov_b32 v3, s5
	flat_load_b32 v11, v[2:3] offset:4
	v_cmp_ne_u32_e32 vcc_lo, 1, v1
	v_mov_b32_e32 v8, s2
	s_cbranch_vccnz .LBB384_3
.LBB384_17:
	v_dual_mov_b32 v2, s2 :: v_dual_mov_b32 v3, s3
	flat_load_b32 v8, v[2:3]
	v_cmp_ne_u32_e32 vcc_lo, 1, v1
	v_mov_b32_e32 v9, s3
	s_cbranch_vccz .LBB384_4
	s_branch .LBB384_5
.LBB384_18:
	s_set_inst_prefetch_distance 0x2
	v_lshlrev_b32_e32 v3, 3, v0
	s_and_b32 vcc_lo, exec_lo, s11
	ds_store_b64 v3, v[1:2]
	s_waitcnt lgkmcnt(0)
	s_barrier
	buffer_gl0_inv
	s_cbranch_vccz .LBB384_30
; %bb.19:
	s_mov_b32 s0, exec_lo
	v_cmpx_eq_u16_e32 0, v12
	s_cbranch_execz .LBB384_21
; %bb.20:
	ds_load_2addr_b64 v[4:7], v3 offset1:16
	s_waitcnt lgkmcnt(0)
	v_dual_add_f32 v4, v6, v4 :: v_dual_add_f32 v5, v7, v5
	ds_store_b64 v3, v[4:5]
.LBB384_21:
	s_or_b32 exec_lo, exec_lo, s0
	s_delay_alu instid0(SALU_CYCLE_1)
	s_mov_b32 s0, exec_lo
	s_waitcnt lgkmcnt(0)
	s_barrier
	buffer_gl0_inv
	v_cmpx_gt_u16_e32 8, v12
	s_cbranch_execz .LBB384_23
; %bb.22:
	ds_load_2addr_b64 v[4:7], v3 offset1:8
	s_waitcnt lgkmcnt(0)
	v_dual_add_f32 v4, v6, v4 :: v_dual_add_f32 v5, v7, v5
	ds_store_b64 v3, v[4:5]
.LBB384_23:
	s_or_b32 exec_lo, exec_lo, s0
	s_delay_alu instid0(SALU_CYCLE_1)
	s_mov_b32 s0, exec_lo
	s_waitcnt lgkmcnt(0)
	s_barrier
	buffer_gl0_inv
	v_cmpx_gt_u16_e32 4, v12
	;; [unrolled: 14-line block ×3, first 2 shown]
	s_cbranch_execz .LBB384_27
; %bb.26:
	ds_load_2addr_b64 v[4:7], v3 offset1:2
	s_waitcnt lgkmcnt(0)
	v_dual_add_f32 v4, v6, v4 :: v_dual_add_f32 v5, v7, v5
	ds_store_b64 v3, v[4:5]
.LBB384_27:
	s_or_b32 exec_lo, exec_lo, s0
	s_mov_b32 s0, 0
	s_mov_b32 s1, 0
	s_mov_b32 s4, exec_lo
	s_waitcnt lgkmcnt(0)
	s_barrier
	buffer_gl0_inv
                                        ; implicit-def: $vgpr5
                                        ; implicit-def: $vgpr4
	v_cmpx_gt_u32_e32 17, v0
	s_xor_b32 s4, exec_lo, s4
; %bb.28:
	v_mul_u32_u24_e32 v4, 17, v0
	s_mov_b32 s1, exec_lo
	s_delay_alu instid0(VALU_DEP_1)
	v_lshlrev_b32_e32 v5, 3, v4
	v_mad_u32_u24 v4, v0, 17, 1
; %bb.29:
	s_or_b32 exec_lo, exec_lo, s4
	s_delay_alu instid0(SALU_CYCLE_1)
	s_and_b32 vcc_lo, exec_lo, s0
	v_cmp_gt_u32_e64 s0, 17, v0
	s_cbranch_vccnz .LBB384_31
	s_branch .LBB384_42
.LBB384_30:
	s_mov_b32 s1, 0
                                        ; implicit-def: $vgpr5
                                        ; implicit-def: $vgpr4
	v_cmp_gt_u32_e64 s0, 17, v0
	s_cbranch_execz .LBB384_42
.LBB384_31:
	s_delay_alu instid0(VALU_DEP_1)
	s_and_saveexec_b32 s4, s0
	s_cbranch_execz .LBB384_33
; %bb.32:
	ds_load_b64 v[4:5], v3 offset:2176
	ds_load_b64 v[6:7], v3
	s_waitcnt lgkmcnt(0)
	v_dual_add_f32 v4, v4, v6 :: v_dual_add_f32 v5, v5, v7
	ds_store_b64 v3, v[4:5]
.LBB384_33:
	s_or_b32 exec_lo, exec_lo, s4
	s_delay_alu instid0(SALU_CYCLE_1)
	s_mov_b32 s4, exec_lo
	s_waitcnt lgkmcnt(0)
	s_barrier
	buffer_gl0_inv
	v_cmpx_gt_u32_e32 0x88, v0
	s_cbranch_execz .LBB384_35
; %bb.34:
	ds_load_2addr_b64 v[4:7], v3 offset1:136
	s_waitcnt lgkmcnt(0)
	v_dual_add_f32 v4, v6, v4 :: v_dual_add_f32 v5, v7, v5
	ds_store_b64 v3, v[4:5]
.LBB384_35:
	s_or_b32 exec_lo, exec_lo, s4
	s_delay_alu instid0(SALU_CYCLE_1)
	s_mov_b32 s4, exec_lo
	s_waitcnt lgkmcnt(0)
	s_barrier
	buffer_gl0_inv
	v_cmpx_gt_u32_e32 0x44, v0
	s_cbranch_execz .LBB384_37
; %bb.36:
	ds_load_2addr_b64 v[4:7], v3 offset1:68
	s_waitcnt lgkmcnt(0)
	v_dual_add_f32 v4, v6, v4 :: v_dual_add_f32 v5, v7, v5
	ds_store_b64 v3, v[4:5]
.LBB384_37:
	;; [unrolled: 14-line block ×3, first 2 shown]
	s_or_b32 exec_lo, exec_lo, s4
	s_waitcnt lgkmcnt(0)
	buffer_gl0_inv
                                        ; implicit-def: $vgpr4
	s_and_saveexec_b32 s4, s0
; %bb.40:
	v_add_nc_u32_e32 v4, 17, v0
	s_or_b32 s1, s1, exec_lo
                                        ; implicit-def: $vgpr2
; %bb.41:
	s_or_b32 exec_lo, exec_lo, s4
	v_mov_b32_e32 v5, v3
.LBB384_42:
	s_and_saveexec_b32 s0, s1
	s_cbranch_execnz .LBB384_45
; %bb.43:
	s_or_b32 exec_lo, exec_lo, s0
	v_cmp_gt_u32_e32 vcc_lo, 17, v0
	s_and_b32 exec_lo, exec_lo, vcc_lo
	s_cbranch_execnz .LBB384_46
.LBB384_44:
	s_nop 0
	s_sendmsg sendmsg(MSG_DEALLOC_VGPRS)
	s_endpgm
.LBB384_45:
	v_lshlrev_b32_e32 v3, 3, v4
	ds_load_2addr_b32 v[1:2], v5 offset1:1
	ds_load_b64 v[3:4], v3
	s_waitcnt lgkmcnt(0)
	v_dual_add_f32 v2, v4, v2 :: v_dual_add_f32 v1, v3, v1
	s_or_b32 exec_lo, exec_lo, s0
	v_cmp_gt_u32_e32 vcc_lo, 17, v0
	s_and_b32 exec_lo, exec_lo, vcc_lo
	s_cbranch_execz .LBB384_44
.LBB384_46:
	v_mul_f32_e64 v3, v2, -v11
	v_mul_f32_e32 v4, v2, v10
	v_cmp_eq_f32_e32 vcc_lo, 0, v8
	v_cmp_eq_f32_e64 s0, 0, v9
	s_delay_alu instid0(VALU_DEP_4) | instskip(NEXT) | instid1(VALU_DEP_4)
	v_fmac_f32_e32 v3, v10, v1
	v_fmac_f32_e32 v4, v11, v1
	s_delay_alu instid0(VALU_DEP_3) | instskip(NEXT) | instid1(SALU_CYCLE_1)
	s_and_b32 s0, vcc_lo, s0
	s_and_saveexec_b32 s1, s0
	s_delay_alu instid0(SALU_CYCLE_1)
	s_xor_b32 s0, exec_lo, s1
	s_cbranch_execz .LBB384_48
; %bb.47:
	v_mad_u64_u32 v[1:2], null, s8, 17, v[0:1]
	v_mov_b32_e32 v2, 0
                                        ; implicit-def: $vgpr8
                                        ; implicit-def: $vgpr9
	s_delay_alu instid0(VALU_DEP_1) | instskip(NEXT) | instid1(VALU_DEP_1)
	v_lshlrev_b64 v[0:1], 3, v[1:2]
	v_add_co_u32 v0, vcc_lo, s2, v0
	s_delay_alu instid0(VALU_DEP_2)
	v_add_co_ci_u32_e32 v1, vcc_lo, s3, v1, vcc_lo
	global_store_b64 v[0:1], v[3:4], off
                                        ; implicit-def: $vgpr0
                                        ; implicit-def: $vgpr3
.LBB384_48:
	s_and_not1_saveexec_b32 s0, s0
	s_cbranch_execz .LBB384_44
; %bb.49:
	v_mad_u64_u32 v[1:2], null, s8, 17, v[0:1]
	v_mov_b32_e32 v2, 0
	s_delay_alu instid0(VALU_DEP_1) | instskip(NEXT) | instid1(VALU_DEP_1)
	v_lshlrev_b64 v[0:1], 3, v[1:2]
	v_add_co_u32 v0, vcc_lo, s2, v0
	s_delay_alu instid0(VALU_DEP_2) | instskip(SKIP_4) | instid1(VALU_DEP_2)
	v_add_co_ci_u32_e32 v1, vcc_lo, s3, v1, vcc_lo
	global_load_b64 v[5:6], v[0:1], off
	s_waitcnt vmcnt(0)
	v_fmac_f32_e32 v3, v8, v5
	v_fmac_f32_e32 v4, v9, v5
	v_fma_f32 v3, -v9, v6, v3
	s_delay_alu instid0(VALU_DEP_2)
	v_fmac_f32_e32 v4, v8, v6
	global_store_b64 v[0:1], v[3:4], off
	s_nop 0
	s_sendmsg sendmsg(MSG_DEALLOC_VGPRS)
	s_endpgm
	.section	.rodata,"a",@progbits
	.p2align	6, 0x0
	.amdhsa_kernel _ZN9rocsparseL20bsrxmvn_17_32_kernelILj17E21rocsparse_complex_numIfEiifS2_S2_EEvT2_20rocsparse_direction_NS_24const_host_device_scalarIT0_EES3_PKS3_PKT1_SC_S9_PKT3_PKT4_S7_PT5_21rocsparse_index_base_b
		.amdhsa_group_segment_fixed_size 2312
		.amdhsa_private_segment_fixed_size 0
		.amdhsa_kernarg_size 96
		.amdhsa_user_sgpr_count 15
		.amdhsa_user_sgpr_dispatch_ptr 0
		.amdhsa_user_sgpr_queue_ptr 0
		.amdhsa_user_sgpr_kernarg_segment_ptr 1
		.amdhsa_user_sgpr_dispatch_id 0
		.amdhsa_user_sgpr_private_segment_size 0
		.amdhsa_wavefront_size32 1
		.amdhsa_uses_dynamic_stack 0
		.amdhsa_enable_private_segment 0
		.amdhsa_system_sgpr_workgroup_id_x 1
		.amdhsa_system_sgpr_workgroup_id_y 0
		.amdhsa_system_sgpr_workgroup_id_z 0
		.amdhsa_system_sgpr_workgroup_info 0
		.amdhsa_system_vgpr_workitem_id 0
		.amdhsa_next_free_vgpr 15
		.amdhsa_next_free_sgpr 16
		.amdhsa_reserve_vcc 1
		.amdhsa_float_round_mode_32 0
		.amdhsa_float_round_mode_16_64 0
		.amdhsa_float_denorm_mode_32 3
		.amdhsa_float_denorm_mode_16_64 3
		.amdhsa_dx10_clamp 1
		.amdhsa_ieee_mode 1
		.amdhsa_fp16_overflow 0
		.amdhsa_workgroup_processor_mode 1
		.amdhsa_memory_ordered 1
		.amdhsa_forward_progress 0
		.amdhsa_shared_vgpr_count 0
		.amdhsa_exception_fp_ieee_invalid_op 0
		.amdhsa_exception_fp_denorm_src 0
		.amdhsa_exception_fp_ieee_div_zero 0
		.amdhsa_exception_fp_ieee_overflow 0
		.amdhsa_exception_fp_ieee_underflow 0
		.amdhsa_exception_fp_ieee_inexact 0
		.amdhsa_exception_int_div_zero 0
	.end_amdhsa_kernel
	.section	.text._ZN9rocsparseL20bsrxmvn_17_32_kernelILj17E21rocsparse_complex_numIfEiifS2_S2_EEvT2_20rocsparse_direction_NS_24const_host_device_scalarIT0_EES3_PKS3_PKT1_SC_S9_PKT3_PKT4_S7_PT5_21rocsparse_index_base_b,"axG",@progbits,_ZN9rocsparseL20bsrxmvn_17_32_kernelILj17E21rocsparse_complex_numIfEiifS2_S2_EEvT2_20rocsparse_direction_NS_24const_host_device_scalarIT0_EES3_PKS3_PKT1_SC_S9_PKT3_PKT4_S7_PT5_21rocsparse_index_base_b,comdat
.Lfunc_end384:
	.size	_ZN9rocsparseL20bsrxmvn_17_32_kernelILj17E21rocsparse_complex_numIfEiifS2_S2_EEvT2_20rocsparse_direction_NS_24const_host_device_scalarIT0_EES3_PKS3_PKT1_SC_S9_PKT3_PKT4_S7_PT5_21rocsparse_index_base_b, .Lfunc_end384-_ZN9rocsparseL20bsrxmvn_17_32_kernelILj17E21rocsparse_complex_numIfEiifS2_S2_EEvT2_20rocsparse_direction_NS_24const_host_device_scalarIT0_EES3_PKS3_PKT1_SC_S9_PKT3_PKT4_S7_PT5_21rocsparse_index_base_b
                                        ; -- End function
	.section	.AMDGPU.csdata,"",@progbits
; Kernel info:
; codeLenInByte = 1852
; NumSgprs: 18
; NumVgprs: 15
; ScratchSize: 0
; MemoryBound: 0
; FloatMode: 240
; IeeeMode: 1
; LDSByteSize: 2312 bytes/workgroup (compile time only)
; SGPRBlocks: 2
; VGPRBlocks: 1
; NumSGPRsForWavesPerEU: 18
; NumVGPRsForWavesPerEU: 15
; Occupancy: 15
; WaveLimiterHint : 1
; COMPUTE_PGM_RSRC2:SCRATCH_EN: 0
; COMPUTE_PGM_RSRC2:USER_SGPR: 15
; COMPUTE_PGM_RSRC2:TRAP_HANDLER: 0
; COMPUTE_PGM_RSRC2:TGID_X_EN: 1
; COMPUTE_PGM_RSRC2:TGID_Y_EN: 0
; COMPUTE_PGM_RSRC2:TGID_Z_EN: 0
; COMPUTE_PGM_RSRC2:TIDIG_COMP_CNT: 0
	.section	.text._ZN9rocsparseL20bsrxmvn_17_32_kernelILj18E21rocsparse_complex_numIfEiifS2_S2_EEvT2_20rocsparse_direction_NS_24const_host_device_scalarIT0_EES3_PKS3_PKT1_SC_S9_PKT3_PKT4_S7_PT5_21rocsparse_index_base_b,"axG",@progbits,_ZN9rocsparseL20bsrxmvn_17_32_kernelILj18E21rocsparse_complex_numIfEiifS2_S2_EEvT2_20rocsparse_direction_NS_24const_host_device_scalarIT0_EES3_PKS3_PKT1_SC_S9_PKT3_PKT4_S7_PT5_21rocsparse_index_base_b,comdat
	.globl	_ZN9rocsparseL20bsrxmvn_17_32_kernelILj18E21rocsparse_complex_numIfEiifS2_S2_EEvT2_20rocsparse_direction_NS_24const_host_device_scalarIT0_EES3_PKS3_PKT1_SC_S9_PKT3_PKT4_S7_PT5_21rocsparse_index_base_b ; -- Begin function _ZN9rocsparseL20bsrxmvn_17_32_kernelILj18E21rocsparse_complex_numIfEiifS2_S2_EEvT2_20rocsparse_direction_NS_24const_host_device_scalarIT0_EES3_PKS3_PKT1_SC_S9_PKT3_PKT4_S7_PT5_21rocsparse_index_base_b
	.p2align	8
	.type	_ZN9rocsparseL20bsrxmvn_17_32_kernelILj18E21rocsparse_complex_numIfEiifS2_S2_EEvT2_20rocsparse_direction_NS_24const_host_device_scalarIT0_EES3_PKS3_PKT1_SC_S9_PKT3_PKT4_S7_PT5_21rocsparse_index_base_b,@function
_ZN9rocsparseL20bsrxmvn_17_32_kernelILj18E21rocsparse_complex_numIfEiifS2_S2_EEvT2_20rocsparse_direction_NS_24const_host_device_scalarIT0_EES3_PKS3_PKT1_SC_S9_PKT3_PKT4_S7_PT5_21rocsparse_index_base_b: ; @_ZN9rocsparseL20bsrxmvn_17_32_kernelILj18E21rocsparse_complex_numIfEiifS2_S2_EEvT2_20rocsparse_direction_NS_24const_host_device_scalarIT0_EES3_PKS3_PKT1_SC_S9_PKT3_PKT4_S7_PT5_21rocsparse_index_base_b
; %bb.0:
	s_clause 0x2
	s_load_b64 s[10:11], s[0:1], 0x58
	s_load_b64 s[4:5], s[0:1], 0x8
	;; [unrolled: 1-line block ×3, first 2 shown]
	s_mov_b32 s8, s15
	s_waitcnt lgkmcnt(0)
	s_bitcmp1_b32 s11, 0
	v_mov_b32_e32 v10, s4
	s_cselect_b32 s6, -1, 0
	s_delay_alu instid0(SALU_CYCLE_1)
	s_and_b32 vcc_lo, exec_lo, s6
	s_xor_b32 s6, s6, -1
	s_cbranch_vccz .LBB385_15
; %bb.1:
	v_cndmask_b32_e64 v1, 0, 1, s6
	v_mov_b32_e32 v11, s5
	s_and_not1_b32 vcc_lo, exec_lo, s6
	s_cbranch_vccz .LBB385_16
.LBB385_2:
	s_delay_alu instid0(VALU_DEP_2)
	v_cmp_ne_u32_e32 vcc_lo, 1, v1
	v_mov_b32_e32 v8, s2
	s_cbranch_vccz .LBB385_17
.LBB385_3:
	v_cmp_ne_u32_e32 vcc_lo, 1, v1
	v_mov_b32_e32 v9, s3
	s_cbranch_vccnz .LBB385_5
.LBB385_4:
	v_dual_mov_b32 v1, s2 :: v_dual_mov_b32 v2, s3
	flat_load_b32 v9, v[1:2] offset:4
.LBB385_5:
	s_waitcnt vmcnt(0) lgkmcnt(0)
	v_cmp_eq_f32_e32 vcc_lo, 0, v10
	v_cmp_eq_f32_e64 s2, 0, v11
	s_delay_alu instid0(VALU_DEP_1)
	s_and_b32 s4, vcc_lo, s2
	s_mov_b32 s2, -1
	s_and_saveexec_b32 s3, s4
; %bb.6:
	v_cmp_neq_f32_e32 vcc_lo, 1.0, v8
	v_cmp_neq_f32_e64 s2, 0, v9
	s_delay_alu instid0(VALU_DEP_1) | instskip(NEXT) | instid1(SALU_CYCLE_1)
	s_or_b32 s2, vcc_lo, s2
	s_or_not1_b32 s2, s2, exec_lo
; %bb.7:
	s_or_b32 exec_lo, exec_lo, s3
	s_and_saveexec_b32 s3, s2
	s_cbranch_execz .LBB385_44
; %bb.8:
	s_clause 0x1
	s_load_b128 s[4:7], s[0:1], 0x18
	s_load_b64 s[2:3], s[0:1], 0x28
	s_waitcnt lgkmcnt(0)
	s_cmp_eq_u64 s[4:5], 0
	s_cbranch_scc1 .LBB385_10
; %bb.9:
	s_ashr_i32 s9, s8, 31
	s_delay_alu instid0(SALU_CYCLE_1) | instskip(NEXT) | instid1(SALU_CYCLE_1)
	s_lshl_b64 s[8:9], s[8:9], 2
	s_add_u32 s4, s4, s8
	s_addc_u32 s5, s5, s9
	s_load_b32 s4, s[4:5], 0x0
	s_waitcnt lgkmcnt(0)
	s_sub_i32 s8, s4, s10
.LBB385_10:
	s_load_b32 s4, s[0:1], 0x4
	v_mul_u32_u24_e32 v1, 0xe39, v0
	v_mov_b32_e32 v2, 0
	s_delay_alu instid0(VALU_DEP_2) | instskip(NEXT) | instid1(VALU_DEP_1)
	v_lshrrev_b32_e32 v3, 16, v1
	v_mul_lo_u16 v1, v3, 18
	s_delay_alu instid0(VALU_DEP_1)
	v_sub_nc_u16 v12, v0, v1
	v_mov_b32_e32 v1, 0
	s_waitcnt lgkmcnt(0)
	s_cmp_eq_u32 s4, 1
	s_cselect_b32 vcc_lo, -1, 0
	s_cmp_lg_u32 s4, 1
	s_cselect_b32 s11, -1, 0
	s_ashr_i32 s9, s8, 31
	s_delay_alu instid0(SALU_CYCLE_1) | instskip(NEXT) | instid1(SALU_CYCLE_1)
	s_lshl_b64 s[4:5], s[8:9], 2
	s_add_u32 s6, s6, s4
	s_addc_u32 s7, s7, s5
	s_add_u32 s9, s6, 4
	s_addc_u32 s12, s7, 0
	;; [unrolled: 2-line block ×3, first 2 shown]
	s_cmp_eq_u64 s[2:3], 0
	s_cselect_b32 s3, s12, s5
	s_cselect_b32 s2, s9, s4
	s_load_b32 s12, s[6:7], 0x0
	s_load_b32 s9, s[2:3], 0x0
	s_load_b64 s[2:3], s[0:1], 0x50
	s_waitcnt lgkmcnt(0)
	s_cmp_ge_i32 s12, s9
	s_cbranch_scc1 .LBB385_18
; %bb.11:
	v_mul_lo_u16 v1, v3, 15
	s_clause 0x1
	s_load_b128 s[4:7], s[0:1], 0x30
	s_load_b64 s[0:1], s[0:1], 0x40
	v_and_b32_e32 v5, 0xffff, v12
	s_sub_i32 s12, s12, s10
	v_lshrrev_b16 v1, 8, v1
	s_mul_i32 s14, s12, 0x510
	s_sub_i32 s9, s9, s10
	s_mul_hi_i32 s13, s12, 0x510
	s_delay_alu instid0(VALU_DEP_1) | instskip(NEXT) | instid1(VALU_DEP_1)
	v_mul_lo_u16 v1, v1, 18
	v_sub_nc_u16 v1, v3, v1
	s_delay_alu instid0(VALU_DEP_1)
	v_and_b32_e32 v1, 0xff, v1
	v_and_b32_e32 v2, 0xffff, v0
	s_waitcnt lgkmcnt(0)
	s_add_u32 s6, s6, s14
	s_addc_u32 s7, s7, s13
	v_cndmask_b32_e32 v5, v5, v1, vcc_lo
	v_mul_u32_u24_e32 v6, 0x195, v2
	v_mov_b32_e32 v2, 0
	v_lshlrev_b32_e32 v4, 2, v0
	s_delay_alu instid0(VALU_DEP_3) | instskip(NEXT) | instid1(VALU_DEP_3)
	v_lshrrev_b32_e32 v13, 17, v6
	v_mov_b32_e32 v1, v2
	s_delay_alu instid0(VALU_DEP_3) | instskip(NEXT) | instid1(VALU_DEP_1)
	v_add_co_u32 v3, s6, s6, v4
	v_add_co_ci_u32_e64 v4, null, s7, 0, s6
	s_set_inst_prefetch_distance 0x1
	s_branch .LBB385_13
	.p2align	6
.LBB385_12:                             ;   in Loop: Header=BB385_13 Depth=1
	s_or_b32 exec_lo, exec_lo, s6
	s_add_i32 s12, s12, 1
	s_delay_alu instid0(SALU_CYCLE_1)
	s_cmp_lt_i32 s12, s9
	s_cbranch_scc0 .LBB385_18
.LBB385_13:                             ; =>This Inner Loop Header: Depth=1
	v_add_nc_u32_e32 v6, s12, v13
	s_mov_b32 s6, exec_lo
	s_delay_alu instid0(VALU_DEP_1)
	v_cmpx_gt_i32_e64 s9, v6
	s_cbranch_execz .LBB385_12
; %bb.14:                               ;   in Loop: Header=BB385_13 Depth=1
	v_ashrrev_i32_e32 v7, 31, v6
	s_delay_alu instid0(VALU_DEP_1) | instskip(NEXT) | instid1(VALU_DEP_1)
	v_lshlrev_b64 v[6:7], 2, v[6:7]
	v_add_co_u32 v6, vcc_lo, s4, v6
	s_delay_alu instid0(VALU_DEP_2) | instskip(SKIP_3) | instid1(VALU_DEP_1)
	v_add_co_ci_u32_e32 v7, vcc_lo, s5, v7, vcc_lo
	global_load_b32 v6, v[6:7], off
	s_waitcnt vmcnt(0)
	v_subrev_nc_u32_e32 v14, s10, v6
	v_mad_u64_u32 v[6:7], null, v14, 18, v[5:6]
	s_delay_alu instid0(VALU_DEP_1) | instskip(NEXT) | instid1(VALU_DEP_1)
	v_ashrrev_i32_e32 v7, 31, v6
	v_lshlrev_b64 v[6:7], 3, v[6:7]
	s_delay_alu instid0(VALU_DEP_1) | instskip(NEXT) | instid1(VALU_DEP_2)
	v_add_co_u32 v6, vcc_lo, s0, v6
	v_add_co_ci_u32_e32 v7, vcc_lo, s1, v7, vcc_lo
	global_load_b32 v14, v[3:4], off
	global_load_b64 v[6:7], v[6:7], off
	v_add_co_u32 v3, vcc_lo, 0x510, v3
	v_add_co_ci_u32_e32 v4, vcc_lo, 0, v4, vcc_lo
	s_waitcnt vmcnt(0)
	v_fmac_f32_e32 v1, v14, v6
	s_delay_alu instid0(VALU_DEP_1) | instskip(NEXT) | instid1(VALU_DEP_1)
	v_dual_fmac_f32 v2, 0, v6 :: v_dual_fmac_f32 v1, 0x80000000, v7
	v_fmac_f32_e32 v2, v14, v7
	s_branch .LBB385_12
.LBB385_15:
	v_dual_mov_b32 v1, s4 :: v_dual_mov_b32 v2, s5
	flat_load_b32 v10, v[1:2]
	v_cndmask_b32_e64 v1, 0, 1, s6
	v_mov_b32_e32 v11, s5
	s_and_not1_b32 vcc_lo, exec_lo, s6
	s_cbranch_vccnz .LBB385_2
.LBB385_16:
	v_dual_mov_b32 v2, s4 :: v_dual_mov_b32 v3, s5
	flat_load_b32 v11, v[2:3] offset:4
	v_cmp_ne_u32_e32 vcc_lo, 1, v1
	v_mov_b32_e32 v8, s2
	s_cbranch_vccnz .LBB385_3
.LBB385_17:
	v_dual_mov_b32 v2, s2 :: v_dual_mov_b32 v3, s3
	flat_load_b32 v8, v[2:3]
	v_cmp_ne_u32_e32 vcc_lo, 1, v1
	v_mov_b32_e32 v9, s3
	s_cbranch_vccz .LBB385_4
	s_branch .LBB385_5
.LBB385_18:
	s_set_inst_prefetch_distance 0x2
	v_lshlrev_b32_e32 v3, 3, v0
	s_and_b32 vcc_lo, exec_lo, s11
	ds_store_b64 v3, v[1:2]
	s_waitcnt lgkmcnt(0)
	s_barrier
	buffer_gl0_inv
	s_cbranch_vccz .LBB385_30
; %bb.19:
	v_cmp_gt_u16_e32 vcc_lo, 2, v12
	s_and_saveexec_b32 s0, vcc_lo
	s_cbranch_execz .LBB385_21
; %bb.20:
	ds_load_2addr_b64 v[4:7], v3 offset1:16
	s_waitcnt lgkmcnt(0)
	v_dual_add_f32 v4, v6, v4 :: v_dual_add_f32 v5, v7, v5
	ds_store_b64 v3, v[4:5]
.LBB385_21:
	s_or_b32 exec_lo, exec_lo, s0
	s_delay_alu instid0(SALU_CYCLE_1)
	s_mov_b32 s1, exec_lo
	s_waitcnt lgkmcnt(0)
	s_barrier
	buffer_gl0_inv
	v_cmpx_gt_u16_e32 8, v12
	s_cbranch_execz .LBB385_23
; %bb.22:
	ds_load_2addr_b64 v[4:7], v3 offset1:8
	s_waitcnt lgkmcnt(0)
	v_dual_add_f32 v4, v6, v4 :: v_dual_add_f32 v5, v7, v5
	ds_store_b64 v3, v[4:5]
.LBB385_23:
	s_or_b32 exec_lo, exec_lo, s1
	s_delay_alu instid0(SALU_CYCLE_1)
	s_mov_b32 s1, exec_lo
	s_waitcnt lgkmcnt(0)
	s_barrier
	buffer_gl0_inv
	v_cmpx_gt_u16_e32 4, v12
	s_cbranch_execz .LBB385_25
; %bb.24:
	ds_load_2addr_b64 v[4:7], v3 offset1:4
	s_waitcnt lgkmcnt(0)
	v_dual_add_f32 v4, v6, v4 :: v_dual_add_f32 v5, v7, v5
	ds_store_b64 v3, v[4:5]
.LBB385_25:
	s_or_b32 exec_lo, exec_lo, s1
	s_waitcnt lgkmcnt(0)
	s_barrier
	buffer_gl0_inv
	s_and_saveexec_b32 s0, vcc_lo
	s_cbranch_execz .LBB385_27
; %bb.26:
	ds_load_2addr_b64 v[4:7], v3 offset1:2
	s_waitcnt lgkmcnt(0)
	v_dual_add_f32 v4, v6, v4 :: v_dual_add_f32 v5, v7, v5
	ds_store_b64 v3, v[4:5]
.LBB385_27:
	s_or_b32 exec_lo, exec_lo, s0
	s_mov_b32 s0, 0
	s_mov_b32 s1, 0
	s_mov_b32 s4, exec_lo
	s_waitcnt lgkmcnt(0)
	s_barrier
	buffer_gl0_inv
                                        ; implicit-def: $vgpr5
                                        ; implicit-def: $vgpr4
	v_cmpx_gt_u32_e32 18, v0
	s_xor_b32 s4, exec_lo, s4
; %bb.28:
	v_mul_u32_u24_e32 v4, 18, v0
	s_mov_b32 s1, exec_lo
	s_delay_alu instid0(VALU_DEP_1)
	v_lshlrev_b32_e32 v5, 3, v4
	v_or_b32_e32 v4, 1, v4
; %bb.29:
	s_or_b32 exec_lo, exec_lo, s4
	s_delay_alu instid0(SALU_CYCLE_1)
	s_and_b32 vcc_lo, exec_lo, s0
	s_cbranch_vccnz .LBB385_31
	s_branch .LBB385_42
.LBB385_30:
	s_mov_b32 s1, 0
                                        ; implicit-def: $vgpr5
                                        ; implicit-def: $vgpr4
	s_cbranch_execz .LBB385_42
.LBB385_31:
	v_cmp_gt_u32_e32 vcc_lo, 36, v0
	s_and_saveexec_b32 s0, vcc_lo
	s_cbranch_execz .LBB385_33
; %bb.32:
	ds_load_b64 v[4:5], v3 offset:2304
	ds_load_b64 v[6:7], v3
	s_waitcnt lgkmcnt(0)
	v_dual_add_f32 v4, v4, v6 :: v_dual_add_f32 v5, v5, v7
	ds_store_b64 v3, v[4:5]
.LBB385_33:
	s_or_b32 exec_lo, exec_lo, s0
	s_delay_alu instid0(SALU_CYCLE_1)
	s_mov_b32 s4, exec_lo
	s_waitcnt lgkmcnt(0)
	s_barrier
	buffer_gl0_inv
	v_cmpx_gt_u32_e32 0x90, v0
	s_cbranch_execz .LBB385_35
; %bb.34:
	ds_load_2addr_b64 v[4:7], v3 offset1:144
	s_waitcnt lgkmcnt(0)
	v_dual_add_f32 v4, v6, v4 :: v_dual_add_f32 v5, v7, v5
	ds_store_b64 v3, v[4:5]
.LBB385_35:
	s_or_b32 exec_lo, exec_lo, s4
	s_delay_alu instid0(SALU_CYCLE_1)
	s_mov_b32 s4, exec_lo
	s_waitcnt lgkmcnt(0)
	s_barrier
	buffer_gl0_inv
	v_cmpx_gt_u32_e32 0x48, v0
	s_cbranch_execz .LBB385_37
; %bb.36:
	ds_load_2addr_b64 v[4:7], v3 offset1:72
	s_waitcnt lgkmcnt(0)
	v_dual_add_f32 v4, v6, v4 :: v_dual_add_f32 v5, v7, v5
	ds_store_b64 v3, v[4:5]
.LBB385_37:
	s_or_b32 exec_lo, exec_lo, s4
	s_waitcnt lgkmcnt(0)
	s_barrier
	buffer_gl0_inv
	s_and_saveexec_b32 s0, vcc_lo
	s_cbranch_execz .LBB385_39
; %bb.38:
	ds_load_2addr_b64 v[4:7], v3 offset1:36
	s_waitcnt lgkmcnt(0)
	v_dual_add_f32 v4, v6, v4 :: v_dual_add_f32 v5, v7, v5
	ds_store_b64 v3, v[4:5]
.LBB385_39:
	s_or_b32 exec_lo, exec_lo, s0
	s_delay_alu instid0(SALU_CYCLE_1)
	s_mov_b32 s0, exec_lo
	s_waitcnt lgkmcnt(0)
	buffer_gl0_inv
                                        ; implicit-def: $vgpr4
	v_cmpx_gt_u32_e32 18, v0
; %bb.40:
	v_add_nc_u32_e32 v4, 18, v0
	s_or_b32 s1, s1, exec_lo
                                        ; implicit-def: $vgpr2
; %bb.41:
	s_or_b32 exec_lo, exec_lo, s0
	v_mov_b32_e32 v5, v3
.LBB385_42:
	s_and_saveexec_b32 s0, s1
	s_cbranch_execnz .LBB385_45
; %bb.43:
	s_or_b32 exec_lo, exec_lo, s0
	v_cmp_gt_u32_e32 vcc_lo, 18, v0
	s_and_b32 exec_lo, exec_lo, vcc_lo
	s_cbranch_execnz .LBB385_46
.LBB385_44:
	s_nop 0
	s_sendmsg sendmsg(MSG_DEALLOC_VGPRS)
	s_endpgm
.LBB385_45:
	v_lshlrev_b32_e32 v3, 3, v4
	ds_load_2addr_b32 v[1:2], v5 offset1:1
	ds_load_b64 v[3:4], v3
	s_waitcnt lgkmcnt(0)
	v_dual_add_f32 v2, v4, v2 :: v_dual_add_f32 v1, v3, v1
	s_or_b32 exec_lo, exec_lo, s0
	v_cmp_gt_u32_e32 vcc_lo, 18, v0
	s_and_b32 exec_lo, exec_lo, vcc_lo
	s_cbranch_execz .LBB385_44
.LBB385_46:
	v_mul_f32_e64 v3, v2, -v11
	v_mul_f32_e32 v4, v2, v10
	v_cmp_eq_f32_e32 vcc_lo, 0, v8
	v_cmp_eq_f32_e64 s0, 0, v9
	s_delay_alu instid0(VALU_DEP_4) | instskip(NEXT) | instid1(VALU_DEP_4)
	v_fmac_f32_e32 v3, v10, v1
	v_fmac_f32_e32 v4, v11, v1
	s_delay_alu instid0(VALU_DEP_3) | instskip(NEXT) | instid1(SALU_CYCLE_1)
	s_and_b32 s0, vcc_lo, s0
	s_and_saveexec_b32 s1, s0
	s_delay_alu instid0(SALU_CYCLE_1)
	s_xor_b32 s0, exec_lo, s1
	s_cbranch_execz .LBB385_48
; %bb.47:
	v_mad_u64_u32 v[1:2], null, s8, 18, v[0:1]
	v_mov_b32_e32 v2, 0
                                        ; implicit-def: $vgpr8
                                        ; implicit-def: $vgpr9
	s_delay_alu instid0(VALU_DEP_1) | instskip(NEXT) | instid1(VALU_DEP_1)
	v_lshlrev_b64 v[0:1], 3, v[1:2]
	v_add_co_u32 v0, vcc_lo, s2, v0
	s_delay_alu instid0(VALU_DEP_2)
	v_add_co_ci_u32_e32 v1, vcc_lo, s3, v1, vcc_lo
	global_store_b64 v[0:1], v[3:4], off
                                        ; implicit-def: $vgpr0
                                        ; implicit-def: $vgpr3
.LBB385_48:
	s_and_not1_saveexec_b32 s0, s0
	s_cbranch_execz .LBB385_44
; %bb.49:
	v_mad_u64_u32 v[1:2], null, s8, 18, v[0:1]
	v_mov_b32_e32 v2, 0
	s_delay_alu instid0(VALU_DEP_1) | instskip(NEXT) | instid1(VALU_DEP_1)
	v_lshlrev_b64 v[0:1], 3, v[1:2]
	v_add_co_u32 v0, vcc_lo, s2, v0
	s_delay_alu instid0(VALU_DEP_2) | instskip(SKIP_4) | instid1(VALU_DEP_2)
	v_add_co_ci_u32_e32 v1, vcc_lo, s3, v1, vcc_lo
	global_load_b64 v[5:6], v[0:1], off
	s_waitcnt vmcnt(0)
	v_fmac_f32_e32 v3, v8, v5
	v_fmac_f32_e32 v4, v9, v5
	v_fma_f32 v3, -v9, v6, v3
	s_delay_alu instid0(VALU_DEP_2)
	v_fmac_f32_e32 v4, v8, v6
	global_store_b64 v[0:1], v[3:4], off
	s_nop 0
	s_sendmsg sendmsg(MSG_DEALLOC_VGPRS)
	s_endpgm
	.section	.rodata,"a",@progbits
	.p2align	6, 0x0
	.amdhsa_kernel _ZN9rocsparseL20bsrxmvn_17_32_kernelILj18E21rocsparse_complex_numIfEiifS2_S2_EEvT2_20rocsparse_direction_NS_24const_host_device_scalarIT0_EES3_PKS3_PKT1_SC_S9_PKT3_PKT4_S7_PT5_21rocsparse_index_base_b
		.amdhsa_group_segment_fixed_size 2592
		.amdhsa_private_segment_fixed_size 0
		.amdhsa_kernarg_size 96
		.amdhsa_user_sgpr_count 15
		.amdhsa_user_sgpr_dispatch_ptr 0
		.amdhsa_user_sgpr_queue_ptr 0
		.amdhsa_user_sgpr_kernarg_segment_ptr 1
		.amdhsa_user_sgpr_dispatch_id 0
		.amdhsa_user_sgpr_private_segment_size 0
		.amdhsa_wavefront_size32 1
		.amdhsa_uses_dynamic_stack 0
		.amdhsa_enable_private_segment 0
		.amdhsa_system_sgpr_workgroup_id_x 1
		.amdhsa_system_sgpr_workgroup_id_y 0
		.amdhsa_system_sgpr_workgroup_id_z 0
		.amdhsa_system_sgpr_workgroup_info 0
		.amdhsa_system_vgpr_workitem_id 0
		.amdhsa_next_free_vgpr 15
		.amdhsa_next_free_sgpr 16
		.amdhsa_reserve_vcc 1
		.amdhsa_float_round_mode_32 0
		.amdhsa_float_round_mode_16_64 0
		.amdhsa_float_denorm_mode_32 3
		.amdhsa_float_denorm_mode_16_64 3
		.amdhsa_dx10_clamp 1
		.amdhsa_ieee_mode 1
		.amdhsa_fp16_overflow 0
		.amdhsa_workgroup_processor_mode 1
		.amdhsa_memory_ordered 1
		.amdhsa_forward_progress 0
		.amdhsa_shared_vgpr_count 0
		.amdhsa_exception_fp_ieee_invalid_op 0
		.amdhsa_exception_fp_denorm_src 0
		.amdhsa_exception_fp_ieee_div_zero 0
		.amdhsa_exception_fp_ieee_overflow 0
		.amdhsa_exception_fp_ieee_underflow 0
		.amdhsa_exception_fp_ieee_inexact 0
		.amdhsa_exception_int_div_zero 0
	.end_amdhsa_kernel
	.section	.text._ZN9rocsparseL20bsrxmvn_17_32_kernelILj18E21rocsparse_complex_numIfEiifS2_S2_EEvT2_20rocsparse_direction_NS_24const_host_device_scalarIT0_EES3_PKS3_PKT1_SC_S9_PKT3_PKT4_S7_PT5_21rocsparse_index_base_b,"axG",@progbits,_ZN9rocsparseL20bsrxmvn_17_32_kernelILj18E21rocsparse_complex_numIfEiifS2_S2_EEvT2_20rocsparse_direction_NS_24const_host_device_scalarIT0_EES3_PKS3_PKT1_SC_S9_PKT3_PKT4_S7_PT5_21rocsparse_index_base_b,comdat
.Lfunc_end385:
	.size	_ZN9rocsparseL20bsrxmvn_17_32_kernelILj18E21rocsparse_complex_numIfEiifS2_S2_EEvT2_20rocsparse_direction_NS_24const_host_device_scalarIT0_EES3_PKS3_PKT1_SC_S9_PKT3_PKT4_S7_PT5_21rocsparse_index_base_b, .Lfunc_end385-_ZN9rocsparseL20bsrxmvn_17_32_kernelILj18E21rocsparse_complex_numIfEiifS2_S2_EEvT2_20rocsparse_direction_NS_24const_host_device_scalarIT0_EES3_PKS3_PKT1_SC_S9_PKT3_PKT4_S7_PT5_21rocsparse_index_base_b
                                        ; -- End function
	.section	.AMDGPU.csdata,"",@progbits
; Kernel info:
; codeLenInByte = 1824
; NumSgprs: 18
; NumVgprs: 15
; ScratchSize: 0
; MemoryBound: 0
; FloatMode: 240
; IeeeMode: 1
; LDSByteSize: 2592 bytes/workgroup (compile time only)
; SGPRBlocks: 2
; VGPRBlocks: 1
; NumSGPRsForWavesPerEU: 18
; NumVGPRsForWavesPerEU: 15
; Occupancy: 14
; WaveLimiterHint : 1
; COMPUTE_PGM_RSRC2:SCRATCH_EN: 0
; COMPUTE_PGM_RSRC2:USER_SGPR: 15
; COMPUTE_PGM_RSRC2:TRAP_HANDLER: 0
; COMPUTE_PGM_RSRC2:TGID_X_EN: 1
; COMPUTE_PGM_RSRC2:TGID_Y_EN: 0
; COMPUTE_PGM_RSRC2:TGID_Z_EN: 0
; COMPUTE_PGM_RSRC2:TIDIG_COMP_CNT: 0
	.section	.text._ZN9rocsparseL20bsrxmvn_17_32_kernelILj19E21rocsparse_complex_numIfEiifS2_S2_EEvT2_20rocsparse_direction_NS_24const_host_device_scalarIT0_EES3_PKS3_PKT1_SC_S9_PKT3_PKT4_S7_PT5_21rocsparse_index_base_b,"axG",@progbits,_ZN9rocsparseL20bsrxmvn_17_32_kernelILj19E21rocsparse_complex_numIfEiifS2_S2_EEvT2_20rocsparse_direction_NS_24const_host_device_scalarIT0_EES3_PKS3_PKT1_SC_S9_PKT3_PKT4_S7_PT5_21rocsparse_index_base_b,comdat
	.globl	_ZN9rocsparseL20bsrxmvn_17_32_kernelILj19E21rocsparse_complex_numIfEiifS2_S2_EEvT2_20rocsparse_direction_NS_24const_host_device_scalarIT0_EES3_PKS3_PKT1_SC_S9_PKT3_PKT4_S7_PT5_21rocsparse_index_base_b ; -- Begin function _ZN9rocsparseL20bsrxmvn_17_32_kernelILj19E21rocsparse_complex_numIfEiifS2_S2_EEvT2_20rocsparse_direction_NS_24const_host_device_scalarIT0_EES3_PKS3_PKT1_SC_S9_PKT3_PKT4_S7_PT5_21rocsparse_index_base_b
	.p2align	8
	.type	_ZN9rocsparseL20bsrxmvn_17_32_kernelILj19E21rocsparse_complex_numIfEiifS2_S2_EEvT2_20rocsparse_direction_NS_24const_host_device_scalarIT0_EES3_PKS3_PKT1_SC_S9_PKT3_PKT4_S7_PT5_21rocsparse_index_base_b,@function
_ZN9rocsparseL20bsrxmvn_17_32_kernelILj19E21rocsparse_complex_numIfEiifS2_S2_EEvT2_20rocsparse_direction_NS_24const_host_device_scalarIT0_EES3_PKS3_PKT1_SC_S9_PKT3_PKT4_S7_PT5_21rocsparse_index_base_b: ; @_ZN9rocsparseL20bsrxmvn_17_32_kernelILj19E21rocsparse_complex_numIfEiifS2_S2_EEvT2_20rocsparse_direction_NS_24const_host_device_scalarIT0_EES3_PKS3_PKT1_SC_S9_PKT3_PKT4_S7_PT5_21rocsparse_index_base_b
; %bb.0:
	s_clause 0x2
	s_load_b64 s[10:11], s[0:1], 0x58
	s_load_b64 s[4:5], s[0:1], 0x8
	;; [unrolled: 1-line block ×3, first 2 shown]
	s_mov_b32 s8, s15
	s_waitcnt lgkmcnt(0)
	s_bitcmp1_b32 s11, 0
	v_mov_b32_e32 v10, s4
	s_cselect_b32 s6, -1, 0
	s_delay_alu instid0(SALU_CYCLE_1)
	s_and_b32 vcc_lo, exec_lo, s6
	s_xor_b32 s6, s6, -1
	s_cbranch_vccz .LBB386_15
; %bb.1:
	v_cndmask_b32_e64 v1, 0, 1, s6
	v_mov_b32_e32 v11, s5
	s_and_not1_b32 vcc_lo, exec_lo, s6
	s_cbranch_vccz .LBB386_16
.LBB386_2:
	s_delay_alu instid0(VALU_DEP_2)
	v_cmp_ne_u32_e32 vcc_lo, 1, v1
	v_mov_b32_e32 v8, s2
	s_cbranch_vccz .LBB386_17
.LBB386_3:
	v_cmp_ne_u32_e32 vcc_lo, 1, v1
	v_mov_b32_e32 v9, s3
	s_cbranch_vccnz .LBB386_5
.LBB386_4:
	v_dual_mov_b32 v1, s2 :: v_dual_mov_b32 v2, s3
	flat_load_b32 v9, v[1:2] offset:4
.LBB386_5:
	s_waitcnt vmcnt(0) lgkmcnt(0)
	v_cmp_eq_f32_e32 vcc_lo, 0, v10
	v_cmp_eq_f32_e64 s2, 0, v11
	s_delay_alu instid0(VALU_DEP_1)
	s_and_b32 s4, vcc_lo, s2
	s_mov_b32 s2, -1
	s_and_saveexec_b32 s3, s4
; %bb.6:
	v_cmp_neq_f32_e32 vcc_lo, 1.0, v8
	v_cmp_neq_f32_e64 s2, 0, v9
	s_delay_alu instid0(VALU_DEP_1) | instskip(NEXT) | instid1(SALU_CYCLE_1)
	s_or_b32 s2, vcc_lo, s2
	s_or_not1_b32 s2, s2, exec_lo
; %bb.7:
	s_or_b32 exec_lo, exec_lo, s3
	s_and_saveexec_b32 s3, s2
	s_cbranch_execz .LBB386_44
; %bb.8:
	s_clause 0x1
	s_load_b128 s[4:7], s[0:1], 0x18
	s_load_b64 s[2:3], s[0:1], 0x28
	s_waitcnt lgkmcnt(0)
	s_cmp_eq_u64 s[4:5], 0
	s_cbranch_scc1 .LBB386_10
; %bb.9:
	s_ashr_i32 s9, s8, 31
	s_delay_alu instid0(SALU_CYCLE_1) | instskip(NEXT) | instid1(SALU_CYCLE_1)
	s_lshl_b64 s[8:9], s[8:9], 2
	s_add_u32 s4, s4, s8
	s_addc_u32 s5, s5, s9
	s_load_b32 s4, s[4:5], 0x0
	s_waitcnt lgkmcnt(0)
	s_sub_i32 s8, s4, s10
.LBB386_10:
	s_load_b32 s4, s[0:1], 0x4
	v_mul_u32_u24_e32 v1, 0xd7a, v0
	v_mov_b32_e32 v2, 0
	s_delay_alu instid0(VALU_DEP_2) | instskip(NEXT) | instid1(VALU_DEP_1)
	v_lshrrev_b32_e32 v3, 16, v1
	v_mul_lo_u16 v1, v3, 19
	s_delay_alu instid0(VALU_DEP_1)
	v_sub_nc_u16 v12, v0, v1
	v_mov_b32_e32 v1, 0
	s_waitcnt lgkmcnt(0)
	s_cmp_eq_u32 s4, 1
	s_cselect_b32 vcc_lo, -1, 0
	s_cmp_lg_u32 s4, 1
	s_cselect_b32 s11, -1, 0
	s_ashr_i32 s9, s8, 31
	s_delay_alu instid0(SALU_CYCLE_1) | instskip(NEXT) | instid1(SALU_CYCLE_1)
	s_lshl_b64 s[4:5], s[8:9], 2
	s_add_u32 s6, s6, s4
	s_addc_u32 s7, s7, s5
	s_add_u32 s9, s6, 4
	s_addc_u32 s12, s7, 0
	;; [unrolled: 2-line block ×3, first 2 shown]
	s_cmp_eq_u64 s[2:3], 0
	s_cselect_b32 s3, s12, s5
	s_cselect_b32 s2, s9, s4
	s_load_b32 s12, s[6:7], 0x0
	s_load_b32 s9, s[2:3], 0x0
	s_load_b64 s[2:3], s[0:1], 0x50
	s_waitcnt lgkmcnt(0)
	s_cmp_ge_i32 s12, s9
	s_cbranch_scc1 .LBB386_18
; %bb.11:
	v_mul_lo_u16 v1, v3, 14
	s_clause 0x1
	s_load_b128 s[4:7], s[0:1], 0x30
	s_load_b64 s[0:1], s[0:1], 0x40
	v_and_b32_e32 v5, 0xffff, v12
	s_sub_i32 s12, s12, s10
	v_lshrrev_b16 v1, 8, v1
	s_mul_i32 s14, s12, 0x5a4
	s_sub_i32 s9, s9, s10
	s_mul_hi_i32 s13, s12, 0x5a4
	s_delay_alu instid0(VALU_DEP_1) | instskip(NEXT) | instid1(VALU_DEP_1)
	v_mul_lo_u16 v1, v1, 19
	v_sub_nc_u16 v1, v3, v1
	s_delay_alu instid0(VALU_DEP_1)
	v_and_b32_e32 v1, 0xff, v1
	v_and_b32_e32 v2, 0xffff, v0
	s_waitcnt lgkmcnt(0)
	s_add_u32 s6, s6, s14
	s_addc_u32 s7, s7, s13
	v_cndmask_b32_e32 v5, v5, v1, vcc_lo
	v_mul_u32_u24_e32 v6, 0xb6, v2
	v_mov_b32_e32 v2, 0
	v_lshlrev_b32_e32 v4, 2, v0
	s_delay_alu instid0(VALU_DEP_3) | instskip(NEXT) | instid1(VALU_DEP_3)
	v_lshrrev_b32_e32 v13, 16, v6
	v_mov_b32_e32 v1, v2
	s_delay_alu instid0(VALU_DEP_3) | instskip(NEXT) | instid1(VALU_DEP_1)
	v_add_co_u32 v3, s6, s6, v4
	v_add_co_ci_u32_e64 v4, null, s7, 0, s6
	s_set_inst_prefetch_distance 0x1
	s_branch .LBB386_13
	.p2align	6
.LBB386_12:                             ;   in Loop: Header=BB386_13 Depth=1
	s_or_b32 exec_lo, exec_lo, s6
	s_add_i32 s12, s12, 1
	s_delay_alu instid0(SALU_CYCLE_1)
	s_cmp_lt_i32 s12, s9
	s_cbranch_scc0 .LBB386_18
.LBB386_13:                             ; =>This Inner Loop Header: Depth=1
	v_add_nc_u32_e32 v6, s12, v13
	s_mov_b32 s6, exec_lo
	s_delay_alu instid0(VALU_DEP_1)
	v_cmpx_gt_i32_e64 s9, v6
	s_cbranch_execz .LBB386_12
; %bb.14:                               ;   in Loop: Header=BB386_13 Depth=1
	v_ashrrev_i32_e32 v7, 31, v6
	s_delay_alu instid0(VALU_DEP_1) | instskip(NEXT) | instid1(VALU_DEP_1)
	v_lshlrev_b64 v[6:7], 2, v[6:7]
	v_add_co_u32 v6, vcc_lo, s4, v6
	s_delay_alu instid0(VALU_DEP_2) | instskip(SKIP_3) | instid1(VALU_DEP_1)
	v_add_co_ci_u32_e32 v7, vcc_lo, s5, v7, vcc_lo
	global_load_b32 v6, v[6:7], off
	s_waitcnt vmcnt(0)
	v_subrev_nc_u32_e32 v14, s10, v6
	v_mad_u64_u32 v[6:7], null, v14, 19, v[5:6]
	s_delay_alu instid0(VALU_DEP_1) | instskip(NEXT) | instid1(VALU_DEP_1)
	v_ashrrev_i32_e32 v7, 31, v6
	v_lshlrev_b64 v[6:7], 3, v[6:7]
	s_delay_alu instid0(VALU_DEP_1) | instskip(NEXT) | instid1(VALU_DEP_2)
	v_add_co_u32 v6, vcc_lo, s0, v6
	v_add_co_ci_u32_e32 v7, vcc_lo, s1, v7, vcc_lo
	global_load_b32 v14, v[3:4], off
	global_load_b64 v[6:7], v[6:7], off
	v_add_co_u32 v3, vcc_lo, 0x5a4, v3
	v_add_co_ci_u32_e32 v4, vcc_lo, 0, v4, vcc_lo
	s_waitcnt vmcnt(0)
	v_fmac_f32_e32 v1, v14, v6
	s_delay_alu instid0(VALU_DEP_1) | instskip(NEXT) | instid1(VALU_DEP_1)
	v_dual_fmac_f32 v2, 0, v6 :: v_dual_fmac_f32 v1, 0x80000000, v7
	v_fmac_f32_e32 v2, v14, v7
	s_branch .LBB386_12
.LBB386_15:
	v_dual_mov_b32 v1, s4 :: v_dual_mov_b32 v2, s5
	flat_load_b32 v10, v[1:2]
	v_cndmask_b32_e64 v1, 0, 1, s6
	v_mov_b32_e32 v11, s5
	s_and_not1_b32 vcc_lo, exec_lo, s6
	s_cbranch_vccnz .LBB386_2
.LBB386_16:
	v_dual_mov_b32 v2, s4 :: v_dual_mov_b32 v3, s5
	flat_load_b32 v11, v[2:3] offset:4
	v_cmp_ne_u32_e32 vcc_lo, 1, v1
	v_mov_b32_e32 v8, s2
	s_cbranch_vccnz .LBB386_3
.LBB386_17:
	v_dual_mov_b32 v2, s2 :: v_dual_mov_b32 v3, s3
	flat_load_b32 v8, v[2:3]
	v_cmp_ne_u32_e32 vcc_lo, 1, v1
	v_mov_b32_e32 v9, s3
	s_cbranch_vccz .LBB386_4
	s_branch .LBB386_5
.LBB386_18:
	s_set_inst_prefetch_distance 0x2
	v_lshlrev_b32_e32 v3, 3, v0
	s_and_b32 vcc_lo, exec_lo, s11
	ds_store_b64 v3, v[1:2]
	s_waitcnt lgkmcnt(0)
	s_barrier
	buffer_gl0_inv
	s_cbranch_vccz .LBB386_30
; %bb.19:
	s_mov_b32 s0, exec_lo
	v_cmpx_gt_u16_e32 3, v12
	s_cbranch_execz .LBB386_21
; %bb.20:
	ds_load_2addr_b64 v[4:7], v3 offset1:16
	s_waitcnt lgkmcnt(0)
	v_dual_add_f32 v4, v6, v4 :: v_dual_add_f32 v5, v7, v5
	ds_store_b64 v3, v[4:5]
.LBB386_21:
	s_or_b32 exec_lo, exec_lo, s0
	s_delay_alu instid0(SALU_CYCLE_1)
	s_mov_b32 s0, exec_lo
	s_waitcnt lgkmcnt(0)
	s_barrier
	buffer_gl0_inv
	v_cmpx_gt_u16_e32 8, v12
	s_cbranch_execz .LBB386_23
; %bb.22:
	ds_load_2addr_b64 v[4:7], v3 offset1:8
	s_waitcnt lgkmcnt(0)
	v_dual_add_f32 v4, v6, v4 :: v_dual_add_f32 v5, v7, v5
	ds_store_b64 v3, v[4:5]
.LBB386_23:
	s_or_b32 exec_lo, exec_lo, s0
	s_delay_alu instid0(SALU_CYCLE_1)
	s_mov_b32 s0, exec_lo
	s_waitcnt lgkmcnt(0)
	s_barrier
	buffer_gl0_inv
	;; [unrolled: 14-line block ×3, first 2 shown]
	v_cmpx_gt_u16_e32 2, v12
	s_cbranch_execz .LBB386_27
; %bb.26:
	ds_load_2addr_b64 v[4:7], v3 offset1:2
	s_waitcnt lgkmcnt(0)
	v_dual_add_f32 v4, v6, v4 :: v_dual_add_f32 v5, v7, v5
	ds_store_b64 v3, v[4:5]
.LBB386_27:
	s_or_b32 exec_lo, exec_lo, s0
	s_mov_b32 s1, 0
	s_mov_b32 s0, 0
	s_mov_b32 s4, exec_lo
	s_waitcnt lgkmcnt(0)
	s_barrier
	buffer_gl0_inv
                                        ; implicit-def: $vgpr5
                                        ; implicit-def: $vgpr4
	v_cmpx_gt_u32_e32 19, v0
	s_xor_b32 s4, exec_lo, s4
; %bb.28:
	v_mul_u32_u24_e32 v4, 19, v0
	s_mov_b32 s0, exec_lo
	s_delay_alu instid0(VALU_DEP_1)
	v_lshlrev_b32_e32 v5, 3, v4
	v_mad_u32_u24 v4, v0, 19, 1
; %bb.29:
	s_or_b32 exec_lo, exec_lo, s4
	s_delay_alu instid0(SALU_CYCLE_1)
	s_and_b32 vcc_lo, exec_lo, s1
	s_cbranch_vccnz .LBB386_31
	s_branch .LBB386_42
.LBB386_30:
	s_mov_b32 s0, 0
                                        ; implicit-def: $vgpr5
                                        ; implicit-def: $vgpr4
	s_cbranch_execz .LBB386_42
.LBB386_31:
	s_mov_b32 s1, exec_lo
	v_cmpx_gt_u32_e32 57, v0
	s_cbranch_execz .LBB386_33
; %bb.32:
	ds_load_b64 v[4:5], v3 offset:2432
	ds_load_b64 v[6:7], v3
	s_waitcnt lgkmcnt(0)
	v_dual_add_f32 v4, v4, v6 :: v_dual_add_f32 v5, v5, v7
	ds_store_b64 v3, v[4:5]
.LBB386_33:
	s_or_b32 exec_lo, exec_lo, s1
	s_delay_alu instid0(SALU_CYCLE_1)
	s_mov_b32 s1, exec_lo
	s_waitcnt lgkmcnt(0)
	s_barrier
	buffer_gl0_inv
	v_cmpx_gt_u32_e32 0x98, v0
	s_cbranch_execz .LBB386_35
; %bb.34:
	ds_load_2addr_b64 v[4:7], v3 offset1:152
	s_waitcnt lgkmcnt(0)
	v_dual_add_f32 v4, v6, v4 :: v_dual_add_f32 v5, v7, v5
	ds_store_b64 v3, v[4:5]
.LBB386_35:
	s_or_b32 exec_lo, exec_lo, s1
	s_delay_alu instid0(SALU_CYCLE_1)
	s_mov_b32 s1, exec_lo
	s_waitcnt lgkmcnt(0)
	s_barrier
	buffer_gl0_inv
	v_cmpx_gt_u32_e32 0x4c, v0
	s_cbranch_execz .LBB386_37
; %bb.36:
	ds_load_2addr_b64 v[4:7], v3 offset1:76
	s_waitcnt lgkmcnt(0)
	v_dual_add_f32 v4, v6, v4 :: v_dual_add_f32 v5, v7, v5
	ds_store_b64 v3, v[4:5]
.LBB386_37:
	;; [unrolled: 14-line block ×3, first 2 shown]
	s_or_b32 exec_lo, exec_lo, s1
	s_delay_alu instid0(SALU_CYCLE_1)
	s_mov_b32 s1, exec_lo
	s_waitcnt lgkmcnt(0)
	buffer_gl0_inv
                                        ; implicit-def: $vgpr4
	v_cmpx_gt_u32_e32 19, v0
; %bb.40:
	v_add_nc_u32_e32 v4, 19, v0
	s_or_b32 s0, s0, exec_lo
                                        ; implicit-def: $vgpr2
; %bb.41:
	s_or_b32 exec_lo, exec_lo, s1
	v_mov_b32_e32 v5, v3
.LBB386_42:
	s_and_saveexec_b32 s1, s0
	s_cbranch_execnz .LBB386_45
; %bb.43:
	s_or_b32 exec_lo, exec_lo, s1
	v_cmp_gt_u32_e32 vcc_lo, 19, v0
	s_and_b32 exec_lo, exec_lo, vcc_lo
	s_cbranch_execnz .LBB386_46
.LBB386_44:
	s_nop 0
	s_sendmsg sendmsg(MSG_DEALLOC_VGPRS)
	s_endpgm
.LBB386_45:
	v_lshlrev_b32_e32 v3, 3, v4
	ds_load_2addr_b32 v[1:2], v5 offset1:1
	ds_load_b64 v[3:4], v3
	s_waitcnt lgkmcnt(0)
	v_dual_add_f32 v2, v4, v2 :: v_dual_add_f32 v1, v3, v1
	s_or_b32 exec_lo, exec_lo, s1
	v_cmp_gt_u32_e32 vcc_lo, 19, v0
	s_and_b32 exec_lo, exec_lo, vcc_lo
	s_cbranch_execz .LBB386_44
.LBB386_46:
	v_mul_f32_e64 v3, v2, -v11
	v_mul_f32_e32 v4, v2, v10
	v_cmp_eq_f32_e32 vcc_lo, 0, v8
	v_cmp_eq_f32_e64 s0, 0, v9
	s_delay_alu instid0(VALU_DEP_4) | instskip(NEXT) | instid1(VALU_DEP_4)
	v_fmac_f32_e32 v3, v10, v1
	v_fmac_f32_e32 v4, v11, v1
	s_delay_alu instid0(VALU_DEP_3) | instskip(NEXT) | instid1(SALU_CYCLE_1)
	s_and_b32 s0, vcc_lo, s0
	s_and_saveexec_b32 s1, s0
	s_delay_alu instid0(SALU_CYCLE_1)
	s_xor_b32 s0, exec_lo, s1
	s_cbranch_execz .LBB386_48
; %bb.47:
	v_mad_u64_u32 v[1:2], null, s8, 19, v[0:1]
	v_mov_b32_e32 v2, 0
                                        ; implicit-def: $vgpr8
                                        ; implicit-def: $vgpr9
	s_delay_alu instid0(VALU_DEP_1) | instskip(NEXT) | instid1(VALU_DEP_1)
	v_lshlrev_b64 v[0:1], 3, v[1:2]
	v_add_co_u32 v0, vcc_lo, s2, v0
	s_delay_alu instid0(VALU_DEP_2)
	v_add_co_ci_u32_e32 v1, vcc_lo, s3, v1, vcc_lo
	global_store_b64 v[0:1], v[3:4], off
                                        ; implicit-def: $vgpr0
                                        ; implicit-def: $vgpr3
.LBB386_48:
	s_and_not1_saveexec_b32 s0, s0
	s_cbranch_execz .LBB386_44
; %bb.49:
	v_mad_u64_u32 v[1:2], null, s8, 19, v[0:1]
	v_mov_b32_e32 v2, 0
	s_delay_alu instid0(VALU_DEP_1) | instskip(NEXT) | instid1(VALU_DEP_1)
	v_lshlrev_b64 v[0:1], 3, v[1:2]
	v_add_co_u32 v0, vcc_lo, s2, v0
	s_delay_alu instid0(VALU_DEP_2) | instskip(SKIP_4) | instid1(VALU_DEP_2)
	v_add_co_ci_u32_e32 v1, vcc_lo, s3, v1, vcc_lo
	global_load_b64 v[5:6], v[0:1], off
	s_waitcnt vmcnt(0)
	v_fmac_f32_e32 v3, v8, v5
	v_fmac_f32_e32 v4, v9, v5
	v_fma_f32 v3, -v9, v6, v3
	s_delay_alu instid0(VALU_DEP_2)
	v_fmac_f32_e32 v4, v8, v6
	global_store_b64 v[0:1], v[3:4], off
	s_nop 0
	s_sendmsg sendmsg(MSG_DEALLOC_VGPRS)
	s_endpgm
	.section	.rodata,"a",@progbits
	.p2align	6, 0x0
	.amdhsa_kernel _ZN9rocsparseL20bsrxmvn_17_32_kernelILj19E21rocsparse_complex_numIfEiifS2_S2_EEvT2_20rocsparse_direction_NS_24const_host_device_scalarIT0_EES3_PKS3_PKT1_SC_S9_PKT3_PKT4_S7_PT5_21rocsparse_index_base_b
		.amdhsa_group_segment_fixed_size 2888
		.amdhsa_private_segment_fixed_size 0
		.amdhsa_kernarg_size 96
		.amdhsa_user_sgpr_count 15
		.amdhsa_user_sgpr_dispatch_ptr 0
		.amdhsa_user_sgpr_queue_ptr 0
		.amdhsa_user_sgpr_kernarg_segment_ptr 1
		.amdhsa_user_sgpr_dispatch_id 0
		.amdhsa_user_sgpr_private_segment_size 0
		.amdhsa_wavefront_size32 1
		.amdhsa_uses_dynamic_stack 0
		.amdhsa_enable_private_segment 0
		.amdhsa_system_sgpr_workgroup_id_x 1
		.amdhsa_system_sgpr_workgroup_id_y 0
		.amdhsa_system_sgpr_workgroup_id_z 0
		.amdhsa_system_sgpr_workgroup_info 0
		.amdhsa_system_vgpr_workitem_id 0
		.amdhsa_next_free_vgpr 15
		.amdhsa_next_free_sgpr 16
		.amdhsa_reserve_vcc 1
		.amdhsa_float_round_mode_32 0
		.amdhsa_float_round_mode_16_64 0
		.amdhsa_float_denorm_mode_32 3
		.amdhsa_float_denorm_mode_16_64 3
		.amdhsa_dx10_clamp 1
		.amdhsa_ieee_mode 1
		.amdhsa_fp16_overflow 0
		.amdhsa_workgroup_processor_mode 1
		.amdhsa_memory_ordered 1
		.amdhsa_forward_progress 0
		.amdhsa_shared_vgpr_count 0
		.amdhsa_exception_fp_ieee_invalid_op 0
		.amdhsa_exception_fp_denorm_src 0
		.amdhsa_exception_fp_ieee_div_zero 0
		.amdhsa_exception_fp_ieee_overflow 0
		.amdhsa_exception_fp_ieee_underflow 0
		.amdhsa_exception_fp_ieee_inexact 0
		.amdhsa_exception_int_div_zero 0
	.end_amdhsa_kernel
	.section	.text._ZN9rocsparseL20bsrxmvn_17_32_kernelILj19E21rocsparse_complex_numIfEiifS2_S2_EEvT2_20rocsparse_direction_NS_24const_host_device_scalarIT0_EES3_PKS3_PKT1_SC_S9_PKT3_PKT4_S7_PT5_21rocsparse_index_base_b,"axG",@progbits,_ZN9rocsparseL20bsrxmvn_17_32_kernelILj19E21rocsparse_complex_numIfEiifS2_S2_EEvT2_20rocsparse_direction_NS_24const_host_device_scalarIT0_EES3_PKS3_PKT1_SC_S9_PKT3_PKT4_S7_PT5_21rocsparse_index_base_b,comdat
.Lfunc_end386:
	.size	_ZN9rocsparseL20bsrxmvn_17_32_kernelILj19E21rocsparse_complex_numIfEiifS2_S2_EEvT2_20rocsparse_direction_NS_24const_host_device_scalarIT0_EES3_PKS3_PKT1_SC_S9_PKT3_PKT4_S7_PT5_21rocsparse_index_base_b, .Lfunc_end386-_ZN9rocsparseL20bsrxmvn_17_32_kernelILj19E21rocsparse_complex_numIfEiifS2_S2_EEvT2_20rocsparse_direction_NS_24const_host_device_scalarIT0_EES3_PKS3_PKT1_SC_S9_PKT3_PKT4_S7_PT5_21rocsparse_index_base_b
                                        ; -- End function
	.section	.AMDGPU.csdata,"",@progbits
; Kernel info:
; codeLenInByte = 1844
; NumSgprs: 18
; NumVgprs: 15
; ScratchSize: 0
; MemoryBound: 0
; FloatMode: 240
; IeeeMode: 1
; LDSByteSize: 2888 bytes/workgroup (compile time only)
; SGPRBlocks: 2
; VGPRBlocks: 1
; NumSGPRsForWavesPerEU: 18
; NumVGPRsForWavesPerEU: 15
; Occupancy: 15
; WaveLimiterHint : 1
; COMPUTE_PGM_RSRC2:SCRATCH_EN: 0
; COMPUTE_PGM_RSRC2:USER_SGPR: 15
; COMPUTE_PGM_RSRC2:TRAP_HANDLER: 0
; COMPUTE_PGM_RSRC2:TGID_X_EN: 1
; COMPUTE_PGM_RSRC2:TGID_Y_EN: 0
; COMPUTE_PGM_RSRC2:TGID_Z_EN: 0
; COMPUTE_PGM_RSRC2:TIDIG_COMP_CNT: 0
	.section	.text._ZN9rocsparseL20bsrxmvn_17_32_kernelILj20E21rocsparse_complex_numIfEiifS2_S2_EEvT2_20rocsparse_direction_NS_24const_host_device_scalarIT0_EES3_PKS3_PKT1_SC_S9_PKT3_PKT4_S7_PT5_21rocsparse_index_base_b,"axG",@progbits,_ZN9rocsparseL20bsrxmvn_17_32_kernelILj20E21rocsparse_complex_numIfEiifS2_S2_EEvT2_20rocsparse_direction_NS_24const_host_device_scalarIT0_EES3_PKS3_PKT1_SC_S9_PKT3_PKT4_S7_PT5_21rocsparse_index_base_b,comdat
	.globl	_ZN9rocsparseL20bsrxmvn_17_32_kernelILj20E21rocsparse_complex_numIfEiifS2_S2_EEvT2_20rocsparse_direction_NS_24const_host_device_scalarIT0_EES3_PKS3_PKT1_SC_S9_PKT3_PKT4_S7_PT5_21rocsparse_index_base_b ; -- Begin function _ZN9rocsparseL20bsrxmvn_17_32_kernelILj20E21rocsparse_complex_numIfEiifS2_S2_EEvT2_20rocsparse_direction_NS_24const_host_device_scalarIT0_EES3_PKS3_PKT1_SC_S9_PKT3_PKT4_S7_PT5_21rocsparse_index_base_b
	.p2align	8
	.type	_ZN9rocsparseL20bsrxmvn_17_32_kernelILj20E21rocsparse_complex_numIfEiifS2_S2_EEvT2_20rocsparse_direction_NS_24const_host_device_scalarIT0_EES3_PKS3_PKT1_SC_S9_PKT3_PKT4_S7_PT5_21rocsparse_index_base_b,@function
_ZN9rocsparseL20bsrxmvn_17_32_kernelILj20E21rocsparse_complex_numIfEiifS2_S2_EEvT2_20rocsparse_direction_NS_24const_host_device_scalarIT0_EES3_PKS3_PKT1_SC_S9_PKT3_PKT4_S7_PT5_21rocsparse_index_base_b: ; @_ZN9rocsparseL20bsrxmvn_17_32_kernelILj20E21rocsparse_complex_numIfEiifS2_S2_EEvT2_20rocsparse_direction_NS_24const_host_device_scalarIT0_EES3_PKS3_PKT1_SC_S9_PKT3_PKT4_S7_PT5_21rocsparse_index_base_b
; %bb.0:
	s_clause 0x2
	s_load_b64 s[10:11], s[0:1], 0x58
	s_load_b64 s[4:5], s[0:1], 0x8
	;; [unrolled: 1-line block ×3, first 2 shown]
	s_mov_b32 s8, s15
	s_waitcnt lgkmcnt(0)
	s_bitcmp1_b32 s11, 0
	v_mov_b32_e32 v10, s4
	s_cselect_b32 s6, -1, 0
	s_delay_alu instid0(SALU_CYCLE_1)
	s_and_b32 vcc_lo, exec_lo, s6
	s_xor_b32 s6, s6, -1
	s_cbranch_vccz .LBB387_15
; %bb.1:
	v_cndmask_b32_e64 v1, 0, 1, s6
	v_mov_b32_e32 v11, s5
	s_and_not1_b32 vcc_lo, exec_lo, s6
	s_cbranch_vccz .LBB387_16
.LBB387_2:
	s_delay_alu instid0(VALU_DEP_2)
	v_cmp_ne_u32_e32 vcc_lo, 1, v1
	v_mov_b32_e32 v8, s2
	s_cbranch_vccz .LBB387_17
.LBB387_3:
	v_cmp_ne_u32_e32 vcc_lo, 1, v1
	v_mov_b32_e32 v9, s3
	s_cbranch_vccnz .LBB387_5
.LBB387_4:
	v_dual_mov_b32 v1, s2 :: v_dual_mov_b32 v2, s3
	flat_load_b32 v9, v[1:2] offset:4
.LBB387_5:
	s_waitcnt vmcnt(0) lgkmcnt(0)
	v_cmp_eq_f32_e32 vcc_lo, 0, v10
	v_cmp_eq_f32_e64 s2, 0, v11
	s_delay_alu instid0(VALU_DEP_1)
	s_and_b32 s4, vcc_lo, s2
	s_mov_b32 s2, -1
	s_and_saveexec_b32 s3, s4
; %bb.6:
	v_cmp_neq_f32_e32 vcc_lo, 1.0, v8
	v_cmp_neq_f32_e64 s2, 0, v9
	s_delay_alu instid0(VALU_DEP_1) | instskip(NEXT) | instid1(SALU_CYCLE_1)
	s_or_b32 s2, vcc_lo, s2
	s_or_not1_b32 s2, s2, exec_lo
; %bb.7:
	s_or_b32 exec_lo, exec_lo, s3
	s_and_saveexec_b32 s3, s2
	s_cbranch_execz .LBB387_44
; %bb.8:
	s_clause 0x1
	s_load_b128 s[4:7], s[0:1], 0x18
	s_load_b64 s[2:3], s[0:1], 0x28
	s_waitcnt lgkmcnt(0)
	s_cmp_eq_u64 s[4:5], 0
	s_cbranch_scc1 .LBB387_10
; %bb.9:
	s_ashr_i32 s9, s8, 31
	s_delay_alu instid0(SALU_CYCLE_1) | instskip(NEXT) | instid1(SALU_CYCLE_1)
	s_lshl_b64 s[8:9], s[8:9], 2
	s_add_u32 s4, s4, s8
	s_addc_u32 s5, s5, s9
	s_load_b32 s4, s[4:5], 0x0
	s_waitcnt lgkmcnt(0)
	s_sub_i32 s8, s4, s10
.LBB387_10:
	s_load_b32 s4, s[0:1], 0x4
	v_mul_u32_u24_e32 v1, 0xccd, v0
	v_mov_b32_e32 v2, 0
	s_delay_alu instid0(VALU_DEP_2) | instskip(NEXT) | instid1(VALU_DEP_1)
	v_lshrrev_b32_e32 v3, 16, v1
	v_mul_lo_u16 v1, v3, 20
	s_delay_alu instid0(VALU_DEP_1)
	v_sub_nc_u16 v12, v0, v1
	v_mov_b32_e32 v1, 0
	s_waitcnt lgkmcnt(0)
	s_cmp_eq_u32 s4, 1
	s_cselect_b32 vcc_lo, -1, 0
	s_cmp_lg_u32 s4, 1
	s_cselect_b32 s11, -1, 0
	s_ashr_i32 s9, s8, 31
	s_delay_alu instid0(SALU_CYCLE_1) | instskip(NEXT) | instid1(SALU_CYCLE_1)
	s_lshl_b64 s[4:5], s[8:9], 2
	s_add_u32 s6, s6, s4
	s_addc_u32 s7, s7, s5
	s_add_u32 s9, s6, 4
	s_addc_u32 s12, s7, 0
	s_add_u32 s4, s2, s4
	s_addc_u32 s5, s3, s5
	s_cmp_eq_u64 s[2:3], 0
	s_cselect_b32 s3, s12, s5
	s_cselect_b32 s2, s9, s4
	s_load_b32 s12, s[6:7], 0x0
	s_load_b32 s9, s[2:3], 0x0
	s_load_b64 s[2:3], s[0:1], 0x50
	s_waitcnt lgkmcnt(0)
	s_cmp_ge_i32 s12, s9
	s_cbranch_scc1 .LBB387_18
; %bb.11:
	v_mul_lo_u16 v1, v3, 13
	s_clause 0x1
	s_load_b128 s[4:7], s[0:1], 0x30
	s_load_b64 s[0:1], s[0:1], 0x40
	v_and_b32_e32 v5, 0xffff, v12
	s_sub_i32 s12, s12, s10
	v_lshrrev_b16 v1, 8, v1
	s_mul_i32 s14, s12, 0x640
	s_sub_i32 s9, s9, s10
	s_mul_hi_i32 s13, s12, 0x640
	s_delay_alu instid0(VALU_DEP_1) | instskip(NEXT) | instid1(VALU_DEP_1)
	v_mul_lo_u16 v1, v1, 20
	v_sub_nc_u16 v1, v3, v1
	s_delay_alu instid0(VALU_DEP_1)
	v_and_b32_e32 v1, 0xff, v1
	v_and_b32_e32 v2, 0xffff, v0
	s_waitcnt lgkmcnt(0)
	s_add_u32 s6, s6, s14
	s_addc_u32 s7, s7, s13
	v_cndmask_b32_e32 v5, v5, v1, vcc_lo
	v_mul_u32_u24_e32 v6, 0xa4, v2
	v_mov_b32_e32 v2, 0
	v_lshlrev_b32_e32 v4, 2, v0
	s_delay_alu instid0(VALU_DEP_3) | instskip(NEXT) | instid1(VALU_DEP_3)
	v_lshrrev_b32_e32 v13, 16, v6
	v_mov_b32_e32 v1, v2
	s_delay_alu instid0(VALU_DEP_3) | instskip(NEXT) | instid1(VALU_DEP_1)
	v_add_co_u32 v3, s6, s6, v4
	v_add_co_ci_u32_e64 v4, null, s7, 0, s6
	s_set_inst_prefetch_distance 0x1
	s_branch .LBB387_13
	.p2align	6
.LBB387_12:                             ;   in Loop: Header=BB387_13 Depth=1
	s_or_b32 exec_lo, exec_lo, s6
	s_add_i32 s12, s12, 1
	s_delay_alu instid0(SALU_CYCLE_1)
	s_cmp_lt_i32 s12, s9
	s_cbranch_scc0 .LBB387_18
.LBB387_13:                             ; =>This Inner Loop Header: Depth=1
	v_add_nc_u32_e32 v6, s12, v13
	s_mov_b32 s6, exec_lo
	s_delay_alu instid0(VALU_DEP_1)
	v_cmpx_gt_i32_e64 s9, v6
	s_cbranch_execz .LBB387_12
; %bb.14:                               ;   in Loop: Header=BB387_13 Depth=1
	v_ashrrev_i32_e32 v7, 31, v6
	s_delay_alu instid0(VALU_DEP_1) | instskip(NEXT) | instid1(VALU_DEP_1)
	v_lshlrev_b64 v[6:7], 2, v[6:7]
	v_add_co_u32 v6, vcc_lo, s4, v6
	s_delay_alu instid0(VALU_DEP_2) | instskip(SKIP_3) | instid1(VALU_DEP_1)
	v_add_co_ci_u32_e32 v7, vcc_lo, s5, v7, vcc_lo
	global_load_b32 v6, v[6:7], off
	s_waitcnt vmcnt(0)
	v_subrev_nc_u32_e32 v14, s10, v6
	v_mad_u64_u32 v[6:7], null, v14, 20, v[5:6]
	s_delay_alu instid0(VALU_DEP_1) | instskip(NEXT) | instid1(VALU_DEP_1)
	v_ashrrev_i32_e32 v7, 31, v6
	v_lshlrev_b64 v[6:7], 3, v[6:7]
	s_delay_alu instid0(VALU_DEP_1) | instskip(NEXT) | instid1(VALU_DEP_2)
	v_add_co_u32 v6, vcc_lo, s0, v6
	v_add_co_ci_u32_e32 v7, vcc_lo, s1, v7, vcc_lo
	global_load_b32 v14, v[3:4], off
	global_load_b64 v[6:7], v[6:7], off
	v_add_co_u32 v3, vcc_lo, 0x640, v3
	v_add_co_ci_u32_e32 v4, vcc_lo, 0, v4, vcc_lo
	s_waitcnt vmcnt(0)
	v_fmac_f32_e32 v1, v14, v6
	s_delay_alu instid0(VALU_DEP_1) | instskip(NEXT) | instid1(VALU_DEP_1)
	v_dual_fmac_f32 v2, 0, v6 :: v_dual_fmac_f32 v1, 0x80000000, v7
	v_fmac_f32_e32 v2, v14, v7
	s_branch .LBB387_12
.LBB387_15:
	v_dual_mov_b32 v1, s4 :: v_dual_mov_b32 v2, s5
	flat_load_b32 v10, v[1:2]
	v_cndmask_b32_e64 v1, 0, 1, s6
	v_mov_b32_e32 v11, s5
	s_and_not1_b32 vcc_lo, exec_lo, s6
	s_cbranch_vccnz .LBB387_2
.LBB387_16:
	v_dual_mov_b32 v2, s4 :: v_dual_mov_b32 v3, s5
	flat_load_b32 v11, v[2:3] offset:4
	v_cmp_ne_u32_e32 vcc_lo, 1, v1
	v_mov_b32_e32 v8, s2
	s_cbranch_vccnz .LBB387_3
.LBB387_17:
	v_dual_mov_b32 v2, s2 :: v_dual_mov_b32 v3, s3
	flat_load_b32 v8, v[2:3]
	v_cmp_ne_u32_e32 vcc_lo, 1, v1
	v_mov_b32_e32 v9, s3
	s_cbranch_vccz .LBB387_4
	s_branch .LBB387_5
.LBB387_18:
	s_set_inst_prefetch_distance 0x2
	v_lshlrev_b32_e32 v3, 3, v0
	s_and_b32 vcc_lo, exec_lo, s11
	ds_store_b64 v3, v[1:2]
	s_waitcnt lgkmcnt(0)
	s_barrier
	buffer_gl0_inv
	s_cbranch_vccz .LBB387_30
; %bb.19:
	v_cmp_gt_u16_e32 vcc_lo, 4, v12
	s_and_saveexec_b32 s0, vcc_lo
	s_cbranch_execz .LBB387_21
; %bb.20:
	ds_load_2addr_b64 v[4:7], v3 offset1:16
	s_waitcnt lgkmcnt(0)
	v_dual_add_f32 v4, v6, v4 :: v_dual_add_f32 v5, v7, v5
	ds_store_b64 v3, v[4:5]
.LBB387_21:
	s_or_b32 exec_lo, exec_lo, s0
	s_delay_alu instid0(SALU_CYCLE_1)
	s_mov_b32 s1, exec_lo
	s_waitcnt lgkmcnt(0)
	s_barrier
	buffer_gl0_inv
	v_cmpx_gt_u16_e32 8, v12
	s_cbranch_execz .LBB387_23
; %bb.22:
	ds_load_2addr_b64 v[4:7], v3 offset1:8
	s_waitcnt lgkmcnt(0)
	v_dual_add_f32 v4, v6, v4 :: v_dual_add_f32 v5, v7, v5
	ds_store_b64 v3, v[4:5]
.LBB387_23:
	s_or_b32 exec_lo, exec_lo, s1
	s_waitcnt lgkmcnt(0)
	s_barrier
	buffer_gl0_inv
	s_and_saveexec_b32 s0, vcc_lo
	s_cbranch_execz .LBB387_25
; %bb.24:
	ds_load_2addr_b64 v[4:7], v3 offset1:4
	s_waitcnt lgkmcnt(0)
	v_dual_add_f32 v4, v6, v4 :: v_dual_add_f32 v5, v7, v5
	ds_store_b64 v3, v[4:5]
.LBB387_25:
	s_or_b32 exec_lo, exec_lo, s0
	s_delay_alu instid0(SALU_CYCLE_1)
	s_mov_b32 s0, exec_lo
	s_waitcnt lgkmcnt(0)
	s_barrier
	buffer_gl0_inv
	v_cmpx_gt_u16_e32 2, v12
	s_cbranch_execz .LBB387_27
; %bb.26:
	ds_load_2addr_b64 v[4:7], v3 offset1:2
	s_waitcnt lgkmcnt(0)
	v_dual_add_f32 v4, v6, v4 :: v_dual_add_f32 v5, v7, v5
	ds_store_b64 v3, v[4:5]
.LBB387_27:
	s_or_b32 exec_lo, exec_lo, s0
	s_mov_b32 s0, 0
	s_mov_b32 s1, 0
	s_mov_b32 s4, exec_lo
	s_waitcnt lgkmcnt(0)
	s_barrier
	buffer_gl0_inv
                                        ; implicit-def: $vgpr5
                                        ; implicit-def: $vgpr4
	v_cmpx_gt_u32_e32 20, v0
	s_xor_b32 s4, exec_lo, s4
; %bb.28:
	v_mul_u32_u24_e32 v4, 20, v0
	s_mov_b32 s1, exec_lo
	s_delay_alu instid0(VALU_DEP_1)
	v_lshlrev_b32_e32 v5, 3, v4
	v_or_b32_e32 v4, 1, v4
; %bb.29:
	s_or_b32 exec_lo, exec_lo, s4
	s_delay_alu instid0(SALU_CYCLE_1)
	s_and_b32 vcc_lo, exec_lo, s0
	s_cbranch_vccnz .LBB387_31
	s_branch .LBB387_42
.LBB387_30:
	s_mov_b32 s1, 0
                                        ; implicit-def: $vgpr5
                                        ; implicit-def: $vgpr4
	s_cbranch_execz .LBB387_42
.LBB387_31:
	v_cmp_gt_u32_e32 vcc_lo, 0x50, v0
	s_and_saveexec_b32 s0, vcc_lo
	s_cbranch_execz .LBB387_33
; %bb.32:
	ds_load_2addr_stride64_b64 v[4:7], v3 offset1:5
	s_waitcnt lgkmcnt(0)
	v_dual_add_f32 v4, v6, v4 :: v_dual_add_f32 v5, v7, v5
	ds_store_b64 v3, v[4:5]
.LBB387_33:
	s_or_b32 exec_lo, exec_lo, s0
	s_delay_alu instid0(SALU_CYCLE_1)
	s_mov_b32 s4, exec_lo
	s_waitcnt lgkmcnt(0)
	s_barrier
	buffer_gl0_inv
	v_cmpx_gt_u32_e32 0xa0, v0
	s_cbranch_execz .LBB387_35
; %bb.34:
	ds_load_2addr_b64 v[4:7], v3 offset1:160
	s_waitcnt lgkmcnt(0)
	v_dual_add_f32 v4, v6, v4 :: v_dual_add_f32 v5, v7, v5
	ds_store_b64 v3, v[4:5]
.LBB387_35:
	s_or_b32 exec_lo, exec_lo, s4
	s_waitcnt lgkmcnt(0)
	s_barrier
	buffer_gl0_inv
	s_and_saveexec_b32 s0, vcc_lo
	s_cbranch_execz .LBB387_37
; %bb.36:
	ds_load_2addr_b64 v[4:7], v3 offset1:80
	s_waitcnt lgkmcnt(0)
	v_dual_add_f32 v4, v6, v4 :: v_dual_add_f32 v5, v7, v5
	ds_store_b64 v3, v[4:5]
.LBB387_37:
	s_or_b32 exec_lo, exec_lo, s0
	s_delay_alu instid0(SALU_CYCLE_1)
	s_mov_b32 s0, exec_lo
	s_waitcnt lgkmcnt(0)
	s_barrier
	buffer_gl0_inv
	v_cmpx_gt_u32_e32 40, v0
	s_cbranch_execz .LBB387_39
; %bb.38:
	ds_load_2addr_b64 v[4:7], v3 offset1:40
	s_waitcnt lgkmcnt(0)
	v_dual_add_f32 v4, v6, v4 :: v_dual_add_f32 v5, v7, v5
	ds_store_b64 v3, v[4:5]
.LBB387_39:
	s_or_b32 exec_lo, exec_lo, s0
	s_delay_alu instid0(SALU_CYCLE_1)
	s_mov_b32 s0, exec_lo
	s_waitcnt lgkmcnt(0)
	buffer_gl0_inv
                                        ; implicit-def: $vgpr4
	v_cmpx_gt_u32_e32 20, v0
; %bb.40:
	v_add_nc_u32_e32 v4, 20, v0
	s_or_b32 s1, s1, exec_lo
                                        ; implicit-def: $vgpr2
; %bb.41:
	s_or_b32 exec_lo, exec_lo, s0
	v_mov_b32_e32 v5, v3
.LBB387_42:
	s_and_saveexec_b32 s0, s1
	s_cbranch_execnz .LBB387_45
; %bb.43:
	s_or_b32 exec_lo, exec_lo, s0
	v_cmp_gt_u32_e32 vcc_lo, 20, v0
	s_and_b32 exec_lo, exec_lo, vcc_lo
	s_cbranch_execnz .LBB387_46
.LBB387_44:
	s_nop 0
	s_sendmsg sendmsg(MSG_DEALLOC_VGPRS)
	s_endpgm
.LBB387_45:
	v_lshlrev_b32_e32 v3, 3, v4
	ds_load_2addr_b32 v[1:2], v5 offset1:1
	ds_load_b64 v[3:4], v3
	s_waitcnt lgkmcnt(0)
	v_dual_add_f32 v2, v4, v2 :: v_dual_add_f32 v1, v3, v1
	s_or_b32 exec_lo, exec_lo, s0
	v_cmp_gt_u32_e32 vcc_lo, 20, v0
	s_and_b32 exec_lo, exec_lo, vcc_lo
	s_cbranch_execz .LBB387_44
.LBB387_46:
	v_mul_f32_e64 v3, v2, -v11
	v_mul_f32_e32 v4, v2, v10
	v_cmp_eq_f32_e32 vcc_lo, 0, v8
	v_cmp_eq_f32_e64 s0, 0, v9
	s_delay_alu instid0(VALU_DEP_4) | instskip(NEXT) | instid1(VALU_DEP_4)
	v_fmac_f32_e32 v3, v10, v1
	v_fmac_f32_e32 v4, v11, v1
	s_delay_alu instid0(VALU_DEP_3) | instskip(NEXT) | instid1(SALU_CYCLE_1)
	s_and_b32 s0, vcc_lo, s0
	s_and_saveexec_b32 s1, s0
	s_delay_alu instid0(SALU_CYCLE_1)
	s_xor_b32 s0, exec_lo, s1
	s_cbranch_execz .LBB387_48
; %bb.47:
	v_mad_u64_u32 v[1:2], null, s8, 20, v[0:1]
	v_mov_b32_e32 v2, 0
                                        ; implicit-def: $vgpr8
                                        ; implicit-def: $vgpr9
	s_delay_alu instid0(VALU_DEP_1) | instskip(NEXT) | instid1(VALU_DEP_1)
	v_lshlrev_b64 v[0:1], 3, v[1:2]
	v_add_co_u32 v0, vcc_lo, s2, v0
	s_delay_alu instid0(VALU_DEP_2)
	v_add_co_ci_u32_e32 v1, vcc_lo, s3, v1, vcc_lo
	global_store_b64 v[0:1], v[3:4], off
                                        ; implicit-def: $vgpr0
                                        ; implicit-def: $vgpr3
.LBB387_48:
	s_and_not1_saveexec_b32 s0, s0
	s_cbranch_execz .LBB387_44
; %bb.49:
	v_mad_u64_u32 v[1:2], null, s8, 20, v[0:1]
	v_mov_b32_e32 v2, 0
	s_delay_alu instid0(VALU_DEP_1) | instskip(NEXT) | instid1(VALU_DEP_1)
	v_lshlrev_b64 v[0:1], 3, v[1:2]
	v_add_co_u32 v0, vcc_lo, s2, v0
	s_delay_alu instid0(VALU_DEP_2) | instskip(SKIP_4) | instid1(VALU_DEP_2)
	v_add_co_ci_u32_e32 v1, vcc_lo, s3, v1, vcc_lo
	global_load_b64 v[5:6], v[0:1], off
	s_waitcnt vmcnt(0)
	v_fmac_f32_e32 v3, v8, v5
	v_fmac_f32_e32 v4, v9, v5
	v_fma_f32 v3, -v9, v6, v3
	s_delay_alu instid0(VALU_DEP_2)
	v_fmac_f32_e32 v4, v8, v6
	global_store_b64 v[0:1], v[3:4], off
	s_nop 0
	s_sendmsg sendmsg(MSG_DEALLOC_VGPRS)
	s_endpgm
	.section	.rodata,"a",@progbits
	.p2align	6, 0x0
	.amdhsa_kernel _ZN9rocsparseL20bsrxmvn_17_32_kernelILj20E21rocsparse_complex_numIfEiifS2_S2_EEvT2_20rocsparse_direction_NS_24const_host_device_scalarIT0_EES3_PKS3_PKT1_SC_S9_PKT3_PKT4_S7_PT5_21rocsparse_index_base_b
		.amdhsa_group_segment_fixed_size 3200
		.amdhsa_private_segment_fixed_size 0
		.amdhsa_kernarg_size 96
		.amdhsa_user_sgpr_count 15
		.amdhsa_user_sgpr_dispatch_ptr 0
		.amdhsa_user_sgpr_queue_ptr 0
		.amdhsa_user_sgpr_kernarg_segment_ptr 1
		.amdhsa_user_sgpr_dispatch_id 0
		.amdhsa_user_sgpr_private_segment_size 0
		.amdhsa_wavefront_size32 1
		.amdhsa_uses_dynamic_stack 0
		.amdhsa_enable_private_segment 0
		.amdhsa_system_sgpr_workgroup_id_x 1
		.amdhsa_system_sgpr_workgroup_id_y 0
		.amdhsa_system_sgpr_workgroup_id_z 0
		.amdhsa_system_sgpr_workgroup_info 0
		.amdhsa_system_vgpr_workitem_id 0
		.amdhsa_next_free_vgpr 15
		.amdhsa_next_free_sgpr 16
		.amdhsa_reserve_vcc 1
		.amdhsa_float_round_mode_32 0
		.amdhsa_float_round_mode_16_64 0
		.amdhsa_float_denorm_mode_32 3
		.amdhsa_float_denorm_mode_16_64 3
		.amdhsa_dx10_clamp 1
		.amdhsa_ieee_mode 1
		.amdhsa_fp16_overflow 0
		.amdhsa_workgroup_processor_mode 1
		.amdhsa_memory_ordered 1
		.amdhsa_forward_progress 0
		.amdhsa_shared_vgpr_count 0
		.amdhsa_exception_fp_ieee_invalid_op 0
		.amdhsa_exception_fp_denorm_src 0
		.amdhsa_exception_fp_ieee_div_zero 0
		.amdhsa_exception_fp_ieee_overflow 0
		.amdhsa_exception_fp_ieee_underflow 0
		.amdhsa_exception_fp_ieee_inexact 0
		.amdhsa_exception_int_div_zero 0
	.end_amdhsa_kernel
	.section	.text._ZN9rocsparseL20bsrxmvn_17_32_kernelILj20E21rocsparse_complex_numIfEiifS2_S2_EEvT2_20rocsparse_direction_NS_24const_host_device_scalarIT0_EES3_PKS3_PKT1_SC_S9_PKT3_PKT4_S7_PT5_21rocsparse_index_base_b,"axG",@progbits,_ZN9rocsparseL20bsrxmvn_17_32_kernelILj20E21rocsparse_complex_numIfEiifS2_S2_EEvT2_20rocsparse_direction_NS_24const_host_device_scalarIT0_EES3_PKS3_PKT1_SC_S9_PKT3_PKT4_S7_PT5_21rocsparse_index_base_b,comdat
.Lfunc_end387:
	.size	_ZN9rocsparseL20bsrxmvn_17_32_kernelILj20E21rocsparse_complex_numIfEiifS2_S2_EEvT2_20rocsparse_direction_NS_24const_host_device_scalarIT0_EES3_PKS3_PKT1_SC_S9_PKT3_PKT4_S7_PT5_21rocsparse_index_base_b, .Lfunc_end387-_ZN9rocsparseL20bsrxmvn_17_32_kernelILj20E21rocsparse_complex_numIfEiifS2_S2_EEvT2_20rocsparse_direction_NS_24const_host_device_scalarIT0_EES3_PKS3_PKT1_SC_S9_PKT3_PKT4_S7_PT5_21rocsparse_index_base_b
                                        ; -- End function
	.section	.AMDGPU.csdata,"",@progbits
; Kernel info:
; codeLenInByte = 1816
; NumSgprs: 18
; NumVgprs: 15
; ScratchSize: 0
; MemoryBound: 0
; FloatMode: 240
; IeeeMode: 1
; LDSByteSize: 3200 bytes/workgroup (compile time only)
; SGPRBlocks: 2
; VGPRBlocks: 1
; NumSGPRsForWavesPerEU: 18
; NumVGPRsForWavesPerEU: 15
; Occupancy: 13
; WaveLimiterHint : 1
; COMPUTE_PGM_RSRC2:SCRATCH_EN: 0
; COMPUTE_PGM_RSRC2:USER_SGPR: 15
; COMPUTE_PGM_RSRC2:TRAP_HANDLER: 0
; COMPUTE_PGM_RSRC2:TGID_X_EN: 1
; COMPUTE_PGM_RSRC2:TGID_Y_EN: 0
; COMPUTE_PGM_RSRC2:TGID_Z_EN: 0
; COMPUTE_PGM_RSRC2:TIDIG_COMP_CNT: 0
	.section	.text._ZN9rocsparseL20bsrxmvn_17_32_kernelILj21E21rocsparse_complex_numIfEiifS2_S2_EEvT2_20rocsparse_direction_NS_24const_host_device_scalarIT0_EES3_PKS3_PKT1_SC_S9_PKT3_PKT4_S7_PT5_21rocsparse_index_base_b,"axG",@progbits,_ZN9rocsparseL20bsrxmvn_17_32_kernelILj21E21rocsparse_complex_numIfEiifS2_S2_EEvT2_20rocsparse_direction_NS_24const_host_device_scalarIT0_EES3_PKS3_PKT1_SC_S9_PKT3_PKT4_S7_PT5_21rocsparse_index_base_b,comdat
	.globl	_ZN9rocsparseL20bsrxmvn_17_32_kernelILj21E21rocsparse_complex_numIfEiifS2_S2_EEvT2_20rocsparse_direction_NS_24const_host_device_scalarIT0_EES3_PKS3_PKT1_SC_S9_PKT3_PKT4_S7_PT5_21rocsparse_index_base_b ; -- Begin function _ZN9rocsparseL20bsrxmvn_17_32_kernelILj21E21rocsparse_complex_numIfEiifS2_S2_EEvT2_20rocsparse_direction_NS_24const_host_device_scalarIT0_EES3_PKS3_PKT1_SC_S9_PKT3_PKT4_S7_PT5_21rocsparse_index_base_b
	.p2align	8
	.type	_ZN9rocsparseL20bsrxmvn_17_32_kernelILj21E21rocsparse_complex_numIfEiifS2_S2_EEvT2_20rocsparse_direction_NS_24const_host_device_scalarIT0_EES3_PKS3_PKT1_SC_S9_PKT3_PKT4_S7_PT5_21rocsparse_index_base_b,@function
_ZN9rocsparseL20bsrxmvn_17_32_kernelILj21E21rocsparse_complex_numIfEiifS2_S2_EEvT2_20rocsparse_direction_NS_24const_host_device_scalarIT0_EES3_PKS3_PKT1_SC_S9_PKT3_PKT4_S7_PT5_21rocsparse_index_base_b: ; @_ZN9rocsparseL20bsrxmvn_17_32_kernelILj21E21rocsparse_complex_numIfEiifS2_S2_EEvT2_20rocsparse_direction_NS_24const_host_device_scalarIT0_EES3_PKS3_PKT1_SC_S9_PKT3_PKT4_S7_PT5_21rocsparse_index_base_b
; %bb.0:
	s_clause 0x2
	s_load_b64 s[10:11], s[0:1], 0x58
	s_load_b64 s[4:5], s[0:1], 0x8
	;; [unrolled: 1-line block ×3, first 2 shown]
	s_mov_b32 s8, s15
	s_waitcnt lgkmcnt(0)
	s_bitcmp1_b32 s11, 0
	v_mov_b32_e32 v10, s4
	s_cselect_b32 s6, -1, 0
	s_delay_alu instid0(SALU_CYCLE_1)
	s_and_b32 vcc_lo, exec_lo, s6
	s_xor_b32 s6, s6, -1
	s_cbranch_vccz .LBB388_15
; %bb.1:
	v_cndmask_b32_e64 v1, 0, 1, s6
	v_mov_b32_e32 v11, s5
	s_and_not1_b32 vcc_lo, exec_lo, s6
	s_cbranch_vccz .LBB388_16
.LBB388_2:
	s_delay_alu instid0(VALU_DEP_2)
	v_cmp_ne_u32_e32 vcc_lo, 1, v1
	v_mov_b32_e32 v8, s2
	s_cbranch_vccz .LBB388_17
.LBB388_3:
	v_cmp_ne_u32_e32 vcc_lo, 1, v1
	v_mov_b32_e32 v9, s3
	s_cbranch_vccnz .LBB388_5
.LBB388_4:
	v_dual_mov_b32 v1, s2 :: v_dual_mov_b32 v2, s3
	flat_load_b32 v9, v[1:2] offset:4
.LBB388_5:
	s_waitcnt vmcnt(0) lgkmcnt(0)
	v_cmp_eq_f32_e32 vcc_lo, 0, v10
	v_cmp_eq_f32_e64 s2, 0, v11
	s_delay_alu instid0(VALU_DEP_1)
	s_and_b32 s4, vcc_lo, s2
	s_mov_b32 s2, -1
	s_and_saveexec_b32 s3, s4
; %bb.6:
	v_cmp_neq_f32_e32 vcc_lo, 1.0, v8
	v_cmp_neq_f32_e64 s2, 0, v9
	s_delay_alu instid0(VALU_DEP_1) | instskip(NEXT) | instid1(SALU_CYCLE_1)
	s_or_b32 s2, vcc_lo, s2
	s_or_not1_b32 s2, s2, exec_lo
; %bb.7:
	s_or_b32 exec_lo, exec_lo, s3
	s_and_saveexec_b32 s3, s2
	s_cbranch_execz .LBB388_44
; %bb.8:
	s_clause 0x1
	s_load_b128 s[4:7], s[0:1], 0x18
	s_load_b64 s[2:3], s[0:1], 0x28
	s_waitcnt lgkmcnt(0)
	s_cmp_eq_u64 s[4:5], 0
	s_cbranch_scc1 .LBB388_10
; %bb.9:
	s_ashr_i32 s9, s8, 31
	s_delay_alu instid0(SALU_CYCLE_1) | instskip(NEXT) | instid1(SALU_CYCLE_1)
	s_lshl_b64 s[8:9], s[8:9], 2
	s_add_u32 s4, s4, s8
	s_addc_u32 s5, s5, s9
	s_load_b32 s4, s[4:5], 0x0
	s_waitcnt lgkmcnt(0)
	s_sub_i32 s8, s4, s10
.LBB388_10:
	s_load_b32 s4, s[0:1], 0x4
	v_mul_u32_u24_e32 v1, 0xc31, v0
	v_mov_b32_e32 v2, 0
	s_delay_alu instid0(VALU_DEP_2) | instskip(NEXT) | instid1(VALU_DEP_1)
	v_lshrrev_b32_e32 v3, 16, v1
	v_mul_lo_u16 v1, v3, 21
	s_delay_alu instid0(VALU_DEP_1)
	v_sub_nc_u16 v12, v0, v1
	v_mov_b32_e32 v1, 0
	s_waitcnt lgkmcnt(0)
	s_cmp_eq_u32 s4, 1
	s_cselect_b32 vcc_lo, -1, 0
	s_cmp_lg_u32 s4, 1
	s_cselect_b32 s11, -1, 0
	s_ashr_i32 s9, s8, 31
	s_delay_alu instid0(SALU_CYCLE_1) | instskip(NEXT) | instid1(SALU_CYCLE_1)
	s_lshl_b64 s[4:5], s[8:9], 2
	s_add_u32 s6, s6, s4
	s_addc_u32 s7, s7, s5
	s_add_u32 s9, s6, 4
	s_addc_u32 s12, s7, 0
	;; [unrolled: 2-line block ×3, first 2 shown]
	s_cmp_eq_u64 s[2:3], 0
	s_cselect_b32 s3, s12, s5
	s_cselect_b32 s2, s9, s4
	s_load_b32 s12, s[6:7], 0x0
	s_load_b32 s9, s[2:3], 0x0
	s_load_b64 s[2:3], s[0:1], 0x50
	s_waitcnt lgkmcnt(0)
	s_cmp_ge_i32 s12, s9
	s_cbranch_scc1 .LBB388_18
; %bb.11:
	v_mul_lo_u16 v1, v3, 25
	s_clause 0x1
	s_load_b128 s[4:7], s[0:1], 0x30
	s_load_b64 s[0:1], s[0:1], 0x40
	v_and_b32_e32 v5, 0xffff, v12
	s_sub_i32 s12, s12, s10
	v_lshrrev_b16 v1, 9, v1
	s_mul_i32 s14, s12, 0x6e4
	s_sub_i32 s9, s9, s10
	s_mul_hi_i32 s13, s12, 0x6e4
	s_delay_alu instid0(VALU_DEP_1) | instskip(NEXT) | instid1(VALU_DEP_1)
	v_mul_lo_u16 v1, v1, 21
	v_sub_nc_u16 v1, v3, v1
	s_delay_alu instid0(VALU_DEP_1)
	v_and_b32_e32 v1, 0xff, v1
	v_and_b32_e32 v2, 0xffff, v0
	s_waitcnt lgkmcnt(0)
	s_add_u32 s6, s6, s14
	s_addc_u32 s7, s7, s13
	v_cndmask_b32_e32 v5, v5, v1, vcc_lo
	v_mul_u32_u24_e32 v6, 0x253, v2
	v_mov_b32_e32 v2, 0
	v_lshlrev_b32_e32 v4, 2, v0
	s_delay_alu instid0(VALU_DEP_3) | instskip(NEXT) | instid1(VALU_DEP_3)
	v_lshrrev_b32_e32 v13, 18, v6
	v_mov_b32_e32 v1, v2
	s_delay_alu instid0(VALU_DEP_3) | instskip(NEXT) | instid1(VALU_DEP_1)
	v_add_co_u32 v3, s6, s6, v4
	v_add_co_ci_u32_e64 v4, null, s7, 0, s6
	s_set_inst_prefetch_distance 0x1
	s_branch .LBB388_13
	.p2align	6
.LBB388_12:                             ;   in Loop: Header=BB388_13 Depth=1
	s_or_b32 exec_lo, exec_lo, s6
	s_add_i32 s12, s12, 1
	s_delay_alu instid0(SALU_CYCLE_1)
	s_cmp_lt_i32 s12, s9
	s_cbranch_scc0 .LBB388_18
.LBB388_13:                             ; =>This Inner Loop Header: Depth=1
	v_add_nc_u32_e32 v6, s12, v13
	s_mov_b32 s6, exec_lo
	s_delay_alu instid0(VALU_DEP_1)
	v_cmpx_gt_i32_e64 s9, v6
	s_cbranch_execz .LBB388_12
; %bb.14:                               ;   in Loop: Header=BB388_13 Depth=1
	v_ashrrev_i32_e32 v7, 31, v6
	s_delay_alu instid0(VALU_DEP_1) | instskip(NEXT) | instid1(VALU_DEP_1)
	v_lshlrev_b64 v[6:7], 2, v[6:7]
	v_add_co_u32 v6, vcc_lo, s4, v6
	s_delay_alu instid0(VALU_DEP_2) | instskip(SKIP_3) | instid1(VALU_DEP_1)
	v_add_co_ci_u32_e32 v7, vcc_lo, s5, v7, vcc_lo
	global_load_b32 v6, v[6:7], off
	s_waitcnt vmcnt(0)
	v_subrev_nc_u32_e32 v14, s10, v6
	v_mad_u64_u32 v[6:7], null, v14, 21, v[5:6]
	s_delay_alu instid0(VALU_DEP_1) | instskip(NEXT) | instid1(VALU_DEP_1)
	v_ashrrev_i32_e32 v7, 31, v6
	v_lshlrev_b64 v[6:7], 3, v[6:7]
	s_delay_alu instid0(VALU_DEP_1) | instskip(NEXT) | instid1(VALU_DEP_2)
	v_add_co_u32 v6, vcc_lo, s0, v6
	v_add_co_ci_u32_e32 v7, vcc_lo, s1, v7, vcc_lo
	global_load_b32 v14, v[3:4], off
	global_load_b64 v[6:7], v[6:7], off
	v_add_co_u32 v3, vcc_lo, 0x6e4, v3
	v_add_co_ci_u32_e32 v4, vcc_lo, 0, v4, vcc_lo
	s_waitcnt vmcnt(0)
	v_fmac_f32_e32 v1, v14, v6
	s_delay_alu instid0(VALU_DEP_1) | instskip(NEXT) | instid1(VALU_DEP_1)
	v_dual_fmac_f32 v2, 0, v6 :: v_dual_fmac_f32 v1, 0x80000000, v7
	v_fmac_f32_e32 v2, v14, v7
	s_branch .LBB388_12
.LBB388_15:
	v_dual_mov_b32 v1, s4 :: v_dual_mov_b32 v2, s5
	flat_load_b32 v10, v[1:2]
	v_cndmask_b32_e64 v1, 0, 1, s6
	v_mov_b32_e32 v11, s5
	s_and_not1_b32 vcc_lo, exec_lo, s6
	s_cbranch_vccnz .LBB388_2
.LBB388_16:
	v_dual_mov_b32 v2, s4 :: v_dual_mov_b32 v3, s5
	flat_load_b32 v11, v[2:3] offset:4
	v_cmp_ne_u32_e32 vcc_lo, 1, v1
	v_mov_b32_e32 v8, s2
	s_cbranch_vccnz .LBB388_3
.LBB388_17:
	v_dual_mov_b32 v2, s2 :: v_dual_mov_b32 v3, s3
	flat_load_b32 v8, v[2:3]
	v_cmp_ne_u32_e32 vcc_lo, 1, v1
	v_mov_b32_e32 v9, s3
	s_cbranch_vccz .LBB388_4
	s_branch .LBB388_5
.LBB388_18:
	s_set_inst_prefetch_distance 0x2
	v_lshlrev_b32_e32 v3, 3, v0
	s_and_b32 vcc_lo, exec_lo, s11
	ds_store_b64 v3, v[1:2]
	s_waitcnt lgkmcnt(0)
	s_barrier
	buffer_gl0_inv
	s_cbranch_vccz .LBB388_30
; %bb.19:
	s_mov_b32 s0, exec_lo
	v_cmpx_gt_u16_e32 5, v12
	s_cbranch_execz .LBB388_21
; %bb.20:
	ds_load_2addr_b64 v[4:7], v3 offset1:16
	s_waitcnt lgkmcnt(0)
	v_dual_add_f32 v4, v6, v4 :: v_dual_add_f32 v5, v7, v5
	ds_store_b64 v3, v[4:5]
.LBB388_21:
	s_or_b32 exec_lo, exec_lo, s0
	s_delay_alu instid0(SALU_CYCLE_1)
	s_mov_b32 s0, exec_lo
	s_waitcnt lgkmcnt(0)
	s_barrier
	buffer_gl0_inv
	v_cmpx_gt_u16_e32 8, v12
	s_cbranch_execz .LBB388_23
; %bb.22:
	ds_load_2addr_b64 v[4:7], v3 offset1:8
	s_waitcnt lgkmcnt(0)
	v_dual_add_f32 v4, v6, v4 :: v_dual_add_f32 v5, v7, v5
	ds_store_b64 v3, v[4:5]
.LBB388_23:
	s_or_b32 exec_lo, exec_lo, s0
	s_delay_alu instid0(SALU_CYCLE_1)
	s_mov_b32 s0, exec_lo
	s_waitcnt lgkmcnt(0)
	s_barrier
	buffer_gl0_inv
	;; [unrolled: 14-line block ×3, first 2 shown]
	v_cmpx_gt_u16_e32 2, v12
	s_cbranch_execz .LBB388_27
; %bb.26:
	ds_load_2addr_b64 v[4:7], v3 offset1:2
	s_waitcnt lgkmcnt(0)
	v_dual_add_f32 v4, v6, v4 :: v_dual_add_f32 v5, v7, v5
	ds_store_b64 v3, v[4:5]
.LBB388_27:
	s_or_b32 exec_lo, exec_lo, s0
	s_mov_b32 s1, 0
	s_mov_b32 s0, 0
	s_mov_b32 s4, exec_lo
	s_waitcnt lgkmcnt(0)
	s_barrier
	buffer_gl0_inv
                                        ; implicit-def: $vgpr5
                                        ; implicit-def: $vgpr4
	v_cmpx_gt_u32_e32 21, v0
	s_xor_b32 s4, exec_lo, s4
; %bb.28:
	v_mul_u32_u24_e32 v4, 21, v0
	s_mov_b32 s0, exec_lo
	s_delay_alu instid0(VALU_DEP_1)
	v_lshlrev_b32_e32 v5, 3, v4
	v_mad_u32_u24 v4, v0, 21, 1
; %bb.29:
	s_or_b32 exec_lo, exec_lo, s4
	s_delay_alu instid0(SALU_CYCLE_1)
	s_and_b32 vcc_lo, exec_lo, s1
	s_cbranch_vccnz .LBB388_31
	s_branch .LBB388_42
.LBB388_30:
	s_mov_b32 s0, 0
                                        ; implicit-def: $vgpr5
                                        ; implicit-def: $vgpr4
	s_cbranch_execz .LBB388_42
.LBB388_31:
	s_mov_b32 s1, exec_lo
	v_cmpx_gt_u32_e32 0x69, v0
	s_cbranch_execz .LBB388_33
; %bb.32:
	ds_load_b64 v[4:5], v3 offset:2688
	ds_load_b64 v[6:7], v3
	s_waitcnt lgkmcnt(0)
	v_dual_add_f32 v4, v4, v6 :: v_dual_add_f32 v5, v5, v7
	ds_store_b64 v3, v[4:5]
.LBB388_33:
	s_or_b32 exec_lo, exec_lo, s1
	s_delay_alu instid0(SALU_CYCLE_1)
	s_mov_b32 s1, exec_lo
	s_waitcnt lgkmcnt(0)
	s_barrier
	buffer_gl0_inv
	v_cmpx_gt_u32_e32 0xa8, v0
	s_cbranch_execz .LBB388_35
; %bb.34:
	ds_load_2addr_b64 v[4:7], v3 offset1:168
	s_waitcnt lgkmcnt(0)
	v_dual_add_f32 v4, v6, v4 :: v_dual_add_f32 v5, v7, v5
	ds_store_b64 v3, v[4:5]
.LBB388_35:
	s_or_b32 exec_lo, exec_lo, s1
	s_delay_alu instid0(SALU_CYCLE_1)
	s_mov_b32 s1, exec_lo
	s_waitcnt lgkmcnt(0)
	s_barrier
	buffer_gl0_inv
	v_cmpx_gt_u32_e32 0x54, v0
	s_cbranch_execz .LBB388_37
; %bb.36:
	ds_load_2addr_b64 v[4:7], v3 offset1:84
	s_waitcnt lgkmcnt(0)
	v_dual_add_f32 v4, v6, v4 :: v_dual_add_f32 v5, v7, v5
	ds_store_b64 v3, v[4:5]
.LBB388_37:
	s_or_b32 exec_lo, exec_lo, s1
	s_delay_alu instid0(SALU_CYCLE_1)
	s_mov_b32 s1, exec_lo
	s_waitcnt lgkmcnt(0)
	s_barrier
	buffer_gl0_inv
	v_cmpx_gt_u32_e32 42, v0
	s_cbranch_execz .LBB388_39
; %bb.38:
	ds_load_2addr_b64 v[4:7], v3 offset1:42
	s_waitcnt lgkmcnt(0)
	v_dual_add_f32 v4, v6, v4 :: v_dual_add_f32 v5, v7, v5
	ds_store_b64 v3, v[4:5]
.LBB388_39:
	s_or_b32 exec_lo, exec_lo, s1
	s_delay_alu instid0(SALU_CYCLE_1)
	s_mov_b32 s1, exec_lo
	s_waitcnt lgkmcnt(0)
	buffer_gl0_inv
                                        ; implicit-def: $vgpr4
	v_cmpx_gt_u32_e32 21, v0
; %bb.40:
	v_add_nc_u32_e32 v4, 21, v0
	s_or_b32 s0, s0, exec_lo
                                        ; implicit-def: $vgpr2
; %bb.41:
	s_or_b32 exec_lo, exec_lo, s1
	v_mov_b32_e32 v5, v3
.LBB388_42:
	s_and_saveexec_b32 s1, s0
	s_cbranch_execnz .LBB388_45
; %bb.43:
	s_or_b32 exec_lo, exec_lo, s1
	v_cmp_gt_u32_e32 vcc_lo, 21, v0
	s_and_b32 exec_lo, exec_lo, vcc_lo
	s_cbranch_execnz .LBB388_46
.LBB388_44:
	s_nop 0
	s_sendmsg sendmsg(MSG_DEALLOC_VGPRS)
	s_endpgm
.LBB388_45:
	v_lshlrev_b32_e32 v3, 3, v4
	ds_load_2addr_b32 v[1:2], v5 offset1:1
	ds_load_b64 v[3:4], v3
	s_waitcnt lgkmcnt(0)
	v_dual_add_f32 v2, v4, v2 :: v_dual_add_f32 v1, v3, v1
	s_or_b32 exec_lo, exec_lo, s1
	v_cmp_gt_u32_e32 vcc_lo, 21, v0
	s_and_b32 exec_lo, exec_lo, vcc_lo
	s_cbranch_execz .LBB388_44
.LBB388_46:
	v_mul_f32_e64 v3, v2, -v11
	v_mul_f32_e32 v4, v2, v10
	v_cmp_eq_f32_e32 vcc_lo, 0, v8
	v_cmp_eq_f32_e64 s0, 0, v9
	s_delay_alu instid0(VALU_DEP_4) | instskip(NEXT) | instid1(VALU_DEP_4)
	v_fmac_f32_e32 v3, v10, v1
	v_fmac_f32_e32 v4, v11, v1
	s_delay_alu instid0(VALU_DEP_3) | instskip(NEXT) | instid1(SALU_CYCLE_1)
	s_and_b32 s0, vcc_lo, s0
	s_and_saveexec_b32 s1, s0
	s_delay_alu instid0(SALU_CYCLE_1)
	s_xor_b32 s0, exec_lo, s1
	s_cbranch_execz .LBB388_48
; %bb.47:
	v_mad_u64_u32 v[1:2], null, s8, 21, v[0:1]
	v_mov_b32_e32 v2, 0
                                        ; implicit-def: $vgpr8
                                        ; implicit-def: $vgpr9
	s_delay_alu instid0(VALU_DEP_1) | instskip(NEXT) | instid1(VALU_DEP_1)
	v_lshlrev_b64 v[0:1], 3, v[1:2]
	v_add_co_u32 v0, vcc_lo, s2, v0
	s_delay_alu instid0(VALU_DEP_2)
	v_add_co_ci_u32_e32 v1, vcc_lo, s3, v1, vcc_lo
	global_store_b64 v[0:1], v[3:4], off
                                        ; implicit-def: $vgpr0
                                        ; implicit-def: $vgpr3
.LBB388_48:
	s_and_not1_saveexec_b32 s0, s0
	s_cbranch_execz .LBB388_44
; %bb.49:
	v_mad_u64_u32 v[1:2], null, s8, 21, v[0:1]
	v_mov_b32_e32 v2, 0
	s_delay_alu instid0(VALU_DEP_1) | instskip(NEXT) | instid1(VALU_DEP_1)
	v_lshlrev_b64 v[0:1], 3, v[1:2]
	v_add_co_u32 v0, vcc_lo, s2, v0
	s_delay_alu instid0(VALU_DEP_2) | instskip(SKIP_4) | instid1(VALU_DEP_2)
	v_add_co_ci_u32_e32 v1, vcc_lo, s3, v1, vcc_lo
	global_load_b64 v[5:6], v[0:1], off
	s_waitcnt vmcnt(0)
	v_fmac_f32_e32 v3, v8, v5
	v_fmac_f32_e32 v4, v9, v5
	v_fma_f32 v3, -v9, v6, v3
	s_delay_alu instid0(VALU_DEP_2)
	v_fmac_f32_e32 v4, v8, v6
	global_store_b64 v[0:1], v[3:4], off
	s_nop 0
	s_sendmsg sendmsg(MSG_DEALLOC_VGPRS)
	s_endpgm
	.section	.rodata,"a",@progbits
	.p2align	6, 0x0
	.amdhsa_kernel _ZN9rocsparseL20bsrxmvn_17_32_kernelILj21E21rocsparse_complex_numIfEiifS2_S2_EEvT2_20rocsparse_direction_NS_24const_host_device_scalarIT0_EES3_PKS3_PKT1_SC_S9_PKT3_PKT4_S7_PT5_21rocsparse_index_base_b
		.amdhsa_group_segment_fixed_size 3528
		.amdhsa_private_segment_fixed_size 0
		.amdhsa_kernarg_size 96
		.amdhsa_user_sgpr_count 15
		.amdhsa_user_sgpr_dispatch_ptr 0
		.amdhsa_user_sgpr_queue_ptr 0
		.amdhsa_user_sgpr_kernarg_segment_ptr 1
		.amdhsa_user_sgpr_dispatch_id 0
		.amdhsa_user_sgpr_private_segment_size 0
		.amdhsa_wavefront_size32 1
		.amdhsa_uses_dynamic_stack 0
		.amdhsa_enable_private_segment 0
		.amdhsa_system_sgpr_workgroup_id_x 1
		.amdhsa_system_sgpr_workgroup_id_y 0
		.amdhsa_system_sgpr_workgroup_id_z 0
		.amdhsa_system_sgpr_workgroup_info 0
		.amdhsa_system_vgpr_workitem_id 0
		.amdhsa_next_free_vgpr 15
		.amdhsa_next_free_sgpr 16
		.amdhsa_reserve_vcc 1
		.amdhsa_float_round_mode_32 0
		.amdhsa_float_round_mode_16_64 0
		.amdhsa_float_denorm_mode_32 3
		.amdhsa_float_denorm_mode_16_64 3
		.amdhsa_dx10_clamp 1
		.amdhsa_ieee_mode 1
		.amdhsa_fp16_overflow 0
		.amdhsa_workgroup_processor_mode 1
		.amdhsa_memory_ordered 1
		.amdhsa_forward_progress 0
		.amdhsa_shared_vgpr_count 0
		.amdhsa_exception_fp_ieee_invalid_op 0
		.amdhsa_exception_fp_denorm_src 0
		.amdhsa_exception_fp_ieee_div_zero 0
		.amdhsa_exception_fp_ieee_overflow 0
		.amdhsa_exception_fp_ieee_underflow 0
		.amdhsa_exception_fp_ieee_inexact 0
		.amdhsa_exception_int_div_zero 0
	.end_amdhsa_kernel
	.section	.text._ZN9rocsparseL20bsrxmvn_17_32_kernelILj21E21rocsparse_complex_numIfEiifS2_S2_EEvT2_20rocsparse_direction_NS_24const_host_device_scalarIT0_EES3_PKS3_PKT1_SC_S9_PKT3_PKT4_S7_PT5_21rocsparse_index_base_b,"axG",@progbits,_ZN9rocsparseL20bsrxmvn_17_32_kernelILj21E21rocsparse_complex_numIfEiifS2_S2_EEvT2_20rocsparse_direction_NS_24const_host_device_scalarIT0_EES3_PKS3_PKT1_SC_S9_PKT3_PKT4_S7_PT5_21rocsparse_index_base_b,comdat
.Lfunc_end388:
	.size	_ZN9rocsparseL20bsrxmvn_17_32_kernelILj21E21rocsparse_complex_numIfEiifS2_S2_EEvT2_20rocsparse_direction_NS_24const_host_device_scalarIT0_EES3_PKS3_PKT1_SC_S9_PKT3_PKT4_S7_PT5_21rocsparse_index_base_b, .Lfunc_end388-_ZN9rocsparseL20bsrxmvn_17_32_kernelILj21E21rocsparse_complex_numIfEiifS2_S2_EEvT2_20rocsparse_direction_NS_24const_host_device_scalarIT0_EES3_PKS3_PKT1_SC_S9_PKT3_PKT4_S7_PT5_21rocsparse_index_base_b
                                        ; -- End function
	.section	.AMDGPU.csdata,"",@progbits
; Kernel info:
; codeLenInByte = 1848
; NumSgprs: 18
; NumVgprs: 15
; ScratchSize: 0
; MemoryBound: 0
; FloatMode: 240
; IeeeMode: 1
; LDSByteSize: 3528 bytes/workgroup (compile time only)
; SGPRBlocks: 2
; VGPRBlocks: 1
; NumSGPRsForWavesPerEU: 18
; NumVGPRsForWavesPerEU: 15
; Occupancy: 14
; WaveLimiterHint : 1
; COMPUTE_PGM_RSRC2:SCRATCH_EN: 0
; COMPUTE_PGM_RSRC2:USER_SGPR: 15
; COMPUTE_PGM_RSRC2:TRAP_HANDLER: 0
; COMPUTE_PGM_RSRC2:TGID_X_EN: 1
; COMPUTE_PGM_RSRC2:TGID_Y_EN: 0
; COMPUTE_PGM_RSRC2:TGID_Z_EN: 0
; COMPUTE_PGM_RSRC2:TIDIG_COMP_CNT: 0
	.section	.text._ZN9rocsparseL20bsrxmvn_17_32_kernelILj22E21rocsparse_complex_numIfEiifS2_S2_EEvT2_20rocsparse_direction_NS_24const_host_device_scalarIT0_EES3_PKS3_PKT1_SC_S9_PKT3_PKT4_S7_PT5_21rocsparse_index_base_b,"axG",@progbits,_ZN9rocsparseL20bsrxmvn_17_32_kernelILj22E21rocsparse_complex_numIfEiifS2_S2_EEvT2_20rocsparse_direction_NS_24const_host_device_scalarIT0_EES3_PKS3_PKT1_SC_S9_PKT3_PKT4_S7_PT5_21rocsparse_index_base_b,comdat
	.globl	_ZN9rocsparseL20bsrxmvn_17_32_kernelILj22E21rocsparse_complex_numIfEiifS2_S2_EEvT2_20rocsparse_direction_NS_24const_host_device_scalarIT0_EES3_PKS3_PKT1_SC_S9_PKT3_PKT4_S7_PT5_21rocsparse_index_base_b ; -- Begin function _ZN9rocsparseL20bsrxmvn_17_32_kernelILj22E21rocsparse_complex_numIfEiifS2_S2_EEvT2_20rocsparse_direction_NS_24const_host_device_scalarIT0_EES3_PKS3_PKT1_SC_S9_PKT3_PKT4_S7_PT5_21rocsparse_index_base_b
	.p2align	8
	.type	_ZN9rocsparseL20bsrxmvn_17_32_kernelILj22E21rocsparse_complex_numIfEiifS2_S2_EEvT2_20rocsparse_direction_NS_24const_host_device_scalarIT0_EES3_PKS3_PKT1_SC_S9_PKT3_PKT4_S7_PT5_21rocsparse_index_base_b,@function
_ZN9rocsparseL20bsrxmvn_17_32_kernelILj22E21rocsparse_complex_numIfEiifS2_S2_EEvT2_20rocsparse_direction_NS_24const_host_device_scalarIT0_EES3_PKS3_PKT1_SC_S9_PKT3_PKT4_S7_PT5_21rocsparse_index_base_b: ; @_ZN9rocsparseL20bsrxmvn_17_32_kernelILj22E21rocsparse_complex_numIfEiifS2_S2_EEvT2_20rocsparse_direction_NS_24const_host_device_scalarIT0_EES3_PKS3_PKT1_SC_S9_PKT3_PKT4_S7_PT5_21rocsparse_index_base_b
; %bb.0:
	s_clause 0x2
	s_load_b64 s[10:11], s[0:1], 0x58
	s_load_b64 s[4:5], s[0:1], 0x8
	;; [unrolled: 1-line block ×3, first 2 shown]
	s_mov_b32 s8, s15
	s_waitcnt lgkmcnt(0)
	s_bitcmp1_b32 s11, 0
	v_mov_b32_e32 v10, s4
	s_cselect_b32 s6, -1, 0
	s_delay_alu instid0(SALU_CYCLE_1)
	s_and_b32 vcc_lo, exec_lo, s6
	s_xor_b32 s6, s6, -1
	s_cbranch_vccz .LBB389_15
; %bb.1:
	v_cndmask_b32_e64 v1, 0, 1, s6
	v_mov_b32_e32 v11, s5
	s_and_not1_b32 vcc_lo, exec_lo, s6
	s_cbranch_vccz .LBB389_16
.LBB389_2:
	s_delay_alu instid0(VALU_DEP_2)
	v_cmp_ne_u32_e32 vcc_lo, 1, v1
	v_mov_b32_e32 v8, s2
	s_cbranch_vccz .LBB389_17
.LBB389_3:
	v_cmp_ne_u32_e32 vcc_lo, 1, v1
	v_mov_b32_e32 v9, s3
	s_cbranch_vccnz .LBB389_5
.LBB389_4:
	v_dual_mov_b32 v1, s2 :: v_dual_mov_b32 v2, s3
	flat_load_b32 v9, v[1:2] offset:4
.LBB389_5:
	s_waitcnt vmcnt(0) lgkmcnt(0)
	v_cmp_eq_f32_e32 vcc_lo, 0, v10
	v_cmp_eq_f32_e64 s2, 0, v11
	s_delay_alu instid0(VALU_DEP_1)
	s_and_b32 s4, vcc_lo, s2
	s_mov_b32 s2, -1
	s_and_saveexec_b32 s3, s4
; %bb.6:
	v_cmp_neq_f32_e32 vcc_lo, 1.0, v8
	v_cmp_neq_f32_e64 s2, 0, v9
	s_delay_alu instid0(VALU_DEP_1) | instskip(NEXT) | instid1(SALU_CYCLE_1)
	s_or_b32 s2, vcc_lo, s2
	s_or_not1_b32 s2, s2, exec_lo
; %bb.7:
	s_or_b32 exec_lo, exec_lo, s3
	s_and_saveexec_b32 s3, s2
	s_cbranch_execz .LBB389_44
; %bb.8:
	s_clause 0x1
	s_load_b128 s[4:7], s[0:1], 0x18
	s_load_b64 s[2:3], s[0:1], 0x28
	s_waitcnt lgkmcnt(0)
	s_cmp_eq_u64 s[4:5], 0
	s_cbranch_scc1 .LBB389_10
; %bb.9:
	s_ashr_i32 s9, s8, 31
	s_delay_alu instid0(SALU_CYCLE_1) | instskip(NEXT) | instid1(SALU_CYCLE_1)
	s_lshl_b64 s[8:9], s[8:9], 2
	s_add_u32 s4, s4, s8
	s_addc_u32 s5, s5, s9
	s_load_b32 s4, s[4:5], 0x0
	s_waitcnt lgkmcnt(0)
	s_sub_i32 s8, s4, s10
.LBB389_10:
	s_load_b32 s4, s[0:1], 0x4
	v_mul_u32_u24_e32 v1, 0xba3, v0
	v_mov_b32_e32 v2, 0
	s_delay_alu instid0(VALU_DEP_2) | instskip(NEXT) | instid1(VALU_DEP_1)
	v_lshrrev_b32_e32 v3, 16, v1
	v_mul_lo_u16 v1, v3, 22
	s_delay_alu instid0(VALU_DEP_1)
	v_sub_nc_u16 v12, v0, v1
	v_mov_b32_e32 v1, 0
	s_waitcnt lgkmcnt(0)
	s_cmp_eq_u32 s4, 1
	s_cselect_b32 vcc_lo, -1, 0
	s_cmp_lg_u32 s4, 1
	s_cselect_b32 s11, -1, 0
	s_ashr_i32 s9, s8, 31
	s_delay_alu instid0(SALU_CYCLE_1) | instskip(NEXT) | instid1(SALU_CYCLE_1)
	s_lshl_b64 s[4:5], s[8:9], 2
	s_add_u32 s6, s6, s4
	s_addc_u32 s7, s7, s5
	s_add_u32 s9, s6, 4
	s_addc_u32 s12, s7, 0
	;; [unrolled: 2-line block ×3, first 2 shown]
	s_cmp_eq_u64 s[2:3], 0
	s_cselect_b32 s3, s12, s5
	s_cselect_b32 s2, s9, s4
	s_load_b32 s12, s[6:7], 0x0
	s_load_b32 s9, s[2:3], 0x0
	s_load_b64 s[2:3], s[0:1], 0x50
	s_waitcnt lgkmcnt(0)
	s_cmp_ge_i32 s12, s9
	s_cbranch_scc1 .LBB389_18
; %bb.11:
	v_mul_lo_u16 v1, v3, 12
	s_clause 0x1
	s_load_b128 s[4:7], s[0:1], 0x30
	s_load_b64 s[0:1], s[0:1], 0x40
	v_and_b32_e32 v5, 0xffff, v12
	s_sub_i32 s12, s12, s10
	v_lshrrev_b16 v1, 8, v1
	s_mul_i32 s14, s12, 0x790
	s_sub_i32 s9, s9, s10
	s_mul_hi_i32 s13, s12, 0x790
	s_delay_alu instid0(VALU_DEP_1) | instskip(NEXT) | instid1(VALU_DEP_1)
	v_mul_lo_u16 v1, v1, 22
	v_sub_nc_u16 v1, v3, v1
	s_delay_alu instid0(VALU_DEP_1)
	v_and_b32_e32 v1, 0xff, v1
	v_and_b32_e32 v2, 0xffff, v0
	s_waitcnt lgkmcnt(0)
	s_add_u32 s6, s6, s14
	s_addc_u32 s7, s7, s13
	v_cndmask_b32_e32 v5, v5, v1, vcc_lo
	v_mul_u32_u24_e32 v6, 0x10f, v2
	v_mov_b32_e32 v2, 0
	v_lshlrev_b32_e32 v4, 2, v0
	s_delay_alu instid0(VALU_DEP_3) | instskip(NEXT) | instid1(VALU_DEP_3)
	v_lshrrev_b32_e32 v13, 17, v6
	v_mov_b32_e32 v1, v2
	s_delay_alu instid0(VALU_DEP_3) | instskip(NEXT) | instid1(VALU_DEP_1)
	v_add_co_u32 v3, s6, s6, v4
	v_add_co_ci_u32_e64 v4, null, s7, 0, s6
	s_set_inst_prefetch_distance 0x1
	s_branch .LBB389_13
	.p2align	6
.LBB389_12:                             ;   in Loop: Header=BB389_13 Depth=1
	s_or_b32 exec_lo, exec_lo, s6
	s_add_i32 s12, s12, 1
	s_delay_alu instid0(SALU_CYCLE_1)
	s_cmp_lt_i32 s12, s9
	s_cbranch_scc0 .LBB389_18
.LBB389_13:                             ; =>This Inner Loop Header: Depth=1
	v_add_nc_u32_e32 v6, s12, v13
	s_mov_b32 s6, exec_lo
	s_delay_alu instid0(VALU_DEP_1)
	v_cmpx_gt_i32_e64 s9, v6
	s_cbranch_execz .LBB389_12
; %bb.14:                               ;   in Loop: Header=BB389_13 Depth=1
	v_ashrrev_i32_e32 v7, 31, v6
	s_delay_alu instid0(VALU_DEP_1) | instskip(NEXT) | instid1(VALU_DEP_1)
	v_lshlrev_b64 v[6:7], 2, v[6:7]
	v_add_co_u32 v6, vcc_lo, s4, v6
	s_delay_alu instid0(VALU_DEP_2) | instskip(SKIP_3) | instid1(VALU_DEP_1)
	v_add_co_ci_u32_e32 v7, vcc_lo, s5, v7, vcc_lo
	global_load_b32 v6, v[6:7], off
	s_waitcnt vmcnt(0)
	v_subrev_nc_u32_e32 v14, s10, v6
	v_mad_u64_u32 v[6:7], null, v14, 22, v[5:6]
	s_delay_alu instid0(VALU_DEP_1) | instskip(NEXT) | instid1(VALU_DEP_1)
	v_ashrrev_i32_e32 v7, 31, v6
	v_lshlrev_b64 v[6:7], 3, v[6:7]
	s_delay_alu instid0(VALU_DEP_1) | instskip(NEXT) | instid1(VALU_DEP_2)
	v_add_co_u32 v6, vcc_lo, s0, v6
	v_add_co_ci_u32_e32 v7, vcc_lo, s1, v7, vcc_lo
	global_load_b32 v14, v[3:4], off
	global_load_b64 v[6:7], v[6:7], off
	v_add_co_u32 v3, vcc_lo, 0x790, v3
	v_add_co_ci_u32_e32 v4, vcc_lo, 0, v4, vcc_lo
	s_waitcnt vmcnt(0)
	v_fmac_f32_e32 v1, v14, v6
	s_delay_alu instid0(VALU_DEP_1) | instskip(NEXT) | instid1(VALU_DEP_1)
	v_dual_fmac_f32 v2, 0, v6 :: v_dual_fmac_f32 v1, 0x80000000, v7
	v_fmac_f32_e32 v2, v14, v7
	s_branch .LBB389_12
.LBB389_15:
	v_dual_mov_b32 v1, s4 :: v_dual_mov_b32 v2, s5
	flat_load_b32 v10, v[1:2]
	v_cndmask_b32_e64 v1, 0, 1, s6
	v_mov_b32_e32 v11, s5
	s_and_not1_b32 vcc_lo, exec_lo, s6
	s_cbranch_vccnz .LBB389_2
.LBB389_16:
	v_dual_mov_b32 v2, s4 :: v_dual_mov_b32 v3, s5
	flat_load_b32 v11, v[2:3] offset:4
	v_cmp_ne_u32_e32 vcc_lo, 1, v1
	v_mov_b32_e32 v8, s2
	s_cbranch_vccnz .LBB389_3
.LBB389_17:
	v_dual_mov_b32 v2, s2 :: v_dual_mov_b32 v3, s3
	flat_load_b32 v8, v[2:3]
	v_cmp_ne_u32_e32 vcc_lo, 1, v1
	v_mov_b32_e32 v9, s3
	s_cbranch_vccz .LBB389_4
	s_branch .LBB389_5
.LBB389_18:
	s_set_inst_prefetch_distance 0x2
	v_lshlrev_b32_e32 v3, 3, v0
	s_and_b32 vcc_lo, exec_lo, s11
	ds_store_b64 v3, v[1:2]
	s_waitcnt lgkmcnt(0)
	s_barrier
	buffer_gl0_inv
	s_cbranch_vccz .LBB389_30
; %bb.19:
	s_mov_b32 s0, exec_lo
	v_cmpx_gt_u16_e32 6, v12
	s_cbranch_execz .LBB389_21
; %bb.20:
	ds_load_2addr_b64 v[4:7], v3 offset1:16
	s_waitcnt lgkmcnt(0)
	v_dual_add_f32 v4, v6, v4 :: v_dual_add_f32 v5, v7, v5
	ds_store_b64 v3, v[4:5]
.LBB389_21:
	s_or_b32 exec_lo, exec_lo, s0
	s_delay_alu instid0(SALU_CYCLE_1)
	s_mov_b32 s0, exec_lo
	s_waitcnt lgkmcnt(0)
	s_barrier
	buffer_gl0_inv
	v_cmpx_gt_u16_e32 8, v12
	s_cbranch_execz .LBB389_23
; %bb.22:
	ds_load_2addr_b64 v[4:7], v3 offset1:8
	s_waitcnt lgkmcnt(0)
	v_dual_add_f32 v4, v6, v4 :: v_dual_add_f32 v5, v7, v5
	ds_store_b64 v3, v[4:5]
.LBB389_23:
	s_or_b32 exec_lo, exec_lo, s0
	s_delay_alu instid0(SALU_CYCLE_1)
	s_mov_b32 s0, exec_lo
	s_waitcnt lgkmcnt(0)
	s_barrier
	buffer_gl0_inv
	;; [unrolled: 14-line block ×3, first 2 shown]
	v_cmpx_gt_u16_e32 2, v12
	s_cbranch_execz .LBB389_27
; %bb.26:
	ds_load_2addr_b64 v[4:7], v3 offset1:2
	s_waitcnt lgkmcnt(0)
	v_dual_add_f32 v4, v6, v4 :: v_dual_add_f32 v5, v7, v5
	ds_store_b64 v3, v[4:5]
.LBB389_27:
	s_or_b32 exec_lo, exec_lo, s0
	s_mov_b32 s1, 0
	s_mov_b32 s0, 0
	s_mov_b32 s4, exec_lo
	s_waitcnt lgkmcnt(0)
	s_barrier
	buffer_gl0_inv
                                        ; implicit-def: $vgpr5
                                        ; implicit-def: $vgpr4
	v_cmpx_gt_u32_e32 22, v0
	s_xor_b32 s4, exec_lo, s4
; %bb.28:
	v_mul_u32_u24_e32 v4, 22, v0
	s_mov_b32 s0, exec_lo
	s_delay_alu instid0(VALU_DEP_1)
	v_lshlrev_b32_e32 v5, 3, v4
	v_or_b32_e32 v4, 1, v4
; %bb.29:
	s_or_b32 exec_lo, exec_lo, s4
	s_delay_alu instid0(SALU_CYCLE_1)
	s_and_b32 vcc_lo, exec_lo, s1
	s_cbranch_vccnz .LBB389_31
	s_branch .LBB389_42
.LBB389_30:
	s_mov_b32 s0, 0
                                        ; implicit-def: $vgpr5
                                        ; implicit-def: $vgpr4
	s_cbranch_execz .LBB389_42
.LBB389_31:
	s_mov_b32 s1, exec_lo
	v_cmpx_gt_u32_e32 0x84, v0
	s_cbranch_execz .LBB389_33
; %bb.32:
	ds_load_b64 v[4:5], v3 offset:2816
	ds_load_b64 v[6:7], v3
	s_waitcnt lgkmcnt(0)
	v_dual_add_f32 v4, v4, v6 :: v_dual_add_f32 v5, v5, v7
	ds_store_b64 v3, v[4:5]
.LBB389_33:
	s_or_b32 exec_lo, exec_lo, s1
	s_delay_alu instid0(SALU_CYCLE_1)
	s_mov_b32 s1, exec_lo
	s_waitcnt lgkmcnt(0)
	s_barrier
	buffer_gl0_inv
	v_cmpx_gt_u32_e32 0xb0, v0
	s_cbranch_execz .LBB389_35
; %bb.34:
	ds_load_2addr_b64 v[4:7], v3 offset1:176
	s_waitcnt lgkmcnt(0)
	v_dual_add_f32 v4, v6, v4 :: v_dual_add_f32 v5, v7, v5
	ds_store_b64 v3, v[4:5]
.LBB389_35:
	s_or_b32 exec_lo, exec_lo, s1
	s_delay_alu instid0(SALU_CYCLE_1)
	s_mov_b32 s1, exec_lo
	s_waitcnt lgkmcnt(0)
	s_barrier
	buffer_gl0_inv
	v_cmpx_gt_u32_e32 0x58, v0
	s_cbranch_execz .LBB389_37
; %bb.36:
	ds_load_2addr_b64 v[4:7], v3 offset1:88
	s_waitcnt lgkmcnt(0)
	v_dual_add_f32 v4, v6, v4 :: v_dual_add_f32 v5, v7, v5
	ds_store_b64 v3, v[4:5]
.LBB389_37:
	;; [unrolled: 14-line block ×3, first 2 shown]
	s_or_b32 exec_lo, exec_lo, s1
	s_delay_alu instid0(SALU_CYCLE_1)
	s_mov_b32 s1, exec_lo
	s_waitcnt lgkmcnt(0)
	buffer_gl0_inv
                                        ; implicit-def: $vgpr4
	v_cmpx_gt_u32_e32 22, v0
; %bb.40:
	v_add_nc_u32_e32 v4, 22, v0
	s_or_b32 s0, s0, exec_lo
                                        ; implicit-def: $vgpr2
; %bb.41:
	s_or_b32 exec_lo, exec_lo, s1
	v_mov_b32_e32 v5, v3
.LBB389_42:
	s_and_saveexec_b32 s1, s0
	s_cbranch_execnz .LBB389_45
; %bb.43:
	s_or_b32 exec_lo, exec_lo, s1
	v_cmp_gt_u32_e32 vcc_lo, 22, v0
	s_and_b32 exec_lo, exec_lo, vcc_lo
	s_cbranch_execnz .LBB389_46
.LBB389_44:
	s_nop 0
	s_sendmsg sendmsg(MSG_DEALLOC_VGPRS)
	s_endpgm
.LBB389_45:
	v_lshlrev_b32_e32 v3, 3, v4
	ds_load_2addr_b32 v[1:2], v5 offset1:1
	ds_load_b64 v[3:4], v3
	s_waitcnt lgkmcnt(0)
	v_dual_add_f32 v2, v4, v2 :: v_dual_add_f32 v1, v3, v1
	s_or_b32 exec_lo, exec_lo, s1
	v_cmp_gt_u32_e32 vcc_lo, 22, v0
	s_and_b32 exec_lo, exec_lo, vcc_lo
	s_cbranch_execz .LBB389_44
.LBB389_46:
	v_mul_f32_e64 v3, v2, -v11
	v_mul_f32_e32 v4, v2, v10
	v_cmp_eq_f32_e32 vcc_lo, 0, v8
	v_cmp_eq_f32_e64 s0, 0, v9
	s_delay_alu instid0(VALU_DEP_4) | instskip(NEXT) | instid1(VALU_DEP_4)
	v_fmac_f32_e32 v3, v10, v1
	v_fmac_f32_e32 v4, v11, v1
	s_delay_alu instid0(VALU_DEP_3) | instskip(NEXT) | instid1(SALU_CYCLE_1)
	s_and_b32 s0, vcc_lo, s0
	s_and_saveexec_b32 s1, s0
	s_delay_alu instid0(SALU_CYCLE_1)
	s_xor_b32 s0, exec_lo, s1
	s_cbranch_execz .LBB389_48
; %bb.47:
	v_mad_u64_u32 v[1:2], null, s8, 22, v[0:1]
	v_mov_b32_e32 v2, 0
                                        ; implicit-def: $vgpr8
                                        ; implicit-def: $vgpr9
	s_delay_alu instid0(VALU_DEP_1) | instskip(NEXT) | instid1(VALU_DEP_1)
	v_lshlrev_b64 v[0:1], 3, v[1:2]
	v_add_co_u32 v0, vcc_lo, s2, v0
	s_delay_alu instid0(VALU_DEP_2)
	v_add_co_ci_u32_e32 v1, vcc_lo, s3, v1, vcc_lo
	global_store_b64 v[0:1], v[3:4], off
                                        ; implicit-def: $vgpr0
                                        ; implicit-def: $vgpr3
.LBB389_48:
	s_and_not1_saveexec_b32 s0, s0
	s_cbranch_execz .LBB389_44
; %bb.49:
	v_mad_u64_u32 v[1:2], null, s8, 22, v[0:1]
	v_mov_b32_e32 v2, 0
	s_delay_alu instid0(VALU_DEP_1) | instskip(NEXT) | instid1(VALU_DEP_1)
	v_lshlrev_b64 v[0:1], 3, v[1:2]
	v_add_co_u32 v0, vcc_lo, s2, v0
	s_delay_alu instid0(VALU_DEP_2) | instskip(SKIP_4) | instid1(VALU_DEP_2)
	v_add_co_ci_u32_e32 v1, vcc_lo, s3, v1, vcc_lo
	global_load_b64 v[5:6], v[0:1], off
	s_waitcnt vmcnt(0)
	v_fmac_f32_e32 v3, v8, v5
	v_fmac_f32_e32 v4, v9, v5
	v_fma_f32 v3, -v9, v6, v3
	s_delay_alu instid0(VALU_DEP_2)
	v_fmac_f32_e32 v4, v8, v6
	global_store_b64 v[0:1], v[3:4], off
	s_nop 0
	s_sendmsg sendmsg(MSG_DEALLOC_VGPRS)
	s_endpgm
	.section	.rodata,"a",@progbits
	.p2align	6, 0x0
	.amdhsa_kernel _ZN9rocsparseL20bsrxmvn_17_32_kernelILj22E21rocsparse_complex_numIfEiifS2_S2_EEvT2_20rocsparse_direction_NS_24const_host_device_scalarIT0_EES3_PKS3_PKT1_SC_S9_PKT3_PKT4_S7_PT5_21rocsparse_index_base_b
		.amdhsa_group_segment_fixed_size 3872
		.amdhsa_private_segment_fixed_size 0
		.amdhsa_kernarg_size 96
		.amdhsa_user_sgpr_count 15
		.amdhsa_user_sgpr_dispatch_ptr 0
		.amdhsa_user_sgpr_queue_ptr 0
		.amdhsa_user_sgpr_kernarg_segment_ptr 1
		.amdhsa_user_sgpr_dispatch_id 0
		.amdhsa_user_sgpr_private_segment_size 0
		.amdhsa_wavefront_size32 1
		.amdhsa_uses_dynamic_stack 0
		.amdhsa_enable_private_segment 0
		.amdhsa_system_sgpr_workgroup_id_x 1
		.amdhsa_system_sgpr_workgroup_id_y 0
		.amdhsa_system_sgpr_workgroup_id_z 0
		.amdhsa_system_sgpr_workgroup_info 0
		.amdhsa_system_vgpr_workitem_id 0
		.amdhsa_next_free_vgpr 15
		.amdhsa_next_free_sgpr 16
		.amdhsa_reserve_vcc 1
		.amdhsa_float_round_mode_32 0
		.amdhsa_float_round_mode_16_64 0
		.amdhsa_float_denorm_mode_32 3
		.amdhsa_float_denorm_mode_16_64 3
		.amdhsa_dx10_clamp 1
		.amdhsa_ieee_mode 1
		.amdhsa_fp16_overflow 0
		.amdhsa_workgroup_processor_mode 1
		.amdhsa_memory_ordered 1
		.amdhsa_forward_progress 0
		.amdhsa_shared_vgpr_count 0
		.amdhsa_exception_fp_ieee_invalid_op 0
		.amdhsa_exception_fp_denorm_src 0
		.amdhsa_exception_fp_ieee_div_zero 0
		.amdhsa_exception_fp_ieee_overflow 0
		.amdhsa_exception_fp_ieee_underflow 0
		.amdhsa_exception_fp_ieee_inexact 0
		.amdhsa_exception_int_div_zero 0
	.end_amdhsa_kernel
	.section	.text._ZN9rocsparseL20bsrxmvn_17_32_kernelILj22E21rocsparse_complex_numIfEiifS2_S2_EEvT2_20rocsparse_direction_NS_24const_host_device_scalarIT0_EES3_PKS3_PKT1_SC_S9_PKT3_PKT4_S7_PT5_21rocsparse_index_base_b,"axG",@progbits,_ZN9rocsparseL20bsrxmvn_17_32_kernelILj22E21rocsparse_complex_numIfEiifS2_S2_EEvT2_20rocsparse_direction_NS_24const_host_device_scalarIT0_EES3_PKS3_PKT1_SC_S9_PKT3_PKT4_S7_PT5_21rocsparse_index_base_b,comdat
.Lfunc_end389:
	.size	_ZN9rocsparseL20bsrxmvn_17_32_kernelILj22E21rocsparse_complex_numIfEiifS2_S2_EEvT2_20rocsparse_direction_NS_24const_host_device_scalarIT0_EES3_PKS3_PKT1_SC_S9_PKT3_PKT4_S7_PT5_21rocsparse_index_base_b, .Lfunc_end389-_ZN9rocsparseL20bsrxmvn_17_32_kernelILj22E21rocsparse_complex_numIfEiifS2_S2_EEvT2_20rocsparse_direction_NS_24const_host_device_scalarIT0_EES3_PKS3_PKT1_SC_S9_PKT3_PKT4_S7_PT5_21rocsparse_index_base_b
                                        ; -- End function
	.section	.AMDGPU.csdata,"",@progbits
; Kernel info:
; codeLenInByte = 1844
; NumSgprs: 18
; NumVgprs: 15
; ScratchSize: 0
; MemoryBound: 0
; FloatMode: 240
; IeeeMode: 1
; LDSByteSize: 3872 bytes/workgroup (compile time only)
; SGPRBlocks: 2
; VGPRBlocks: 1
; NumSGPRsForWavesPerEU: 18
; NumVGPRsForWavesPerEU: 15
; Occupancy: 16
; WaveLimiterHint : 1
; COMPUTE_PGM_RSRC2:SCRATCH_EN: 0
; COMPUTE_PGM_RSRC2:USER_SGPR: 15
; COMPUTE_PGM_RSRC2:TRAP_HANDLER: 0
; COMPUTE_PGM_RSRC2:TGID_X_EN: 1
; COMPUTE_PGM_RSRC2:TGID_Y_EN: 0
; COMPUTE_PGM_RSRC2:TGID_Z_EN: 0
; COMPUTE_PGM_RSRC2:TIDIG_COMP_CNT: 0
	.section	.text._ZN9rocsparseL20bsrxmvn_17_32_kernelILj23E21rocsparse_complex_numIfEiifS2_S2_EEvT2_20rocsparse_direction_NS_24const_host_device_scalarIT0_EES3_PKS3_PKT1_SC_S9_PKT3_PKT4_S7_PT5_21rocsparse_index_base_b,"axG",@progbits,_ZN9rocsparseL20bsrxmvn_17_32_kernelILj23E21rocsparse_complex_numIfEiifS2_S2_EEvT2_20rocsparse_direction_NS_24const_host_device_scalarIT0_EES3_PKS3_PKT1_SC_S9_PKT3_PKT4_S7_PT5_21rocsparse_index_base_b,comdat
	.globl	_ZN9rocsparseL20bsrxmvn_17_32_kernelILj23E21rocsparse_complex_numIfEiifS2_S2_EEvT2_20rocsparse_direction_NS_24const_host_device_scalarIT0_EES3_PKS3_PKT1_SC_S9_PKT3_PKT4_S7_PT5_21rocsparse_index_base_b ; -- Begin function _ZN9rocsparseL20bsrxmvn_17_32_kernelILj23E21rocsparse_complex_numIfEiifS2_S2_EEvT2_20rocsparse_direction_NS_24const_host_device_scalarIT0_EES3_PKS3_PKT1_SC_S9_PKT3_PKT4_S7_PT5_21rocsparse_index_base_b
	.p2align	8
	.type	_ZN9rocsparseL20bsrxmvn_17_32_kernelILj23E21rocsparse_complex_numIfEiifS2_S2_EEvT2_20rocsparse_direction_NS_24const_host_device_scalarIT0_EES3_PKS3_PKT1_SC_S9_PKT3_PKT4_S7_PT5_21rocsparse_index_base_b,@function
_ZN9rocsparseL20bsrxmvn_17_32_kernelILj23E21rocsparse_complex_numIfEiifS2_S2_EEvT2_20rocsparse_direction_NS_24const_host_device_scalarIT0_EES3_PKS3_PKT1_SC_S9_PKT3_PKT4_S7_PT5_21rocsparse_index_base_b: ; @_ZN9rocsparseL20bsrxmvn_17_32_kernelILj23E21rocsparse_complex_numIfEiifS2_S2_EEvT2_20rocsparse_direction_NS_24const_host_device_scalarIT0_EES3_PKS3_PKT1_SC_S9_PKT3_PKT4_S7_PT5_21rocsparse_index_base_b
; %bb.0:
	s_clause 0x2
	s_load_b64 s[10:11], s[0:1], 0x58
	s_load_b64 s[4:5], s[0:1], 0x8
	;; [unrolled: 1-line block ×3, first 2 shown]
	s_mov_b32 s8, s15
	s_waitcnt lgkmcnt(0)
	s_bitcmp1_b32 s11, 0
	v_mov_b32_e32 v10, s4
	s_cselect_b32 s6, -1, 0
	s_delay_alu instid0(SALU_CYCLE_1)
	s_and_b32 vcc_lo, exec_lo, s6
	s_xor_b32 s6, s6, -1
	s_cbranch_vccz .LBB390_15
; %bb.1:
	v_cndmask_b32_e64 v1, 0, 1, s6
	v_mov_b32_e32 v11, s5
	s_and_not1_b32 vcc_lo, exec_lo, s6
	s_cbranch_vccz .LBB390_16
.LBB390_2:
	s_delay_alu instid0(VALU_DEP_2)
	v_cmp_ne_u32_e32 vcc_lo, 1, v1
	v_mov_b32_e32 v8, s2
	s_cbranch_vccz .LBB390_17
.LBB390_3:
	v_cmp_ne_u32_e32 vcc_lo, 1, v1
	v_mov_b32_e32 v9, s3
	s_cbranch_vccnz .LBB390_5
.LBB390_4:
	v_dual_mov_b32 v1, s2 :: v_dual_mov_b32 v2, s3
	flat_load_b32 v9, v[1:2] offset:4
.LBB390_5:
	s_waitcnt vmcnt(0) lgkmcnt(0)
	v_cmp_eq_f32_e32 vcc_lo, 0, v10
	v_cmp_eq_f32_e64 s2, 0, v11
	s_delay_alu instid0(VALU_DEP_1)
	s_and_b32 s4, vcc_lo, s2
	s_mov_b32 s2, -1
	s_and_saveexec_b32 s3, s4
; %bb.6:
	v_cmp_neq_f32_e32 vcc_lo, 1.0, v8
	v_cmp_neq_f32_e64 s2, 0, v9
	s_delay_alu instid0(VALU_DEP_1) | instskip(NEXT) | instid1(SALU_CYCLE_1)
	s_or_b32 s2, vcc_lo, s2
	s_or_not1_b32 s2, s2, exec_lo
; %bb.7:
	s_or_b32 exec_lo, exec_lo, s3
	s_and_saveexec_b32 s3, s2
	s_cbranch_execz .LBB390_44
; %bb.8:
	s_clause 0x1
	s_load_b128 s[4:7], s[0:1], 0x18
	s_load_b64 s[2:3], s[0:1], 0x28
	s_waitcnt lgkmcnt(0)
	s_cmp_eq_u64 s[4:5], 0
	s_cbranch_scc1 .LBB390_10
; %bb.9:
	s_ashr_i32 s9, s8, 31
	s_delay_alu instid0(SALU_CYCLE_1) | instskip(NEXT) | instid1(SALU_CYCLE_1)
	s_lshl_b64 s[8:9], s[8:9], 2
	s_add_u32 s4, s4, s8
	s_addc_u32 s5, s5, s9
	s_load_b32 s4, s[4:5], 0x0
	s_waitcnt lgkmcnt(0)
	s_sub_i32 s8, s4, s10
.LBB390_10:
	s_load_b32 s4, s[0:1], 0x4
	v_mul_u32_u24_e32 v1, 0xb22, v0
	v_mov_b32_e32 v2, 0
	s_delay_alu instid0(VALU_DEP_2) | instskip(NEXT) | instid1(VALU_DEP_1)
	v_lshrrev_b32_e32 v3, 16, v1
	v_mul_lo_u16 v1, v3, 23
	s_delay_alu instid0(VALU_DEP_1)
	v_sub_nc_u16 v12, v0, v1
	v_mov_b32_e32 v1, 0
	s_waitcnt lgkmcnt(0)
	s_cmp_eq_u32 s4, 1
	s_cselect_b32 vcc_lo, -1, 0
	s_cmp_lg_u32 s4, 1
	s_cselect_b32 s11, -1, 0
	s_ashr_i32 s9, s8, 31
	s_delay_alu instid0(SALU_CYCLE_1) | instskip(NEXT) | instid1(SALU_CYCLE_1)
	s_lshl_b64 s[4:5], s[8:9], 2
	s_add_u32 s6, s6, s4
	s_addc_u32 s7, s7, s5
	s_add_u32 s9, s6, 4
	s_addc_u32 s12, s7, 0
	;; [unrolled: 2-line block ×3, first 2 shown]
	s_cmp_eq_u64 s[2:3], 0
	s_cselect_b32 s3, s12, s5
	s_cselect_b32 s2, s9, s4
	s_load_b32 s9, s[6:7], 0x0
	s_load_b32 s14, s[2:3], 0x0
	s_load_b64 s[2:3], s[0:1], 0x50
	s_waitcnt lgkmcnt(0)
	s_cmp_ge_i32 s9, s14
	s_cbranch_scc1 .LBB390_18
; %bb.11:
	s_clause 0x1
	s_load_b128 s[4:7], s[0:1], 0x30
	s_load_b64 s[12:13], s[0:1], 0x40
	v_and_b32_e32 v1, 0xffff, v3
	v_cmp_gt_u32_e64 s0, 0x211, v0
	s_sub_i32 s9, s9, s10
	v_and_b32_e32 v3, 0xffff, v12
	s_sub_i32 s1, s14, s10
	v_subrev_nc_u32_e32 v2, 23, v1
	s_mul_i32 s14, s9, 0x844
	s_delay_alu instid0(VALU_DEP_1) | instskip(SKIP_2) | instid1(VALU_DEP_3)
	v_cndmask_b32_e64 v1, v2, v1, s0
	v_mov_b32_e32 v2, 0
	v_cmp_lt_u32_e64 s0, 0x210, v0
	v_dual_cndmask_b32 v3, v3, v1 :: v_dual_lshlrev_b32 v4, 2, v0
	s_delay_alu instid0(VALU_DEP_3) | instskip(NEXT) | instid1(VALU_DEP_3)
	v_mov_b32_e32 v1, v2
	v_cndmask_b32_e64 v13, 0, 1, s0
	s_mul_hi_i32 s0, s9, 0x844
	s_waitcnt lgkmcnt(0)
	s_add_u32 s6, s6, s14
	s_addc_u32 s0, s7, s0
	v_add_co_u32 v4, s6, s6, v4
	s_delay_alu instid0(VALU_DEP_1)
	v_add_co_ci_u32_e64 v5, null, s0, 0, s6
	s_set_inst_prefetch_distance 0x1
	s_branch .LBB390_13
	.p2align	6
.LBB390_12:                             ;   in Loop: Header=BB390_13 Depth=1
	s_or_b32 exec_lo, exec_lo, s0
	s_add_i32 s9, s9, 1
	s_delay_alu instid0(SALU_CYCLE_1)
	s_cmp_lt_i32 s9, s1
	s_cbranch_scc0 .LBB390_18
.LBB390_13:                             ; =>This Inner Loop Header: Depth=1
	v_add_nc_u32_e32 v6, s9, v13
	s_mov_b32 s0, exec_lo
	s_delay_alu instid0(VALU_DEP_1)
	v_cmpx_gt_i32_e64 s1, v6
	s_cbranch_execz .LBB390_12
; %bb.14:                               ;   in Loop: Header=BB390_13 Depth=1
	v_ashrrev_i32_e32 v7, 31, v6
	s_delay_alu instid0(VALU_DEP_1) | instskip(NEXT) | instid1(VALU_DEP_1)
	v_lshlrev_b64 v[6:7], 2, v[6:7]
	v_add_co_u32 v6, vcc_lo, s4, v6
	s_delay_alu instid0(VALU_DEP_2) | instskip(SKIP_3) | instid1(VALU_DEP_1)
	v_add_co_ci_u32_e32 v7, vcc_lo, s5, v7, vcc_lo
	global_load_b32 v6, v[6:7], off
	s_waitcnt vmcnt(0)
	v_subrev_nc_u32_e32 v14, s10, v6
	v_mad_u64_u32 v[6:7], null, v14, 23, v[3:4]
	s_delay_alu instid0(VALU_DEP_1) | instskip(NEXT) | instid1(VALU_DEP_1)
	v_ashrrev_i32_e32 v7, 31, v6
	v_lshlrev_b64 v[6:7], 3, v[6:7]
	s_delay_alu instid0(VALU_DEP_1) | instskip(NEXT) | instid1(VALU_DEP_2)
	v_add_co_u32 v6, vcc_lo, s12, v6
	v_add_co_ci_u32_e32 v7, vcc_lo, s13, v7, vcc_lo
	global_load_b32 v14, v[4:5], off
	global_load_b64 v[6:7], v[6:7], off
	v_add_co_u32 v4, vcc_lo, 0x844, v4
	v_add_co_ci_u32_e32 v5, vcc_lo, 0, v5, vcc_lo
	s_waitcnt vmcnt(0)
	v_fmac_f32_e32 v1, v14, v6
	s_delay_alu instid0(VALU_DEP_1) | instskip(NEXT) | instid1(VALU_DEP_1)
	v_dual_fmac_f32 v2, 0, v6 :: v_dual_fmac_f32 v1, 0x80000000, v7
	v_fmac_f32_e32 v2, v14, v7
	s_branch .LBB390_12
.LBB390_15:
	v_dual_mov_b32 v1, s4 :: v_dual_mov_b32 v2, s5
	flat_load_b32 v10, v[1:2]
	v_cndmask_b32_e64 v1, 0, 1, s6
	v_mov_b32_e32 v11, s5
	s_and_not1_b32 vcc_lo, exec_lo, s6
	s_cbranch_vccnz .LBB390_2
.LBB390_16:
	v_dual_mov_b32 v2, s4 :: v_dual_mov_b32 v3, s5
	flat_load_b32 v11, v[2:3] offset:4
	v_cmp_ne_u32_e32 vcc_lo, 1, v1
	v_mov_b32_e32 v8, s2
	s_cbranch_vccnz .LBB390_3
.LBB390_17:
	v_dual_mov_b32 v2, s2 :: v_dual_mov_b32 v3, s3
	flat_load_b32 v8, v[2:3]
	v_cmp_ne_u32_e32 vcc_lo, 1, v1
	v_mov_b32_e32 v9, s3
	s_cbranch_vccz .LBB390_4
	s_branch .LBB390_5
.LBB390_18:
	s_set_inst_prefetch_distance 0x2
	v_lshlrev_b32_e32 v3, 3, v0
	s_and_b32 vcc_lo, exec_lo, s11
	ds_store_b64 v3, v[1:2]
	s_waitcnt lgkmcnt(0)
	s_barrier
	buffer_gl0_inv
	s_cbranch_vccz .LBB390_30
; %bb.19:
	s_mov_b32 s0, exec_lo
	v_cmpx_gt_u16_e32 7, v12
	s_cbranch_execz .LBB390_21
; %bb.20:
	ds_load_2addr_b64 v[4:7], v3 offset1:16
	s_waitcnt lgkmcnt(0)
	v_dual_add_f32 v4, v6, v4 :: v_dual_add_f32 v5, v7, v5
	ds_store_b64 v3, v[4:5]
.LBB390_21:
	s_or_b32 exec_lo, exec_lo, s0
	s_delay_alu instid0(SALU_CYCLE_1)
	s_mov_b32 s0, exec_lo
	s_waitcnt lgkmcnt(0)
	s_barrier
	buffer_gl0_inv
	v_cmpx_gt_u16_e32 8, v12
	s_cbranch_execz .LBB390_23
; %bb.22:
	ds_load_2addr_b64 v[4:7], v3 offset1:8
	s_waitcnt lgkmcnt(0)
	v_dual_add_f32 v4, v6, v4 :: v_dual_add_f32 v5, v7, v5
	ds_store_b64 v3, v[4:5]
.LBB390_23:
	s_or_b32 exec_lo, exec_lo, s0
	s_delay_alu instid0(SALU_CYCLE_1)
	s_mov_b32 s0, exec_lo
	s_waitcnt lgkmcnt(0)
	s_barrier
	buffer_gl0_inv
	;; [unrolled: 14-line block ×3, first 2 shown]
	v_cmpx_gt_u16_e32 2, v12
	s_cbranch_execz .LBB390_27
; %bb.26:
	ds_load_2addr_b64 v[4:7], v3 offset1:2
	s_waitcnt lgkmcnt(0)
	v_dual_add_f32 v4, v6, v4 :: v_dual_add_f32 v5, v7, v5
	ds_store_b64 v3, v[4:5]
.LBB390_27:
	s_or_b32 exec_lo, exec_lo, s0
	s_mov_b32 s1, 0
	s_mov_b32 s0, 0
	s_mov_b32 s4, exec_lo
	s_waitcnt lgkmcnt(0)
	s_barrier
	buffer_gl0_inv
                                        ; implicit-def: $vgpr5
                                        ; implicit-def: $vgpr4
	v_cmpx_gt_u32_e32 23, v0
	s_xor_b32 s4, exec_lo, s4
; %bb.28:
	v_mul_u32_u24_e32 v4, 23, v0
	s_mov_b32 s0, exec_lo
	s_delay_alu instid0(VALU_DEP_1)
	v_lshlrev_b32_e32 v5, 3, v4
	v_mad_u32_u24 v4, v0, 23, 1
; %bb.29:
	s_or_b32 exec_lo, exec_lo, s4
	s_delay_alu instid0(SALU_CYCLE_1)
	s_and_b32 vcc_lo, exec_lo, s1
	s_cbranch_vccnz .LBB390_31
	s_branch .LBB390_42
.LBB390_30:
	s_mov_b32 s0, 0
                                        ; implicit-def: $vgpr5
                                        ; implicit-def: $vgpr4
	s_cbranch_execz .LBB390_42
.LBB390_31:
	s_mov_b32 s1, exec_lo
	v_cmpx_gt_u32_e32 0xa1, v0
	s_cbranch_execz .LBB390_33
; %bb.32:
	ds_load_b64 v[4:5], v3 offset:2944
	ds_load_b64 v[6:7], v3
	s_waitcnt lgkmcnt(0)
	v_dual_add_f32 v4, v4, v6 :: v_dual_add_f32 v5, v5, v7
	ds_store_b64 v3, v[4:5]
.LBB390_33:
	s_or_b32 exec_lo, exec_lo, s1
	s_delay_alu instid0(SALU_CYCLE_1)
	s_mov_b32 s1, exec_lo
	s_waitcnt lgkmcnt(0)
	s_barrier
	buffer_gl0_inv
	v_cmpx_gt_u32_e32 0xb8, v0
	s_cbranch_execz .LBB390_35
; %bb.34:
	ds_load_2addr_b64 v[4:7], v3 offset1:184
	s_waitcnt lgkmcnt(0)
	v_dual_add_f32 v4, v6, v4 :: v_dual_add_f32 v5, v7, v5
	ds_store_b64 v3, v[4:5]
.LBB390_35:
	s_or_b32 exec_lo, exec_lo, s1
	s_delay_alu instid0(SALU_CYCLE_1)
	s_mov_b32 s1, exec_lo
	s_waitcnt lgkmcnt(0)
	s_barrier
	buffer_gl0_inv
	v_cmpx_gt_u32_e32 0x5c, v0
	s_cbranch_execz .LBB390_37
; %bb.36:
	ds_load_2addr_b64 v[4:7], v3 offset1:92
	s_waitcnt lgkmcnt(0)
	v_dual_add_f32 v4, v6, v4 :: v_dual_add_f32 v5, v7, v5
	ds_store_b64 v3, v[4:5]
.LBB390_37:
	;; [unrolled: 14-line block ×3, first 2 shown]
	s_or_b32 exec_lo, exec_lo, s1
	s_delay_alu instid0(SALU_CYCLE_1)
	s_mov_b32 s1, exec_lo
	s_waitcnt lgkmcnt(0)
	buffer_gl0_inv
                                        ; implicit-def: $vgpr4
	v_cmpx_gt_u32_e32 23, v0
; %bb.40:
	v_add_nc_u32_e32 v4, 23, v0
	s_or_b32 s0, s0, exec_lo
                                        ; implicit-def: $vgpr2
; %bb.41:
	s_or_b32 exec_lo, exec_lo, s1
	v_mov_b32_e32 v5, v3
.LBB390_42:
	s_and_saveexec_b32 s1, s0
	s_cbranch_execnz .LBB390_45
; %bb.43:
	s_or_b32 exec_lo, exec_lo, s1
	v_cmp_gt_u32_e32 vcc_lo, 23, v0
	s_and_b32 exec_lo, exec_lo, vcc_lo
	s_cbranch_execnz .LBB390_46
.LBB390_44:
	s_nop 0
	s_sendmsg sendmsg(MSG_DEALLOC_VGPRS)
	s_endpgm
.LBB390_45:
	v_lshlrev_b32_e32 v3, 3, v4
	ds_load_2addr_b32 v[1:2], v5 offset1:1
	ds_load_b64 v[3:4], v3
	s_waitcnt lgkmcnt(0)
	v_dual_add_f32 v2, v4, v2 :: v_dual_add_f32 v1, v3, v1
	s_or_b32 exec_lo, exec_lo, s1
	v_cmp_gt_u32_e32 vcc_lo, 23, v0
	s_and_b32 exec_lo, exec_lo, vcc_lo
	s_cbranch_execz .LBB390_44
.LBB390_46:
	v_mul_f32_e64 v3, v2, -v11
	v_mul_f32_e32 v4, v2, v10
	v_cmp_eq_f32_e32 vcc_lo, 0, v8
	v_cmp_eq_f32_e64 s0, 0, v9
	s_delay_alu instid0(VALU_DEP_4) | instskip(NEXT) | instid1(VALU_DEP_4)
	v_fmac_f32_e32 v3, v10, v1
	v_fmac_f32_e32 v4, v11, v1
	s_delay_alu instid0(VALU_DEP_3) | instskip(NEXT) | instid1(SALU_CYCLE_1)
	s_and_b32 s0, vcc_lo, s0
	s_and_saveexec_b32 s1, s0
	s_delay_alu instid0(SALU_CYCLE_1)
	s_xor_b32 s0, exec_lo, s1
	s_cbranch_execz .LBB390_48
; %bb.47:
	v_mad_u64_u32 v[1:2], null, s8, 23, v[0:1]
	v_mov_b32_e32 v2, 0
                                        ; implicit-def: $vgpr8
                                        ; implicit-def: $vgpr9
	s_delay_alu instid0(VALU_DEP_1) | instskip(NEXT) | instid1(VALU_DEP_1)
	v_lshlrev_b64 v[0:1], 3, v[1:2]
	v_add_co_u32 v0, vcc_lo, s2, v0
	s_delay_alu instid0(VALU_DEP_2)
	v_add_co_ci_u32_e32 v1, vcc_lo, s3, v1, vcc_lo
	global_store_b64 v[0:1], v[3:4], off
                                        ; implicit-def: $vgpr0
                                        ; implicit-def: $vgpr3
.LBB390_48:
	s_and_not1_saveexec_b32 s0, s0
	s_cbranch_execz .LBB390_44
; %bb.49:
	v_mad_u64_u32 v[1:2], null, s8, 23, v[0:1]
	v_mov_b32_e32 v2, 0
	s_delay_alu instid0(VALU_DEP_1) | instskip(NEXT) | instid1(VALU_DEP_1)
	v_lshlrev_b64 v[0:1], 3, v[1:2]
	v_add_co_u32 v0, vcc_lo, s2, v0
	s_delay_alu instid0(VALU_DEP_2) | instskip(SKIP_4) | instid1(VALU_DEP_2)
	v_add_co_ci_u32_e32 v1, vcc_lo, s3, v1, vcc_lo
	global_load_b64 v[5:6], v[0:1], off
	s_waitcnt vmcnt(0)
	v_fmac_f32_e32 v3, v8, v5
	v_fmac_f32_e32 v4, v9, v5
	v_fma_f32 v3, -v9, v6, v3
	s_delay_alu instid0(VALU_DEP_2)
	v_fmac_f32_e32 v4, v8, v6
	global_store_b64 v[0:1], v[3:4], off
	s_nop 0
	s_sendmsg sendmsg(MSG_DEALLOC_VGPRS)
	s_endpgm
	.section	.rodata,"a",@progbits
	.p2align	6, 0x0
	.amdhsa_kernel _ZN9rocsparseL20bsrxmvn_17_32_kernelILj23E21rocsparse_complex_numIfEiifS2_S2_EEvT2_20rocsparse_direction_NS_24const_host_device_scalarIT0_EES3_PKS3_PKT1_SC_S9_PKT3_PKT4_S7_PT5_21rocsparse_index_base_b
		.amdhsa_group_segment_fixed_size 4232
		.amdhsa_private_segment_fixed_size 0
		.amdhsa_kernarg_size 96
		.amdhsa_user_sgpr_count 15
		.amdhsa_user_sgpr_dispatch_ptr 0
		.amdhsa_user_sgpr_queue_ptr 0
		.amdhsa_user_sgpr_kernarg_segment_ptr 1
		.amdhsa_user_sgpr_dispatch_id 0
		.amdhsa_user_sgpr_private_segment_size 0
		.amdhsa_wavefront_size32 1
		.amdhsa_uses_dynamic_stack 0
		.amdhsa_enable_private_segment 0
		.amdhsa_system_sgpr_workgroup_id_x 1
		.amdhsa_system_sgpr_workgroup_id_y 0
		.amdhsa_system_sgpr_workgroup_id_z 0
		.amdhsa_system_sgpr_workgroup_info 0
		.amdhsa_system_vgpr_workitem_id 0
		.amdhsa_next_free_vgpr 15
		.amdhsa_next_free_sgpr 16
		.amdhsa_reserve_vcc 1
		.amdhsa_float_round_mode_32 0
		.amdhsa_float_round_mode_16_64 0
		.amdhsa_float_denorm_mode_32 3
		.amdhsa_float_denorm_mode_16_64 3
		.amdhsa_dx10_clamp 1
		.amdhsa_ieee_mode 1
		.amdhsa_fp16_overflow 0
		.amdhsa_workgroup_processor_mode 1
		.amdhsa_memory_ordered 1
		.amdhsa_forward_progress 0
		.amdhsa_shared_vgpr_count 0
		.amdhsa_exception_fp_ieee_invalid_op 0
		.amdhsa_exception_fp_denorm_src 0
		.amdhsa_exception_fp_ieee_div_zero 0
		.amdhsa_exception_fp_ieee_overflow 0
		.amdhsa_exception_fp_ieee_underflow 0
		.amdhsa_exception_fp_ieee_inexact 0
		.amdhsa_exception_int_div_zero 0
	.end_amdhsa_kernel
	.section	.text._ZN9rocsparseL20bsrxmvn_17_32_kernelILj23E21rocsparse_complex_numIfEiifS2_S2_EEvT2_20rocsparse_direction_NS_24const_host_device_scalarIT0_EES3_PKS3_PKT1_SC_S9_PKT3_PKT4_S7_PT5_21rocsparse_index_base_b,"axG",@progbits,_ZN9rocsparseL20bsrxmvn_17_32_kernelILj23E21rocsparse_complex_numIfEiifS2_S2_EEvT2_20rocsparse_direction_NS_24const_host_device_scalarIT0_EES3_PKS3_PKT1_SC_S9_PKT3_PKT4_S7_PT5_21rocsparse_index_base_b,comdat
.Lfunc_end390:
	.size	_ZN9rocsparseL20bsrxmvn_17_32_kernelILj23E21rocsparse_complex_numIfEiifS2_S2_EEvT2_20rocsparse_direction_NS_24const_host_device_scalarIT0_EES3_PKS3_PKT1_SC_S9_PKT3_PKT4_S7_PT5_21rocsparse_index_base_b, .Lfunc_end390-_ZN9rocsparseL20bsrxmvn_17_32_kernelILj23E21rocsparse_complex_numIfEiifS2_S2_EEvT2_20rocsparse_direction_NS_24const_host_device_scalarIT0_EES3_PKS3_PKT1_SC_S9_PKT3_PKT4_S7_PT5_21rocsparse_index_base_b
                                        ; -- End function
	.section	.AMDGPU.csdata,"",@progbits
; Kernel info:
; codeLenInByte = 1836
; NumSgprs: 18
; NumVgprs: 15
; ScratchSize: 0
; MemoryBound: 0
; FloatMode: 240
; IeeeMode: 1
; LDSByteSize: 4232 bytes/workgroup (compile time only)
; SGPRBlocks: 2
; VGPRBlocks: 1
; NumSGPRsForWavesPerEU: 18
; NumVGPRsForWavesPerEU: 15
; Occupancy: 13
; WaveLimiterHint : 1
; COMPUTE_PGM_RSRC2:SCRATCH_EN: 0
; COMPUTE_PGM_RSRC2:USER_SGPR: 15
; COMPUTE_PGM_RSRC2:TRAP_HANDLER: 0
; COMPUTE_PGM_RSRC2:TGID_X_EN: 1
; COMPUTE_PGM_RSRC2:TGID_Y_EN: 0
; COMPUTE_PGM_RSRC2:TGID_Z_EN: 0
; COMPUTE_PGM_RSRC2:TIDIG_COMP_CNT: 0
	.section	.text._ZN9rocsparseL20bsrxmvn_17_32_kernelILj24E21rocsparse_complex_numIfEiifS2_S2_EEvT2_20rocsparse_direction_NS_24const_host_device_scalarIT0_EES3_PKS3_PKT1_SC_S9_PKT3_PKT4_S7_PT5_21rocsparse_index_base_b,"axG",@progbits,_ZN9rocsparseL20bsrxmvn_17_32_kernelILj24E21rocsparse_complex_numIfEiifS2_S2_EEvT2_20rocsparse_direction_NS_24const_host_device_scalarIT0_EES3_PKS3_PKT1_SC_S9_PKT3_PKT4_S7_PT5_21rocsparse_index_base_b,comdat
	.globl	_ZN9rocsparseL20bsrxmvn_17_32_kernelILj24E21rocsparse_complex_numIfEiifS2_S2_EEvT2_20rocsparse_direction_NS_24const_host_device_scalarIT0_EES3_PKS3_PKT1_SC_S9_PKT3_PKT4_S7_PT5_21rocsparse_index_base_b ; -- Begin function _ZN9rocsparseL20bsrxmvn_17_32_kernelILj24E21rocsparse_complex_numIfEiifS2_S2_EEvT2_20rocsparse_direction_NS_24const_host_device_scalarIT0_EES3_PKS3_PKT1_SC_S9_PKT3_PKT4_S7_PT5_21rocsparse_index_base_b
	.p2align	8
	.type	_ZN9rocsparseL20bsrxmvn_17_32_kernelILj24E21rocsparse_complex_numIfEiifS2_S2_EEvT2_20rocsparse_direction_NS_24const_host_device_scalarIT0_EES3_PKS3_PKT1_SC_S9_PKT3_PKT4_S7_PT5_21rocsparse_index_base_b,@function
_ZN9rocsparseL20bsrxmvn_17_32_kernelILj24E21rocsparse_complex_numIfEiifS2_S2_EEvT2_20rocsparse_direction_NS_24const_host_device_scalarIT0_EES3_PKS3_PKT1_SC_S9_PKT3_PKT4_S7_PT5_21rocsparse_index_base_b: ; @_ZN9rocsparseL20bsrxmvn_17_32_kernelILj24E21rocsparse_complex_numIfEiifS2_S2_EEvT2_20rocsparse_direction_NS_24const_host_device_scalarIT0_EES3_PKS3_PKT1_SC_S9_PKT3_PKT4_S7_PT5_21rocsparse_index_base_b
; %bb.0:
	s_clause 0x2
	s_load_b64 s[10:11], s[0:1], 0x58
	s_load_b64 s[4:5], s[0:1], 0x8
	;; [unrolled: 1-line block ×3, first 2 shown]
	s_mov_b32 s8, s15
	s_waitcnt lgkmcnt(0)
	s_bitcmp1_b32 s11, 0
	v_mov_b32_e32 v10, s4
	s_cselect_b32 s6, -1, 0
	s_delay_alu instid0(SALU_CYCLE_1)
	s_and_b32 vcc_lo, exec_lo, s6
	s_xor_b32 s6, s6, -1
	s_cbranch_vccz .LBB391_15
; %bb.1:
	v_cndmask_b32_e64 v1, 0, 1, s6
	v_mov_b32_e32 v11, s5
	s_and_not1_b32 vcc_lo, exec_lo, s6
	s_cbranch_vccz .LBB391_16
.LBB391_2:
	s_delay_alu instid0(VALU_DEP_2)
	v_cmp_ne_u32_e32 vcc_lo, 1, v1
	v_mov_b32_e32 v8, s2
	s_cbranch_vccz .LBB391_17
.LBB391_3:
	v_cmp_ne_u32_e32 vcc_lo, 1, v1
	v_mov_b32_e32 v9, s3
	s_cbranch_vccnz .LBB391_5
.LBB391_4:
	v_dual_mov_b32 v1, s2 :: v_dual_mov_b32 v2, s3
	flat_load_b32 v9, v[1:2] offset:4
.LBB391_5:
	s_waitcnt vmcnt(0) lgkmcnt(0)
	v_cmp_eq_f32_e32 vcc_lo, 0, v10
	v_cmp_eq_f32_e64 s2, 0, v11
	s_delay_alu instid0(VALU_DEP_1)
	s_and_b32 s4, vcc_lo, s2
	s_mov_b32 s2, -1
	s_and_saveexec_b32 s3, s4
; %bb.6:
	v_cmp_neq_f32_e32 vcc_lo, 1.0, v8
	v_cmp_neq_f32_e64 s2, 0, v9
	s_delay_alu instid0(VALU_DEP_1) | instskip(NEXT) | instid1(SALU_CYCLE_1)
	s_or_b32 s2, vcc_lo, s2
	s_or_not1_b32 s2, s2, exec_lo
; %bb.7:
	s_or_b32 exec_lo, exec_lo, s3
	s_and_saveexec_b32 s3, s2
	s_cbranch_execz .LBB391_44
; %bb.8:
	s_clause 0x1
	s_load_b128 s[4:7], s[0:1], 0x18
	s_load_b64 s[2:3], s[0:1], 0x28
	s_waitcnt lgkmcnt(0)
	s_cmp_eq_u64 s[4:5], 0
	s_cbranch_scc1 .LBB391_10
; %bb.9:
	s_ashr_i32 s9, s8, 31
	s_delay_alu instid0(SALU_CYCLE_1) | instskip(NEXT) | instid1(SALU_CYCLE_1)
	s_lshl_b64 s[8:9], s[8:9], 2
	s_add_u32 s4, s4, s8
	s_addc_u32 s5, s5, s9
	s_load_b32 s4, s[4:5], 0x0
	s_waitcnt lgkmcnt(0)
	s_sub_i32 s8, s4, s10
.LBB391_10:
	s_load_b32 s4, s[0:1], 0x4
	v_mul_u32_u24_e32 v1, 0xaab, v0
	v_mov_b32_e32 v2, 0
	s_delay_alu instid0(VALU_DEP_2) | instskip(NEXT) | instid1(VALU_DEP_1)
	v_lshrrev_b32_e32 v3, 16, v1
	v_mul_lo_u16 v1, v3, 24
	s_delay_alu instid0(VALU_DEP_1)
	v_sub_nc_u16 v12, v0, v1
	v_mov_b32_e32 v1, 0
	s_waitcnt lgkmcnt(0)
	s_cmp_eq_u32 s4, 1
	s_cselect_b32 vcc_lo, -1, 0
	s_cmp_lg_u32 s4, 1
	s_cselect_b32 s11, -1, 0
	s_ashr_i32 s9, s8, 31
	s_delay_alu instid0(SALU_CYCLE_1) | instskip(NEXT) | instid1(SALU_CYCLE_1)
	s_lshl_b64 s[4:5], s[8:9], 2
	s_add_u32 s6, s6, s4
	s_addc_u32 s7, s7, s5
	s_add_u32 s9, s6, 4
	s_addc_u32 s12, s7, 0
	;; [unrolled: 2-line block ×3, first 2 shown]
	s_cmp_eq_u64 s[2:3], 0
	s_cselect_b32 s3, s12, s5
	s_cselect_b32 s2, s9, s4
	s_load_b32 s9, s[6:7], 0x0
	s_load_b32 s14, s[2:3], 0x0
	s_load_b64 s[2:3], s[0:1], 0x50
	s_waitcnt lgkmcnt(0)
	s_cmp_ge_i32 s9, s14
	s_cbranch_scc1 .LBB391_18
; %bb.11:
	s_clause 0x1
	s_load_b128 s[4:7], s[0:1], 0x30
	s_load_b64 s[12:13], s[0:1], 0x40
	v_and_b32_e32 v1, 0xffff, v3
	v_cmp_gt_u32_e64 s0, 0x240, v0
	s_sub_i32 s9, s9, s10
	v_and_b32_e32 v3, 0xffff, v12
	s_sub_i32 s1, s14, s10
	v_subrev_nc_u32_e32 v2, 24, v1
	s_mul_i32 s14, s9, 0x900
	s_delay_alu instid0(VALU_DEP_1) | instskip(SKIP_2) | instid1(VALU_DEP_3)
	v_cndmask_b32_e64 v1, v2, v1, s0
	v_mov_b32_e32 v2, 0
	v_cmp_lt_u32_e64 s0, 0x23f, v0
	v_dual_cndmask_b32 v3, v3, v1 :: v_dual_lshlrev_b32 v4, 2, v0
	s_delay_alu instid0(VALU_DEP_3) | instskip(NEXT) | instid1(VALU_DEP_3)
	v_mov_b32_e32 v1, v2
	v_cndmask_b32_e64 v13, 0, 1, s0
	s_mul_hi_i32 s0, s9, 0x900
	s_waitcnt lgkmcnt(0)
	s_add_u32 s6, s6, s14
	s_addc_u32 s0, s7, s0
	v_add_co_u32 v4, s6, s6, v4
	s_delay_alu instid0(VALU_DEP_1)
	v_add_co_ci_u32_e64 v5, null, s0, 0, s6
	s_set_inst_prefetch_distance 0x1
	s_branch .LBB391_13
	.p2align	6
.LBB391_12:                             ;   in Loop: Header=BB391_13 Depth=1
	s_or_b32 exec_lo, exec_lo, s0
	s_add_i32 s9, s9, 1
	s_delay_alu instid0(SALU_CYCLE_1)
	s_cmp_lt_i32 s9, s1
	s_cbranch_scc0 .LBB391_18
.LBB391_13:                             ; =>This Inner Loop Header: Depth=1
	v_add_nc_u32_e32 v6, s9, v13
	s_mov_b32 s0, exec_lo
	s_delay_alu instid0(VALU_DEP_1)
	v_cmpx_gt_i32_e64 s1, v6
	s_cbranch_execz .LBB391_12
; %bb.14:                               ;   in Loop: Header=BB391_13 Depth=1
	v_ashrrev_i32_e32 v7, 31, v6
	s_delay_alu instid0(VALU_DEP_1) | instskip(NEXT) | instid1(VALU_DEP_1)
	v_lshlrev_b64 v[6:7], 2, v[6:7]
	v_add_co_u32 v6, vcc_lo, s4, v6
	s_delay_alu instid0(VALU_DEP_2) | instskip(SKIP_3) | instid1(VALU_DEP_1)
	v_add_co_ci_u32_e32 v7, vcc_lo, s5, v7, vcc_lo
	global_load_b32 v6, v[6:7], off
	s_waitcnt vmcnt(0)
	v_subrev_nc_u32_e32 v14, s10, v6
	v_mad_u64_u32 v[6:7], null, v14, 24, v[3:4]
	s_delay_alu instid0(VALU_DEP_1) | instskip(NEXT) | instid1(VALU_DEP_1)
	v_ashrrev_i32_e32 v7, 31, v6
	v_lshlrev_b64 v[6:7], 3, v[6:7]
	s_delay_alu instid0(VALU_DEP_1) | instskip(NEXT) | instid1(VALU_DEP_2)
	v_add_co_u32 v6, vcc_lo, s12, v6
	v_add_co_ci_u32_e32 v7, vcc_lo, s13, v7, vcc_lo
	global_load_b32 v14, v[4:5], off
	global_load_b64 v[6:7], v[6:7], off
	v_add_co_u32 v4, vcc_lo, 0x900, v4
	v_add_co_ci_u32_e32 v5, vcc_lo, 0, v5, vcc_lo
	s_waitcnt vmcnt(0)
	v_fmac_f32_e32 v1, v14, v6
	s_delay_alu instid0(VALU_DEP_1) | instskip(NEXT) | instid1(VALU_DEP_1)
	v_dual_fmac_f32 v2, 0, v6 :: v_dual_fmac_f32 v1, 0x80000000, v7
	v_fmac_f32_e32 v2, v14, v7
	s_branch .LBB391_12
.LBB391_15:
	v_dual_mov_b32 v1, s4 :: v_dual_mov_b32 v2, s5
	flat_load_b32 v10, v[1:2]
	v_cndmask_b32_e64 v1, 0, 1, s6
	v_mov_b32_e32 v11, s5
	s_and_not1_b32 vcc_lo, exec_lo, s6
	s_cbranch_vccnz .LBB391_2
.LBB391_16:
	v_dual_mov_b32 v2, s4 :: v_dual_mov_b32 v3, s5
	flat_load_b32 v11, v[2:3] offset:4
	v_cmp_ne_u32_e32 vcc_lo, 1, v1
	v_mov_b32_e32 v8, s2
	s_cbranch_vccnz .LBB391_3
.LBB391_17:
	v_dual_mov_b32 v2, s2 :: v_dual_mov_b32 v3, s3
	flat_load_b32 v8, v[2:3]
	v_cmp_ne_u32_e32 vcc_lo, 1, v1
	v_mov_b32_e32 v9, s3
	s_cbranch_vccz .LBB391_4
	s_branch .LBB391_5
.LBB391_18:
	s_set_inst_prefetch_distance 0x2
	v_lshlrev_b32_e32 v3, 3, v0
	s_and_b32 vcc_lo, exec_lo, s11
	ds_store_b64 v3, v[1:2]
	s_waitcnt lgkmcnt(0)
	s_barrier
	buffer_gl0_inv
	s_cbranch_vccz .LBB391_30
; %bb.19:
	v_cmp_gt_u16_e32 vcc_lo, 8, v12
	s_and_saveexec_b32 s0, vcc_lo
	s_cbranch_execz .LBB391_21
; %bb.20:
	ds_load_2addr_b64 v[4:7], v3 offset1:16
	s_waitcnt lgkmcnt(0)
	v_dual_add_f32 v4, v6, v4 :: v_dual_add_f32 v5, v7, v5
	ds_store_b64 v3, v[4:5]
.LBB391_21:
	s_or_b32 exec_lo, exec_lo, s0
	s_waitcnt lgkmcnt(0)
	s_barrier
	buffer_gl0_inv
	s_and_saveexec_b32 s0, vcc_lo
	s_cbranch_execz .LBB391_23
; %bb.22:
	ds_load_2addr_b64 v[4:7], v3 offset1:8
	s_waitcnt lgkmcnt(0)
	v_dual_add_f32 v4, v6, v4 :: v_dual_add_f32 v5, v7, v5
	ds_store_b64 v3, v[4:5]
.LBB391_23:
	s_or_b32 exec_lo, exec_lo, s0
	s_delay_alu instid0(SALU_CYCLE_1)
	s_mov_b32 s0, exec_lo
	s_waitcnt lgkmcnt(0)
	s_barrier
	buffer_gl0_inv
	v_cmpx_gt_u16_e32 4, v12
	s_cbranch_execz .LBB391_25
; %bb.24:
	ds_load_2addr_b64 v[4:7], v3 offset1:4
	s_waitcnt lgkmcnt(0)
	v_dual_add_f32 v4, v6, v4 :: v_dual_add_f32 v5, v7, v5
	ds_store_b64 v3, v[4:5]
.LBB391_25:
	s_or_b32 exec_lo, exec_lo, s0
	s_delay_alu instid0(SALU_CYCLE_1)
	s_mov_b32 s0, exec_lo
	s_waitcnt lgkmcnt(0)
	s_barrier
	buffer_gl0_inv
	v_cmpx_gt_u16_e32 2, v12
	s_cbranch_execz .LBB391_27
; %bb.26:
	ds_load_2addr_b64 v[4:7], v3 offset1:2
	s_waitcnt lgkmcnt(0)
	v_dual_add_f32 v4, v6, v4 :: v_dual_add_f32 v5, v7, v5
	ds_store_b64 v3, v[4:5]
.LBB391_27:
	s_or_b32 exec_lo, exec_lo, s0
	s_mov_b32 s1, 0
	s_mov_b32 s0, 0
	s_mov_b32 s4, exec_lo
	s_waitcnt lgkmcnt(0)
	s_barrier
	buffer_gl0_inv
                                        ; implicit-def: $vgpr5
                                        ; implicit-def: $vgpr4
	v_cmpx_gt_u32_e32 24, v0
	s_xor_b32 s4, exec_lo, s4
; %bb.28:
	v_mul_u32_u24_e32 v4, 24, v0
	s_mov_b32 s0, exec_lo
	s_delay_alu instid0(VALU_DEP_1)
	v_lshlrev_b32_e32 v5, 3, v4
	v_or_b32_e32 v4, 1, v4
; %bb.29:
	s_or_b32 exec_lo, exec_lo, s4
	s_delay_alu instid0(SALU_CYCLE_1)
	s_and_b32 vcc_lo, exec_lo, s1
	s_cbranch_vccnz .LBB391_31
	s_branch .LBB391_42
.LBB391_30:
	s_mov_b32 s0, 0
                                        ; implicit-def: $vgpr5
                                        ; implicit-def: $vgpr4
	s_cbranch_execz .LBB391_42
.LBB391_31:
	v_cmp_gt_u32_e32 vcc_lo, 0xc0, v0
	s_and_saveexec_b32 s1, vcc_lo
	s_cbranch_execz .LBB391_33
; %bb.32:
	ds_load_2addr_stride64_b64 v[4:7], v3 offset1:6
	s_waitcnt lgkmcnt(0)
	v_dual_add_f32 v4, v6, v4 :: v_dual_add_f32 v5, v7, v5
	ds_store_b64 v3, v[4:5]
.LBB391_33:
	s_or_b32 exec_lo, exec_lo, s1
	s_waitcnt lgkmcnt(0)
	s_barrier
	buffer_gl0_inv
	s_and_saveexec_b32 s1, vcc_lo
	s_cbranch_execz .LBB391_35
; %bb.34:
	ds_load_2addr_stride64_b64 v[4:7], v3 offset1:3
	s_waitcnt lgkmcnt(0)
	v_dual_add_f32 v4, v6, v4 :: v_dual_add_f32 v5, v7, v5
	ds_store_b64 v3, v[4:5]
.LBB391_35:
	s_or_b32 exec_lo, exec_lo, s1
	s_delay_alu instid0(SALU_CYCLE_1)
	s_mov_b32 s1, exec_lo
	s_waitcnt lgkmcnt(0)
	s_barrier
	buffer_gl0_inv
	v_cmpx_gt_u32_e32 0x60, v0
	s_cbranch_execz .LBB391_37
; %bb.36:
	ds_load_2addr_b64 v[4:7], v3 offset1:96
	s_waitcnt lgkmcnt(0)
	v_dual_add_f32 v4, v6, v4 :: v_dual_add_f32 v5, v7, v5
	ds_store_b64 v3, v[4:5]
.LBB391_37:
	s_or_b32 exec_lo, exec_lo, s1
	s_delay_alu instid0(SALU_CYCLE_1)
	s_mov_b32 s1, exec_lo
	s_waitcnt lgkmcnt(0)
	s_barrier
	buffer_gl0_inv
	v_cmpx_gt_u32_e32 48, v0
	s_cbranch_execz .LBB391_39
; %bb.38:
	ds_load_2addr_b64 v[4:7], v3 offset1:48
	s_waitcnt lgkmcnt(0)
	v_dual_add_f32 v4, v6, v4 :: v_dual_add_f32 v5, v7, v5
	ds_store_b64 v3, v[4:5]
.LBB391_39:
	s_or_b32 exec_lo, exec_lo, s1
	s_delay_alu instid0(SALU_CYCLE_1)
	s_mov_b32 s1, exec_lo
	s_waitcnt lgkmcnt(0)
	buffer_gl0_inv
                                        ; implicit-def: $vgpr4
	v_cmpx_gt_u32_e32 24, v0
; %bb.40:
	v_add_nc_u32_e32 v4, 24, v0
	s_or_b32 s0, s0, exec_lo
                                        ; implicit-def: $vgpr2
; %bb.41:
	s_or_b32 exec_lo, exec_lo, s1
	v_mov_b32_e32 v5, v3
.LBB391_42:
	s_and_saveexec_b32 s1, s0
	s_cbranch_execnz .LBB391_45
; %bb.43:
	s_or_b32 exec_lo, exec_lo, s1
	v_cmp_gt_u32_e32 vcc_lo, 24, v0
	s_and_b32 exec_lo, exec_lo, vcc_lo
	s_cbranch_execnz .LBB391_46
.LBB391_44:
	s_nop 0
	s_sendmsg sendmsg(MSG_DEALLOC_VGPRS)
	s_endpgm
.LBB391_45:
	v_lshlrev_b32_e32 v3, 3, v4
	ds_load_2addr_b32 v[1:2], v5 offset1:1
	ds_load_b64 v[3:4], v3
	s_waitcnt lgkmcnt(0)
	v_dual_add_f32 v2, v4, v2 :: v_dual_add_f32 v1, v3, v1
	s_or_b32 exec_lo, exec_lo, s1
	v_cmp_gt_u32_e32 vcc_lo, 24, v0
	s_and_b32 exec_lo, exec_lo, vcc_lo
	s_cbranch_execz .LBB391_44
.LBB391_46:
	v_mul_f32_e64 v3, v2, -v11
	v_mul_f32_e32 v4, v2, v10
	v_cmp_eq_f32_e32 vcc_lo, 0, v8
	v_cmp_eq_f32_e64 s0, 0, v9
	s_delay_alu instid0(VALU_DEP_4) | instskip(NEXT) | instid1(VALU_DEP_4)
	v_fmac_f32_e32 v3, v10, v1
	v_fmac_f32_e32 v4, v11, v1
	s_delay_alu instid0(VALU_DEP_3) | instskip(NEXT) | instid1(SALU_CYCLE_1)
	s_and_b32 s0, vcc_lo, s0
	s_and_saveexec_b32 s1, s0
	s_delay_alu instid0(SALU_CYCLE_1)
	s_xor_b32 s0, exec_lo, s1
	s_cbranch_execz .LBB391_48
; %bb.47:
	v_mad_u64_u32 v[1:2], null, s8, 24, v[0:1]
	v_mov_b32_e32 v2, 0
                                        ; implicit-def: $vgpr8
                                        ; implicit-def: $vgpr9
	s_delay_alu instid0(VALU_DEP_1) | instskip(NEXT) | instid1(VALU_DEP_1)
	v_lshlrev_b64 v[0:1], 3, v[1:2]
	v_add_co_u32 v0, vcc_lo, s2, v0
	s_delay_alu instid0(VALU_DEP_2)
	v_add_co_ci_u32_e32 v1, vcc_lo, s3, v1, vcc_lo
	global_store_b64 v[0:1], v[3:4], off
                                        ; implicit-def: $vgpr0
                                        ; implicit-def: $vgpr3
.LBB391_48:
	s_and_not1_saveexec_b32 s0, s0
	s_cbranch_execz .LBB391_44
; %bb.49:
	v_mad_u64_u32 v[1:2], null, s8, 24, v[0:1]
	v_mov_b32_e32 v2, 0
	s_delay_alu instid0(VALU_DEP_1) | instskip(NEXT) | instid1(VALU_DEP_1)
	v_lshlrev_b64 v[0:1], 3, v[1:2]
	v_add_co_u32 v0, vcc_lo, s2, v0
	s_delay_alu instid0(VALU_DEP_2) | instskip(SKIP_4) | instid1(VALU_DEP_2)
	v_add_co_ci_u32_e32 v1, vcc_lo, s3, v1, vcc_lo
	global_load_b64 v[5:6], v[0:1], off
	s_waitcnt vmcnt(0)
	v_fmac_f32_e32 v3, v8, v5
	v_fmac_f32_e32 v4, v9, v5
	v_fma_f32 v3, -v9, v6, v3
	s_delay_alu instid0(VALU_DEP_2)
	v_fmac_f32_e32 v4, v8, v6
	global_store_b64 v[0:1], v[3:4], off
	s_nop 0
	s_sendmsg sendmsg(MSG_DEALLOC_VGPRS)
	s_endpgm
	.section	.rodata,"a",@progbits
	.p2align	6, 0x0
	.amdhsa_kernel _ZN9rocsparseL20bsrxmvn_17_32_kernelILj24E21rocsparse_complex_numIfEiifS2_S2_EEvT2_20rocsparse_direction_NS_24const_host_device_scalarIT0_EES3_PKS3_PKT1_SC_S9_PKT3_PKT4_S7_PT5_21rocsparse_index_base_b
		.amdhsa_group_segment_fixed_size 4608
		.amdhsa_private_segment_fixed_size 0
		.amdhsa_kernarg_size 96
		.amdhsa_user_sgpr_count 15
		.amdhsa_user_sgpr_dispatch_ptr 0
		.amdhsa_user_sgpr_queue_ptr 0
		.amdhsa_user_sgpr_kernarg_segment_ptr 1
		.amdhsa_user_sgpr_dispatch_id 0
		.amdhsa_user_sgpr_private_segment_size 0
		.amdhsa_wavefront_size32 1
		.amdhsa_uses_dynamic_stack 0
		.amdhsa_enable_private_segment 0
		.amdhsa_system_sgpr_workgroup_id_x 1
		.amdhsa_system_sgpr_workgroup_id_y 0
		.amdhsa_system_sgpr_workgroup_id_z 0
		.amdhsa_system_sgpr_workgroup_info 0
		.amdhsa_system_vgpr_workitem_id 0
		.amdhsa_next_free_vgpr 15
		.amdhsa_next_free_sgpr 16
		.amdhsa_reserve_vcc 1
		.amdhsa_float_round_mode_32 0
		.amdhsa_float_round_mode_16_64 0
		.amdhsa_float_denorm_mode_32 3
		.amdhsa_float_denorm_mode_16_64 3
		.amdhsa_dx10_clamp 1
		.amdhsa_ieee_mode 1
		.amdhsa_fp16_overflow 0
		.amdhsa_workgroup_processor_mode 1
		.amdhsa_memory_ordered 1
		.amdhsa_forward_progress 0
		.amdhsa_shared_vgpr_count 0
		.amdhsa_exception_fp_ieee_invalid_op 0
		.amdhsa_exception_fp_denorm_src 0
		.amdhsa_exception_fp_ieee_div_zero 0
		.amdhsa_exception_fp_ieee_overflow 0
		.amdhsa_exception_fp_ieee_underflow 0
		.amdhsa_exception_fp_ieee_inexact 0
		.amdhsa_exception_int_div_zero 0
	.end_amdhsa_kernel
	.section	.text._ZN9rocsparseL20bsrxmvn_17_32_kernelILj24E21rocsparse_complex_numIfEiifS2_S2_EEvT2_20rocsparse_direction_NS_24const_host_device_scalarIT0_EES3_PKS3_PKT1_SC_S9_PKT3_PKT4_S7_PT5_21rocsparse_index_base_b,"axG",@progbits,_ZN9rocsparseL20bsrxmvn_17_32_kernelILj24E21rocsparse_complex_numIfEiifS2_S2_EEvT2_20rocsparse_direction_NS_24const_host_device_scalarIT0_EES3_PKS3_PKT1_SC_S9_PKT3_PKT4_S7_PT5_21rocsparse_index_base_b,comdat
.Lfunc_end391:
	.size	_ZN9rocsparseL20bsrxmvn_17_32_kernelILj24E21rocsparse_complex_numIfEiifS2_S2_EEvT2_20rocsparse_direction_NS_24const_host_device_scalarIT0_EES3_PKS3_PKT1_SC_S9_PKT3_PKT4_S7_PT5_21rocsparse_index_base_b, .Lfunc_end391-_ZN9rocsparseL20bsrxmvn_17_32_kernelILj24E21rocsparse_complex_numIfEiifS2_S2_EEvT2_20rocsparse_direction_NS_24const_host_device_scalarIT0_EES3_PKS3_PKT1_SC_S9_PKT3_PKT4_S7_PT5_21rocsparse_index_base_b
                                        ; -- End function
	.section	.AMDGPU.csdata,"",@progbits
; Kernel info:
; codeLenInByte = 1804
; NumSgprs: 18
; NumVgprs: 15
; ScratchSize: 0
; MemoryBound: 0
; FloatMode: 240
; IeeeMode: 1
; LDSByteSize: 4608 bytes/workgroup (compile time only)
; SGPRBlocks: 2
; VGPRBlocks: 1
; NumSGPRsForWavesPerEU: 18
; NumVGPRsForWavesPerEU: 15
; Occupancy: 14
; WaveLimiterHint : 1
; COMPUTE_PGM_RSRC2:SCRATCH_EN: 0
; COMPUTE_PGM_RSRC2:USER_SGPR: 15
; COMPUTE_PGM_RSRC2:TRAP_HANDLER: 0
; COMPUTE_PGM_RSRC2:TGID_X_EN: 1
; COMPUTE_PGM_RSRC2:TGID_Y_EN: 0
; COMPUTE_PGM_RSRC2:TGID_Z_EN: 0
; COMPUTE_PGM_RSRC2:TIDIG_COMP_CNT: 0
	.section	.text._ZN9rocsparseL20bsrxmvn_17_32_kernelILj25E21rocsparse_complex_numIfEiifS2_S2_EEvT2_20rocsparse_direction_NS_24const_host_device_scalarIT0_EES3_PKS3_PKT1_SC_S9_PKT3_PKT4_S7_PT5_21rocsparse_index_base_b,"axG",@progbits,_ZN9rocsparseL20bsrxmvn_17_32_kernelILj25E21rocsparse_complex_numIfEiifS2_S2_EEvT2_20rocsparse_direction_NS_24const_host_device_scalarIT0_EES3_PKS3_PKT1_SC_S9_PKT3_PKT4_S7_PT5_21rocsparse_index_base_b,comdat
	.globl	_ZN9rocsparseL20bsrxmvn_17_32_kernelILj25E21rocsparse_complex_numIfEiifS2_S2_EEvT2_20rocsparse_direction_NS_24const_host_device_scalarIT0_EES3_PKS3_PKT1_SC_S9_PKT3_PKT4_S7_PT5_21rocsparse_index_base_b ; -- Begin function _ZN9rocsparseL20bsrxmvn_17_32_kernelILj25E21rocsparse_complex_numIfEiifS2_S2_EEvT2_20rocsparse_direction_NS_24const_host_device_scalarIT0_EES3_PKS3_PKT1_SC_S9_PKT3_PKT4_S7_PT5_21rocsparse_index_base_b
	.p2align	8
	.type	_ZN9rocsparseL20bsrxmvn_17_32_kernelILj25E21rocsparse_complex_numIfEiifS2_S2_EEvT2_20rocsparse_direction_NS_24const_host_device_scalarIT0_EES3_PKS3_PKT1_SC_S9_PKT3_PKT4_S7_PT5_21rocsparse_index_base_b,@function
_ZN9rocsparseL20bsrxmvn_17_32_kernelILj25E21rocsparse_complex_numIfEiifS2_S2_EEvT2_20rocsparse_direction_NS_24const_host_device_scalarIT0_EES3_PKS3_PKT1_SC_S9_PKT3_PKT4_S7_PT5_21rocsparse_index_base_b: ; @_ZN9rocsparseL20bsrxmvn_17_32_kernelILj25E21rocsparse_complex_numIfEiifS2_S2_EEvT2_20rocsparse_direction_NS_24const_host_device_scalarIT0_EES3_PKS3_PKT1_SC_S9_PKT3_PKT4_S7_PT5_21rocsparse_index_base_b
; %bb.0:
	s_clause 0x2
	s_load_b64 s[10:11], s[0:1], 0x58
	s_load_b64 s[4:5], s[0:1], 0x8
	;; [unrolled: 1-line block ×3, first 2 shown]
	s_mov_b32 s8, s15
	s_waitcnt lgkmcnt(0)
	s_bitcmp1_b32 s11, 0
	v_mov_b32_e32 v10, s4
	s_cselect_b32 s6, -1, 0
	s_delay_alu instid0(SALU_CYCLE_1)
	s_and_b32 vcc_lo, exec_lo, s6
	s_xor_b32 s6, s6, -1
	s_cbranch_vccz .LBB392_15
; %bb.1:
	v_cndmask_b32_e64 v1, 0, 1, s6
	v_mov_b32_e32 v11, s5
	s_and_not1_b32 vcc_lo, exec_lo, s6
	s_cbranch_vccz .LBB392_16
.LBB392_2:
	s_delay_alu instid0(VALU_DEP_2)
	v_cmp_ne_u32_e32 vcc_lo, 1, v1
	v_mov_b32_e32 v8, s2
	s_cbranch_vccz .LBB392_17
.LBB392_3:
	v_cmp_ne_u32_e32 vcc_lo, 1, v1
	v_mov_b32_e32 v9, s3
	s_cbranch_vccnz .LBB392_5
.LBB392_4:
	v_dual_mov_b32 v1, s2 :: v_dual_mov_b32 v2, s3
	flat_load_b32 v9, v[1:2] offset:4
.LBB392_5:
	s_waitcnt vmcnt(0) lgkmcnt(0)
	v_cmp_eq_f32_e32 vcc_lo, 0, v10
	v_cmp_eq_f32_e64 s2, 0, v11
	s_delay_alu instid0(VALU_DEP_1)
	s_and_b32 s4, vcc_lo, s2
	s_mov_b32 s2, -1
	s_and_saveexec_b32 s3, s4
; %bb.6:
	v_cmp_neq_f32_e32 vcc_lo, 1.0, v8
	v_cmp_neq_f32_e64 s2, 0, v9
	s_delay_alu instid0(VALU_DEP_1) | instskip(NEXT) | instid1(SALU_CYCLE_1)
	s_or_b32 s2, vcc_lo, s2
	s_or_not1_b32 s2, s2, exec_lo
; %bb.7:
	s_or_b32 exec_lo, exec_lo, s3
	s_and_saveexec_b32 s3, s2
	s_cbranch_execz .LBB392_44
; %bb.8:
	s_clause 0x1
	s_load_b128 s[4:7], s[0:1], 0x18
	s_load_b64 s[2:3], s[0:1], 0x28
	s_waitcnt lgkmcnt(0)
	s_cmp_eq_u64 s[4:5], 0
	s_cbranch_scc1 .LBB392_10
; %bb.9:
	s_ashr_i32 s9, s8, 31
	s_delay_alu instid0(SALU_CYCLE_1) | instskip(NEXT) | instid1(SALU_CYCLE_1)
	s_lshl_b64 s[8:9], s[8:9], 2
	s_add_u32 s4, s4, s8
	s_addc_u32 s5, s5, s9
	s_load_b32 s4, s[4:5], 0x0
	s_waitcnt lgkmcnt(0)
	s_sub_i32 s8, s4, s10
.LBB392_10:
	s_load_b32 s4, s[0:1], 0x4
	v_mul_u32_u24_e32 v1, 0xa3e, v0
	v_mov_b32_e32 v2, 0
	s_delay_alu instid0(VALU_DEP_2) | instskip(NEXT) | instid1(VALU_DEP_1)
	v_lshrrev_b32_e32 v3, 16, v1
	v_mul_lo_u16 v1, v3, 25
	s_delay_alu instid0(VALU_DEP_1)
	v_sub_nc_u16 v12, v0, v1
	v_mov_b32_e32 v1, 0
	s_waitcnt lgkmcnt(0)
	s_cmp_eq_u32 s4, 1
	s_cselect_b32 vcc_lo, -1, 0
	s_cmp_lg_u32 s4, 1
	s_cselect_b32 s11, -1, 0
	s_ashr_i32 s9, s8, 31
	s_delay_alu instid0(SALU_CYCLE_1) | instskip(NEXT) | instid1(SALU_CYCLE_1)
	s_lshl_b64 s[4:5], s[8:9], 2
	s_add_u32 s6, s6, s4
	s_addc_u32 s7, s7, s5
	s_add_u32 s9, s6, 4
	s_addc_u32 s12, s7, 0
	;; [unrolled: 2-line block ×3, first 2 shown]
	s_cmp_eq_u64 s[2:3], 0
	s_cselect_b32 s3, s12, s5
	s_cselect_b32 s2, s9, s4
	s_load_b32 s9, s[6:7], 0x0
	s_load_b32 s14, s[2:3], 0x0
	s_load_b64 s[2:3], s[0:1], 0x50
	s_waitcnt lgkmcnt(0)
	s_cmp_ge_i32 s9, s14
	s_cbranch_scc1 .LBB392_18
; %bb.11:
	s_clause 0x1
	s_load_b128 s[4:7], s[0:1], 0x30
	s_load_b64 s[12:13], s[0:1], 0x40
	v_and_b32_e32 v1, 0xffff, v3
	v_cmp_gt_u32_e64 s0, 0x271, v0
	s_sub_i32 s9, s9, s10
	v_and_b32_e32 v3, 0xffff, v12
	s_sub_i32 s1, s14, s10
	v_subrev_nc_u32_e32 v2, 25, v1
	s_mul_i32 s14, s9, 0x9c4
	s_delay_alu instid0(VALU_DEP_1) | instskip(SKIP_2) | instid1(VALU_DEP_3)
	v_cndmask_b32_e64 v1, v2, v1, s0
	v_mov_b32_e32 v2, 0
	v_cmp_lt_u32_e64 s0, 0x270, v0
	v_dual_cndmask_b32 v3, v3, v1 :: v_dual_lshlrev_b32 v4, 2, v0
	s_delay_alu instid0(VALU_DEP_3) | instskip(NEXT) | instid1(VALU_DEP_3)
	v_mov_b32_e32 v1, v2
	v_cndmask_b32_e64 v13, 0, 1, s0
	s_mul_hi_i32 s0, s9, 0x9c4
	s_waitcnt lgkmcnt(0)
	s_add_u32 s6, s6, s14
	s_addc_u32 s0, s7, s0
	v_add_co_u32 v4, s6, s6, v4
	s_delay_alu instid0(VALU_DEP_1)
	v_add_co_ci_u32_e64 v5, null, s0, 0, s6
	s_set_inst_prefetch_distance 0x1
	s_branch .LBB392_13
	.p2align	6
.LBB392_12:                             ;   in Loop: Header=BB392_13 Depth=1
	s_or_b32 exec_lo, exec_lo, s0
	s_add_i32 s9, s9, 1
	s_delay_alu instid0(SALU_CYCLE_1)
	s_cmp_lt_i32 s9, s1
	s_cbranch_scc0 .LBB392_18
.LBB392_13:                             ; =>This Inner Loop Header: Depth=1
	v_add_nc_u32_e32 v6, s9, v13
	s_mov_b32 s0, exec_lo
	s_delay_alu instid0(VALU_DEP_1)
	v_cmpx_gt_i32_e64 s1, v6
	s_cbranch_execz .LBB392_12
; %bb.14:                               ;   in Loop: Header=BB392_13 Depth=1
	v_ashrrev_i32_e32 v7, 31, v6
	s_delay_alu instid0(VALU_DEP_1) | instskip(NEXT) | instid1(VALU_DEP_1)
	v_lshlrev_b64 v[6:7], 2, v[6:7]
	v_add_co_u32 v6, vcc_lo, s4, v6
	s_delay_alu instid0(VALU_DEP_2) | instskip(SKIP_3) | instid1(VALU_DEP_1)
	v_add_co_ci_u32_e32 v7, vcc_lo, s5, v7, vcc_lo
	global_load_b32 v6, v[6:7], off
	s_waitcnt vmcnt(0)
	v_subrev_nc_u32_e32 v14, s10, v6
	v_mad_u64_u32 v[6:7], null, v14, 25, v[3:4]
	s_delay_alu instid0(VALU_DEP_1) | instskip(NEXT) | instid1(VALU_DEP_1)
	v_ashrrev_i32_e32 v7, 31, v6
	v_lshlrev_b64 v[6:7], 3, v[6:7]
	s_delay_alu instid0(VALU_DEP_1) | instskip(NEXT) | instid1(VALU_DEP_2)
	v_add_co_u32 v6, vcc_lo, s12, v6
	v_add_co_ci_u32_e32 v7, vcc_lo, s13, v7, vcc_lo
	global_load_b32 v14, v[4:5], off
	global_load_b64 v[6:7], v[6:7], off
	v_add_co_u32 v4, vcc_lo, 0x9c4, v4
	v_add_co_ci_u32_e32 v5, vcc_lo, 0, v5, vcc_lo
	s_waitcnt vmcnt(0)
	v_fmac_f32_e32 v1, v14, v6
	s_delay_alu instid0(VALU_DEP_1) | instskip(NEXT) | instid1(VALU_DEP_1)
	v_dual_fmac_f32 v2, 0, v6 :: v_dual_fmac_f32 v1, 0x80000000, v7
	v_fmac_f32_e32 v2, v14, v7
	s_branch .LBB392_12
.LBB392_15:
	v_dual_mov_b32 v1, s4 :: v_dual_mov_b32 v2, s5
	flat_load_b32 v10, v[1:2]
	v_cndmask_b32_e64 v1, 0, 1, s6
	v_mov_b32_e32 v11, s5
	s_and_not1_b32 vcc_lo, exec_lo, s6
	s_cbranch_vccnz .LBB392_2
.LBB392_16:
	v_dual_mov_b32 v2, s4 :: v_dual_mov_b32 v3, s5
	flat_load_b32 v11, v[2:3] offset:4
	v_cmp_ne_u32_e32 vcc_lo, 1, v1
	v_mov_b32_e32 v8, s2
	s_cbranch_vccnz .LBB392_3
.LBB392_17:
	v_dual_mov_b32 v2, s2 :: v_dual_mov_b32 v3, s3
	flat_load_b32 v8, v[2:3]
	v_cmp_ne_u32_e32 vcc_lo, 1, v1
	v_mov_b32_e32 v9, s3
	s_cbranch_vccz .LBB392_4
	s_branch .LBB392_5
.LBB392_18:
	s_set_inst_prefetch_distance 0x2
	v_lshlrev_b32_e32 v3, 3, v0
	s_and_b32 vcc_lo, exec_lo, s11
	ds_store_b64 v3, v[1:2]
	s_waitcnt lgkmcnt(0)
	s_barrier
	buffer_gl0_inv
	s_cbranch_vccz .LBB392_30
; %bb.19:
	s_mov_b32 s0, exec_lo
	v_cmpx_gt_u16_e32 9, v12
	s_cbranch_execz .LBB392_21
; %bb.20:
	ds_load_2addr_b64 v[4:7], v3 offset1:16
	s_waitcnt lgkmcnt(0)
	v_dual_add_f32 v4, v6, v4 :: v_dual_add_f32 v5, v7, v5
	ds_store_b64 v3, v[4:5]
.LBB392_21:
	s_or_b32 exec_lo, exec_lo, s0
	s_delay_alu instid0(SALU_CYCLE_1)
	s_mov_b32 s0, exec_lo
	s_waitcnt lgkmcnt(0)
	s_barrier
	buffer_gl0_inv
	v_cmpx_gt_u16_e32 8, v12
	s_cbranch_execz .LBB392_23
; %bb.22:
	ds_load_2addr_b64 v[4:7], v3 offset1:8
	s_waitcnt lgkmcnt(0)
	v_dual_add_f32 v4, v6, v4 :: v_dual_add_f32 v5, v7, v5
	ds_store_b64 v3, v[4:5]
.LBB392_23:
	s_or_b32 exec_lo, exec_lo, s0
	s_delay_alu instid0(SALU_CYCLE_1)
	s_mov_b32 s0, exec_lo
	s_waitcnt lgkmcnt(0)
	s_barrier
	buffer_gl0_inv
	;; [unrolled: 14-line block ×3, first 2 shown]
	v_cmpx_gt_u16_e32 2, v12
	s_cbranch_execz .LBB392_27
; %bb.26:
	ds_load_2addr_b64 v[4:7], v3 offset1:2
	s_waitcnt lgkmcnt(0)
	v_dual_add_f32 v4, v6, v4 :: v_dual_add_f32 v5, v7, v5
	ds_store_b64 v3, v[4:5]
.LBB392_27:
	s_or_b32 exec_lo, exec_lo, s0
	s_mov_b32 s1, 0
	s_mov_b32 s0, 0
	s_mov_b32 s4, exec_lo
	s_waitcnt lgkmcnt(0)
	s_barrier
	buffer_gl0_inv
                                        ; implicit-def: $vgpr5
                                        ; implicit-def: $vgpr4
	v_cmpx_gt_u32_e32 25, v0
	s_xor_b32 s4, exec_lo, s4
; %bb.28:
	v_mul_u32_u24_e32 v4, 25, v0
	s_mov_b32 s0, exec_lo
	s_delay_alu instid0(VALU_DEP_1)
	v_lshlrev_b32_e32 v5, 3, v4
	v_mad_u32_u24 v4, v0, 25, 1
; %bb.29:
	s_or_b32 exec_lo, exec_lo, s4
	s_delay_alu instid0(SALU_CYCLE_1)
	s_and_b32 vcc_lo, exec_lo, s1
	s_cbranch_vccnz .LBB392_31
	s_branch .LBB392_42
.LBB392_30:
	s_mov_b32 s0, 0
                                        ; implicit-def: $vgpr5
                                        ; implicit-def: $vgpr4
	s_cbranch_execz .LBB392_42
.LBB392_31:
	s_mov_b32 s1, exec_lo
	v_cmpx_gt_u32_e32 0xe1, v0
	s_cbranch_execz .LBB392_33
; %bb.32:
	ds_load_b64 v[4:5], v3 offset:3200
	ds_load_b64 v[6:7], v3
	s_waitcnt lgkmcnt(0)
	v_dual_add_f32 v4, v4, v6 :: v_dual_add_f32 v5, v5, v7
	ds_store_b64 v3, v[4:5]
.LBB392_33:
	s_or_b32 exec_lo, exec_lo, s1
	s_delay_alu instid0(SALU_CYCLE_1)
	s_mov_b32 s1, exec_lo
	s_waitcnt lgkmcnt(0)
	s_barrier
	buffer_gl0_inv
	v_cmpx_gt_u32_e32 0xc8, v0
	s_cbranch_execz .LBB392_35
; %bb.34:
	ds_load_2addr_b64 v[4:7], v3 offset1:200
	s_waitcnt lgkmcnt(0)
	v_dual_add_f32 v4, v6, v4 :: v_dual_add_f32 v5, v7, v5
	ds_store_b64 v3, v[4:5]
.LBB392_35:
	s_or_b32 exec_lo, exec_lo, s1
	s_delay_alu instid0(SALU_CYCLE_1)
	s_mov_b32 s1, exec_lo
	s_waitcnt lgkmcnt(0)
	s_barrier
	buffer_gl0_inv
	v_cmpx_gt_u32_e32 0x64, v0
	s_cbranch_execz .LBB392_37
; %bb.36:
	ds_load_2addr_b64 v[4:7], v3 offset1:100
	s_waitcnt lgkmcnt(0)
	v_dual_add_f32 v4, v6, v4 :: v_dual_add_f32 v5, v7, v5
	ds_store_b64 v3, v[4:5]
.LBB392_37:
	;; [unrolled: 14-line block ×3, first 2 shown]
	s_or_b32 exec_lo, exec_lo, s1
	s_delay_alu instid0(SALU_CYCLE_1)
	s_mov_b32 s1, exec_lo
	s_waitcnt lgkmcnt(0)
	buffer_gl0_inv
                                        ; implicit-def: $vgpr4
	v_cmpx_gt_u32_e32 25, v0
; %bb.40:
	v_add_nc_u32_e32 v4, 25, v0
	s_or_b32 s0, s0, exec_lo
                                        ; implicit-def: $vgpr2
; %bb.41:
	s_or_b32 exec_lo, exec_lo, s1
	v_mov_b32_e32 v5, v3
.LBB392_42:
	s_and_saveexec_b32 s1, s0
	s_cbranch_execnz .LBB392_45
; %bb.43:
	s_or_b32 exec_lo, exec_lo, s1
	v_cmp_gt_u32_e32 vcc_lo, 25, v0
	s_and_b32 exec_lo, exec_lo, vcc_lo
	s_cbranch_execnz .LBB392_46
.LBB392_44:
	s_nop 0
	s_sendmsg sendmsg(MSG_DEALLOC_VGPRS)
	s_endpgm
.LBB392_45:
	v_lshlrev_b32_e32 v3, 3, v4
	ds_load_2addr_b32 v[1:2], v5 offset1:1
	ds_load_b64 v[3:4], v3
	s_waitcnt lgkmcnt(0)
	v_dual_add_f32 v2, v4, v2 :: v_dual_add_f32 v1, v3, v1
	s_or_b32 exec_lo, exec_lo, s1
	v_cmp_gt_u32_e32 vcc_lo, 25, v0
	s_and_b32 exec_lo, exec_lo, vcc_lo
	s_cbranch_execz .LBB392_44
.LBB392_46:
	v_mul_f32_e64 v3, v2, -v11
	v_mul_f32_e32 v4, v2, v10
	v_cmp_eq_f32_e32 vcc_lo, 0, v8
	v_cmp_eq_f32_e64 s0, 0, v9
	s_delay_alu instid0(VALU_DEP_4) | instskip(NEXT) | instid1(VALU_DEP_4)
	v_fmac_f32_e32 v3, v10, v1
	v_fmac_f32_e32 v4, v11, v1
	s_delay_alu instid0(VALU_DEP_3) | instskip(NEXT) | instid1(SALU_CYCLE_1)
	s_and_b32 s0, vcc_lo, s0
	s_and_saveexec_b32 s1, s0
	s_delay_alu instid0(SALU_CYCLE_1)
	s_xor_b32 s0, exec_lo, s1
	s_cbranch_execz .LBB392_48
; %bb.47:
	v_mad_u64_u32 v[1:2], null, s8, 25, v[0:1]
	v_mov_b32_e32 v2, 0
                                        ; implicit-def: $vgpr8
                                        ; implicit-def: $vgpr9
	s_delay_alu instid0(VALU_DEP_1) | instskip(NEXT) | instid1(VALU_DEP_1)
	v_lshlrev_b64 v[0:1], 3, v[1:2]
	v_add_co_u32 v0, vcc_lo, s2, v0
	s_delay_alu instid0(VALU_DEP_2)
	v_add_co_ci_u32_e32 v1, vcc_lo, s3, v1, vcc_lo
	global_store_b64 v[0:1], v[3:4], off
                                        ; implicit-def: $vgpr0
                                        ; implicit-def: $vgpr3
.LBB392_48:
	s_and_not1_saveexec_b32 s0, s0
	s_cbranch_execz .LBB392_44
; %bb.49:
	v_mad_u64_u32 v[1:2], null, s8, 25, v[0:1]
	v_mov_b32_e32 v2, 0
	s_delay_alu instid0(VALU_DEP_1) | instskip(NEXT) | instid1(VALU_DEP_1)
	v_lshlrev_b64 v[0:1], 3, v[1:2]
	v_add_co_u32 v0, vcc_lo, s2, v0
	s_delay_alu instid0(VALU_DEP_2) | instskip(SKIP_4) | instid1(VALU_DEP_2)
	v_add_co_ci_u32_e32 v1, vcc_lo, s3, v1, vcc_lo
	global_load_b64 v[5:6], v[0:1], off
	s_waitcnt vmcnt(0)
	v_fmac_f32_e32 v3, v8, v5
	v_fmac_f32_e32 v4, v9, v5
	v_fma_f32 v3, -v9, v6, v3
	s_delay_alu instid0(VALU_DEP_2)
	v_fmac_f32_e32 v4, v8, v6
	global_store_b64 v[0:1], v[3:4], off
	s_nop 0
	s_sendmsg sendmsg(MSG_DEALLOC_VGPRS)
	s_endpgm
	.section	.rodata,"a",@progbits
	.p2align	6, 0x0
	.amdhsa_kernel _ZN9rocsparseL20bsrxmvn_17_32_kernelILj25E21rocsparse_complex_numIfEiifS2_S2_EEvT2_20rocsparse_direction_NS_24const_host_device_scalarIT0_EES3_PKS3_PKT1_SC_S9_PKT3_PKT4_S7_PT5_21rocsparse_index_base_b
		.amdhsa_group_segment_fixed_size 5000
		.amdhsa_private_segment_fixed_size 0
		.amdhsa_kernarg_size 96
		.amdhsa_user_sgpr_count 15
		.amdhsa_user_sgpr_dispatch_ptr 0
		.amdhsa_user_sgpr_queue_ptr 0
		.amdhsa_user_sgpr_kernarg_segment_ptr 1
		.amdhsa_user_sgpr_dispatch_id 0
		.amdhsa_user_sgpr_private_segment_size 0
		.amdhsa_wavefront_size32 1
		.amdhsa_uses_dynamic_stack 0
		.amdhsa_enable_private_segment 0
		.amdhsa_system_sgpr_workgroup_id_x 1
		.amdhsa_system_sgpr_workgroup_id_y 0
		.amdhsa_system_sgpr_workgroup_id_z 0
		.amdhsa_system_sgpr_workgroup_info 0
		.amdhsa_system_vgpr_workitem_id 0
		.amdhsa_next_free_vgpr 15
		.amdhsa_next_free_sgpr 16
		.amdhsa_reserve_vcc 1
		.amdhsa_float_round_mode_32 0
		.amdhsa_float_round_mode_16_64 0
		.amdhsa_float_denorm_mode_32 3
		.amdhsa_float_denorm_mode_16_64 3
		.amdhsa_dx10_clamp 1
		.amdhsa_ieee_mode 1
		.amdhsa_fp16_overflow 0
		.amdhsa_workgroup_processor_mode 1
		.amdhsa_memory_ordered 1
		.amdhsa_forward_progress 0
		.amdhsa_shared_vgpr_count 0
		.amdhsa_exception_fp_ieee_invalid_op 0
		.amdhsa_exception_fp_denorm_src 0
		.amdhsa_exception_fp_ieee_div_zero 0
		.amdhsa_exception_fp_ieee_overflow 0
		.amdhsa_exception_fp_ieee_underflow 0
		.amdhsa_exception_fp_ieee_inexact 0
		.amdhsa_exception_int_div_zero 0
	.end_amdhsa_kernel
	.section	.text._ZN9rocsparseL20bsrxmvn_17_32_kernelILj25E21rocsparse_complex_numIfEiifS2_S2_EEvT2_20rocsparse_direction_NS_24const_host_device_scalarIT0_EES3_PKS3_PKT1_SC_S9_PKT3_PKT4_S7_PT5_21rocsparse_index_base_b,"axG",@progbits,_ZN9rocsparseL20bsrxmvn_17_32_kernelILj25E21rocsparse_complex_numIfEiifS2_S2_EEvT2_20rocsparse_direction_NS_24const_host_device_scalarIT0_EES3_PKS3_PKT1_SC_S9_PKT3_PKT4_S7_PT5_21rocsparse_index_base_b,comdat
.Lfunc_end392:
	.size	_ZN9rocsparseL20bsrxmvn_17_32_kernelILj25E21rocsparse_complex_numIfEiifS2_S2_EEvT2_20rocsparse_direction_NS_24const_host_device_scalarIT0_EES3_PKS3_PKT1_SC_S9_PKT3_PKT4_S7_PT5_21rocsparse_index_base_b, .Lfunc_end392-_ZN9rocsparseL20bsrxmvn_17_32_kernelILj25E21rocsparse_complex_numIfEiifS2_S2_EEvT2_20rocsparse_direction_NS_24const_host_device_scalarIT0_EES3_PKS3_PKT1_SC_S9_PKT3_PKT4_S7_PT5_21rocsparse_index_base_b
                                        ; -- End function
	.section	.AMDGPU.csdata,"",@progbits
; Kernel info:
; codeLenInByte = 1836
; NumSgprs: 18
; NumVgprs: 15
; ScratchSize: 0
; MemoryBound: 0
; FloatMode: 240
; IeeeMode: 1
; LDSByteSize: 5000 bytes/workgroup (compile time only)
; SGPRBlocks: 2
; VGPRBlocks: 1
; NumSGPRsForWavesPerEU: 18
; NumVGPRsForWavesPerEU: 15
; Occupancy: 15
; WaveLimiterHint : 1
; COMPUTE_PGM_RSRC2:SCRATCH_EN: 0
; COMPUTE_PGM_RSRC2:USER_SGPR: 15
; COMPUTE_PGM_RSRC2:TRAP_HANDLER: 0
; COMPUTE_PGM_RSRC2:TGID_X_EN: 1
; COMPUTE_PGM_RSRC2:TGID_Y_EN: 0
; COMPUTE_PGM_RSRC2:TGID_Z_EN: 0
; COMPUTE_PGM_RSRC2:TIDIG_COMP_CNT: 0
	.section	.text._ZN9rocsparseL20bsrxmvn_17_32_kernelILj26E21rocsparse_complex_numIfEiifS2_S2_EEvT2_20rocsparse_direction_NS_24const_host_device_scalarIT0_EES3_PKS3_PKT1_SC_S9_PKT3_PKT4_S7_PT5_21rocsparse_index_base_b,"axG",@progbits,_ZN9rocsparseL20bsrxmvn_17_32_kernelILj26E21rocsparse_complex_numIfEiifS2_S2_EEvT2_20rocsparse_direction_NS_24const_host_device_scalarIT0_EES3_PKS3_PKT1_SC_S9_PKT3_PKT4_S7_PT5_21rocsparse_index_base_b,comdat
	.globl	_ZN9rocsparseL20bsrxmvn_17_32_kernelILj26E21rocsparse_complex_numIfEiifS2_S2_EEvT2_20rocsparse_direction_NS_24const_host_device_scalarIT0_EES3_PKS3_PKT1_SC_S9_PKT3_PKT4_S7_PT5_21rocsparse_index_base_b ; -- Begin function _ZN9rocsparseL20bsrxmvn_17_32_kernelILj26E21rocsparse_complex_numIfEiifS2_S2_EEvT2_20rocsparse_direction_NS_24const_host_device_scalarIT0_EES3_PKS3_PKT1_SC_S9_PKT3_PKT4_S7_PT5_21rocsparse_index_base_b
	.p2align	8
	.type	_ZN9rocsparseL20bsrxmvn_17_32_kernelILj26E21rocsparse_complex_numIfEiifS2_S2_EEvT2_20rocsparse_direction_NS_24const_host_device_scalarIT0_EES3_PKS3_PKT1_SC_S9_PKT3_PKT4_S7_PT5_21rocsparse_index_base_b,@function
_ZN9rocsparseL20bsrxmvn_17_32_kernelILj26E21rocsparse_complex_numIfEiifS2_S2_EEvT2_20rocsparse_direction_NS_24const_host_device_scalarIT0_EES3_PKS3_PKT1_SC_S9_PKT3_PKT4_S7_PT5_21rocsparse_index_base_b: ; @_ZN9rocsparseL20bsrxmvn_17_32_kernelILj26E21rocsparse_complex_numIfEiifS2_S2_EEvT2_20rocsparse_direction_NS_24const_host_device_scalarIT0_EES3_PKS3_PKT1_SC_S9_PKT3_PKT4_S7_PT5_21rocsparse_index_base_b
; %bb.0:
	s_clause 0x2
	s_load_b64 s[10:11], s[0:1], 0x58
	s_load_b64 s[4:5], s[0:1], 0x8
	;; [unrolled: 1-line block ×3, first 2 shown]
	s_mov_b32 s8, s15
	s_waitcnt lgkmcnt(0)
	s_bitcmp1_b32 s11, 0
	v_mov_b32_e32 v10, s4
	s_cselect_b32 s6, -1, 0
	s_delay_alu instid0(SALU_CYCLE_1)
	s_and_b32 vcc_lo, exec_lo, s6
	s_xor_b32 s6, s6, -1
	s_cbranch_vccz .LBB393_15
; %bb.1:
	v_cndmask_b32_e64 v1, 0, 1, s6
	v_mov_b32_e32 v11, s5
	s_and_not1_b32 vcc_lo, exec_lo, s6
	s_cbranch_vccz .LBB393_16
.LBB393_2:
	s_delay_alu instid0(VALU_DEP_2)
	v_cmp_ne_u32_e32 vcc_lo, 1, v1
	v_mov_b32_e32 v8, s2
	s_cbranch_vccz .LBB393_17
.LBB393_3:
	v_cmp_ne_u32_e32 vcc_lo, 1, v1
	v_mov_b32_e32 v9, s3
	s_cbranch_vccnz .LBB393_5
.LBB393_4:
	v_dual_mov_b32 v1, s2 :: v_dual_mov_b32 v2, s3
	flat_load_b32 v9, v[1:2] offset:4
.LBB393_5:
	s_waitcnt vmcnt(0) lgkmcnt(0)
	v_cmp_eq_f32_e32 vcc_lo, 0, v10
	v_cmp_eq_f32_e64 s2, 0, v11
	s_delay_alu instid0(VALU_DEP_1)
	s_and_b32 s4, vcc_lo, s2
	s_mov_b32 s2, -1
	s_and_saveexec_b32 s3, s4
; %bb.6:
	v_cmp_neq_f32_e32 vcc_lo, 1.0, v8
	v_cmp_neq_f32_e64 s2, 0, v9
	s_delay_alu instid0(VALU_DEP_1) | instskip(NEXT) | instid1(SALU_CYCLE_1)
	s_or_b32 s2, vcc_lo, s2
	s_or_not1_b32 s2, s2, exec_lo
; %bb.7:
	s_or_b32 exec_lo, exec_lo, s3
	s_and_saveexec_b32 s3, s2
	s_cbranch_execz .LBB393_44
; %bb.8:
	s_clause 0x1
	s_load_b128 s[4:7], s[0:1], 0x18
	s_load_b64 s[2:3], s[0:1], 0x28
	s_waitcnt lgkmcnt(0)
	s_cmp_eq_u64 s[4:5], 0
	s_cbranch_scc1 .LBB393_10
; %bb.9:
	s_ashr_i32 s9, s8, 31
	s_delay_alu instid0(SALU_CYCLE_1) | instskip(NEXT) | instid1(SALU_CYCLE_1)
	s_lshl_b64 s[8:9], s[8:9], 2
	s_add_u32 s4, s4, s8
	s_addc_u32 s5, s5, s9
	s_load_b32 s4, s[4:5], 0x0
	s_waitcnt lgkmcnt(0)
	s_sub_i32 s8, s4, s10
.LBB393_10:
	s_load_b32 s4, s[0:1], 0x4
	v_mul_u32_u24_e32 v1, 0x9d9, v0
	v_mov_b32_e32 v2, 0
	s_delay_alu instid0(VALU_DEP_2) | instskip(NEXT) | instid1(VALU_DEP_1)
	v_lshrrev_b32_e32 v3, 16, v1
	v_mul_lo_u16 v1, v3, 26
	s_delay_alu instid0(VALU_DEP_1)
	v_sub_nc_u16 v12, v0, v1
	v_mov_b32_e32 v1, 0
	s_waitcnt lgkmcnt(0)
	s_cmp_eq_u32 s4, 1
	s_cselect_b32 vcc_lo, -1, 0
	s_cmp_lg_u32 s4, 1
	s_cselect_b32 s11, -1, 0
	s_ashr_i32 s9, s8, 31
	s_delay_alu instid0(SALU_CYCLE_1) | instskip(NEXT) | instid1(SALU_CYCLE_1)
	s_lshl_b64 s[4:5], s[8:9], 2
	s_add_u32 s6, s6, s4
	s_addc_u32 s7, s7, s5
	s_add_u32 s9, s6, 4
	s_addc_u32 s12, s7, 0
	;; [unrolled: 2-line block ×3, first 2 shown]
	s_cmp_eq_u64 s[2:3], 0
	s_cselect_b32 s3, s12, s5
	s_cselect_b32 s2, s9, s4
	s_load_b32 s9, s[6:7], 0x0
	s_load_b32 s14, s[2:3], 0x0
	s_load_b64 s[2:3], s[0:1], 0x50
	s_waitcnt lgkmcnt(0)
	s_cmp_ge_i32 s9, s14
	s_cbranch_scc1 .LBB393_18
; %bb.11:
	s_clause 0x1
	s_load_b128 s[4:7], s[0:1], 0x30
	s_load_b64 s[12:13], s[0:1], 0x40
	v_and_b32_e32 v1, 0xffff, v3
	v_cmp_gt_u32_e64 s0, 0x2a4, v0
	s_sub_i32 s9, s9, s10
	v_and_b32_e32 v3, 0xffff, v12
	s_sub_i32 s1, s14, s10
	v_subrev_nc_u32_e32 v2, 26, v1
	s_mul_i32 s14, s9, 0xa90
	s_delay_alu instid0(VALU_DEP_1) | instskip(SKIP_2) | instid1(VALU_DEP_3)
	v_cndmask_b32_e64 v1, v2, v1, s0
	v_mov_b32_e32 v2, 0
	v_cmp_lt_u32_e64 s0, 0x2a3, v0
	v_dual_cndmask_b32 v3, v3, v1 :: v_dual_lshlrev_b32 v4, 2, v0
	s_delay_alu instid0(VALU_DEP_3) | instskip(NEXT) | instid1(VALU_DEP_3)
	v_mov_b32_e32 v1, v2
	v_cndmask_b32_e64 v13, 0, 1, s0
	s_mul_hi_i32 s0, s9, 0xa90
	s_waitcnt lgkmcnt(0)
	s_add_u32 s6, s6, s14
	s_addc_u32 s0, s7, s0
	v_add_co_u32 v4, s6, s6, v4
	s_delay_alu instid0(VALU_DEP_1)
	v_add_co_ci_u32_e64 v5, null, s0, 0, s6
	s_set_inst_prefetch_distance 0x1
	s_branch .LBB393_13
	.p2align	6
.LBB393_12:                             ;   in Loop: Header=BB393_13 Depth=1
	s_or_b32 exec_lo, exec_lo, s0
	s_add_i32 s9, s9, 1
	s_delay_alu instid0(SALU_CYCLE_1)
	s_cmp_lt_i32 s9, s1
	s_cbranch_scc0 .LBB393_18
.LBB393_13:                             ; =>This Inner Loop Header: Depth=1
	v_add_nc_u32_e32 v6, s9, v13
	s_mov_b32 s0, exec_lo
	s_delay_alu instid0(VALU_DEP_1)
	v_cmpx_gt_i32_e64 s1, v6
	s_cbranch_execz .LBB393_12
; %bb.14:                               ;   in Loop: Header=BB393_13 Depth=1
	v_ashrrev_i32_e32 v7, 31, v6
	s_delay_alu instid0(VALU_DEP_1) | instskip(NEXT) | instid1(VALU_DEP_1)
	v_lshlrev_b64 v[6:7], 2, v[6:7]
	v_add_co_u32 v6, vcc_lo, s4, v6
	s_delay_alu instid0(VALU_DEP_2) | instskip(SKIP_3) | instid1(VALU_DEP_1)
	v_add_co_ci_u32_e32 v7, vcc_lo, s5, v7, vcc_lo
	global_load_b32 v6, v[6:7], off
	s_waitcnt vmcnt(0)
	v_subrev_nc_u32_e32 v14, s10, v6
	v_mad_u64_u32 v[6:7], null, v14, 26, v[3:4]
	s_delay_alu instid0(VALU_DEP_1) | instskip(NEXT) | instid1(VALU_DEP_1)
	v_ashrrev_i32_e32 v7, 31, v6
	v_lshlrev_b64 v[6:7], 3, v[6:7]
	s_delay_alu instid0(VALU_DEP_1) | instskip(NEXT) | instid1(VALU_DEP_2)
	v_add_co_u32 v6, vcc_lo, s12, v6
	v_add_co_ci_u32_e32 v7, vcc_lo, s13, v7, vcc_lo
	global_load_b32 v14, v[4:5], off
	global_load_b64 v[6:7], v[6:7], off
	v_add_co_u32 v4, vcc_lo, 0xa90, v4
	v_add_co_ci_u32_e32 v5, vcc_lo, 0, v5, vcc_lo
	s_waitcnt vmcnt(0)
	v_fmac_f32_e32 v1, v14, v6
	s_delay_alu instid0(VALU_DEP_1) | instskip(NEXT) | instid1(VALU_DEP_1)
	v_dual_fmac_f32 v2, 0, v6 :: v_dual_fmac_f32 v1, 0x80000000, v7
	v_fmac_f32_e32 v2, v14, v7
	s_branch .LBB393_12
.LBB393_15:
	v_dual_mov_b32 v1, s4 :: v_dual_mov_b32 v2, s5
	flat_load_b32 v10, v[1:2]
	v_cndmask_b32_e64 v1, 0, 1, s6
	v_mov_b32_e32 v11, s5
	s_and_not1_b32 vcc_lo, exec_lo, s6
	s_cbranch_vccnz .LBB393_2
.LBB393_16:
	v_dual_mov_b32 v2, s4 :: v_dual_mov_b32 v3, s5
	flat_load_b32 v11, v[2:3] offset:4
	v_cmp_ne_u32_e32 vcc_lo, 1, v1
	v_mov_b32_e32 v8, s2
	s_cbranch_vccnz .LBB393_3
.LBB393_17:
	v_dual_mov_b32 v2, s2 :: v_dual_mov_b32 v3, s3
	flat_load_b32 v8, v[2:3]
	v_cmp_ne_u32_e32 vcc_lo, 1, v1
	v_mov_b32_e32 v9, s3
	s_cbranch_vccz .LBB393_4
	s_branch .LBB393_5
.LBB393_18:
	s_set_inst_prefetch_distance 0x2
	v_lshlrev_b32_e32 v3, 3, v0
	s_and_b32 vcc_lo, exec_lo, s11
	ds_store_b64 v3, v[1:2]
	s_waitcnt lgkmcnt(0)
	s_barrier
	buffer_gl0_inv
	s_cbranch_vccz .LBB393_30
; %bb.19:
	s_mov_b32 s0, exec_lo
	v_cmpx_gt_u16_e32 10, v12
	s_cbranch_execz .LBB393_21
; %bb.20:
	ds_load_2addr_b64 v[4:7], v3 offset1:16
	s_waitcnt lgkmcnt(0)
	v_dual_add_f32 v4, v6, v4 :: v_dual_add_f32 v5, v7, v5
	ds_store_b64 v3, v[4:5]
.LBB393_21:
	s_or_b32 exec_lo, exec_lo, s0
	s_delay_alu instid0(SALU_CYCLE_1)
	s_mov_b32 s0, exec_lo
	s_waitcnt lgkmcnt(0)
	s_barrier
	buffer_gl0_inv
	v_cmpx_gt_u16_e32 8, v12
	s_cbranch_execz .LBB393_23
; %bb.22:
	ds_load_2addr_b64 v[4:7], v3 offset1:8
	s_waitcnt lgkmcnt(0)
	v_dual_add_f32 v4, v6, v4 :: v_dual_add_f32 v5, v7, v5
	ds_store_b64 v3, v[4:5]
.LBB393_23:
	s_or_b32 exec_lo, exec_lo, s0
	s_delay_alu instid0(SALU_CYCLE_1)
	s_mov_b32 s0, exec_lo
	s_waitcnt lgkmcnt(0)
	s_barrier
	buffer_gl0_inv
	;; [unrolled: 14-line block ×3, first 2 shown]
	v_cmpx_gt_u16_e32 2, v12
	s_cbranch_execz .LBB393_27
; %bb.26:
	ds_load_2addr_b64 v[4:7], v3 offset1:2
	s_waitcnt lgkmcnt(0)
	v_dual_add_f32 v4, v6, v4 :: v_dual_add_f32 v5, v7, v5
	ds_store_b64 v3, v[4:5]
.LBB393_27:
	s_or_b32 exec_lo, exec_lo, s0
	s_mov_b32 s1, 0
	s_mov_b32 s0, 0
	s_mov_b32 s4, exec_lo
	s_waitcnt lgkmcnt(0)
	s_barrier
	buffer_gl0_inv
                                        ; implicit-def: $vgpr5
                                        ; implicit-def: $vgpr4
	v_cmpx_gt_u32_e32 26, v0
	s_xor_b32 s4, exec_lo, s4
; %bb.28:
	v_mul_u32_u24_e32 v4, 26, v0
	s_mov_b32 s0, exec_lo
	s_delay_alu instid0(VALU_DEP_1)
	v_lshlrev_b32_e32 v5, 3, v4
	v_or_b32_e32 v4, 1, v4
; %bb.29:
	s_or_b32 exec_lo, exec_lo, s4
	s_delay_alu instid0(SALU_CYCLE_1)
	s_and_b32 vcc_lo, exec_lo, s1
	s_cbranch_vccnz .LBB393_31
	s_branch .LBB393_42
.LBB393_30:
	s_mov_b32 s0, 0
                                        ; implicit-def: $vgpr5
                                        ; implicit-def: $vgpr4
	s_cbranch_execz .LBB393_42
.LBB393_31:
	s_mov_b32 s1, exec_lo
	v_cmpx_gt_u32_e32 0x104, v0
	s_cbranch_execz .LBB393_33
; %bb.32:
	ds_load_b64 v[4:5], v3 offset:3328
	ds_load_b64 v[6:7], v3
	s_waitcnt lgkmcnt(0)
	v_dual_add_f32 v4, v4, v6 :: v_dual_add_f32 v5, v5, v7
	ds_store_b64 v3, v[4:5]
.LBB393_33:
	s_or_b32 exec_lo, exec_lo, s1
	s_delay_alu instid0(SALU_CYCLE_1)
	s_mov_b32 s1, exec_lo
	s_waitcnt lgkmcnt(0)
	s_barrier
	buffer_gl0_inv
	v_cmpx_gt_u32_e32 0xd0, v0
	s_cbranch_execz .LBB393_35
; %bb.34:
	ds_load_2addr_b64 v[4:7], v3 offset1:208
	s_waitcnt lgkmcnt(0)
	v_dual_add_f32 v4, v6, v4 :: v_dual_add_f32 v5, v7, v5
	ds_store_b64 v3, v[4:5]
.LBB393_35:
	s_or_b32 exec_lo, exec_lo, s1
	s_delay_alu instid0(SALU_CYCLE_1)
	s_mov_b32 s1, exec_lo
	s_waitcnt lgkmcnt(0)
	s_barrier
	buffer_gl0_inv
	v_cmpx_gt_u32_e32 0x68, v0
	s_cbranch_execz .LBB393_37
; %bb.36:
	ds_load_2addr_b64 v[4:7], v3 offset1:104
	s_waitcnt lgkmcnt(0)
	v_dual_add_f32 v4, v6, v4 :: v_dual_add_f32 v5, v7, v5
	ds_store_b64 v3, v[4:5]
.LBB393_37:
	;; [unrolled: 14-line block ×3, first 2 shown]
	s_or_b32 exec_lo, exec_lo, s1
	s_delay_alu instid0(SALU_CYCLE_1)
	s_mov_b32 s1, exec_lo
	s_waitcnt lgkmcnt(0)
	buffer_gl0_inv
                                        ; implicit-def: $vgpr4
	v_cmpx_gt_u32_e32 26, v0
; %bb.40:
	v_add_nc_u32_e32 v4, 26, v0
	s_or_b32 s0, s0, exec_lo
                                        ; implicit-def: $vgpr2
; %bb.41:
	s_or_b32 exec_lo, exec_lo, s1
	v_mov_b32_e32 v5, v3
.LBB393_42:
	s_and_saveexec_b32 s1, s0
	s_cbranch_execnz .LBB393_45
; %bb.43:
	s_or_b32 exec_lo, exec_lo, s1
	v_cmp_gt_u32_e32 vcc_lo, 26, v0
	s_and_b32 exec_lo, exec_lo, vcc_lo
	s_cbranch_execnz .LBB393_46
.LBB393_44:
	s_nop 0
	s_sendmsg sendmsg(MSG_DEALLOC_VGPRS)
	s_endpgm
.LBB393_45:
	v_lshlrev_b32_e32 v3, 3, v4
	ds_load_2addr_b32 v[1:2], v5 offset1:1
	ds_load_b64 v[3:4], v3
	s_waitcnt lgkmcnt(0)
	v_dual_add_f32 v2, v4, v2 :: v_dual_add_f32 v1, v3, v1
	s_or_b32 exec_lo, exec_lo, s1
	v_cmp_gt_u32_e32 vcc_lo, 26, v0
	s_and_b32 exec_lo, exec_lo, vcc_lo
	s_cbranch_execz .LBB393_44
.LBB393_46:
	v_mul_f32_e64 v3, v2, -v11
	v_mul_f32_e32 v4, v2, v10
	v_cmp_eq_f32_e32 vcc_lo, 0, v8
	v_cmp_eq_f32_e64 s0, 0, v9
	s_delay_alu instid0(VALU_DEP_4) | instskip(NEXT) | instid1(VALU_DEP_4)
	v_fmac_f32_e32 v3, v10, v1
	v_fmac_f32_e32 v4, v11, v1
	s_delay_alu instid0(VALU_DEP_3) | instskip(NEXT) | instid1(SALU_CYCLE_1)
	s_and_b32 s0, vcc_lo, s0
	s_and_saveexec_b32 s1, s0
	s_delay_alu instid0(SALU_CYCLE_1)
	s_xor_b32 s0, exec_lo, s1
	s_cbranch_execz .LBB393_48
; %bb.47:
	v_mad_u64_u32 v[1:2], null, s8, 26, v[0:1]
	v_mov_b32_e32 v2, 0
                                        ; implicit-def: $vgpr8
                                        ; implicit-def: $vgpr9
	s_delay_alu instid0(VALU_DEP_1) | instskip(NEXT) | instid1(VALU_DEP_1)
	v_lshlrev_b64 v[0:1], 3, v[1:2]
	v_add_co_u32 v0, vcc_lo, s2, v0
	s_delay_alu instid0(VALU_DEP_2)
	v_add_co_ci_u32_e32 v1, vcc_lo, s3, v1, vcc_lo
	global_store_b64 v[0:1], v[3:4], off
                                        ; implicit-def: $vgpr0
                                        ; implicit-def: $vgpr3
.LBB393_48:
	s_and_not1_saveexec_b32 s0, s0
	s_cbranch_execz .LBB393_44
; %bb.49:
	v_mad_u64_u32 v[1:2], null, s8, 26, v[0:1]
	v_mov_b32_e32 v2, 0
	s_delay_alu instid0(VALU_DEP_1) | instskip(NEXT) | instid1(VALU_DEP_1)
	v_lshlrev_b64 v[0:1], 3, v[1:2]
	v_add_co_u32 v0, vcc_lo, s2, v0
	s_delay_alu instid0(VALU_DEP_2) | instskip(SKIP_4) | instid1(VALU_DEP_2)
	v_add_co_ci_u32_e32 v1, vcc_lo, s3, v1, vcc_lo
	global_load_b64 v[5:6], v[0:1], off
	s_waitcnt vmcnt(0)
	v_fmac_f32_e32 v3, v8, v5
	v_fmac_f32_e32 v4, v9, v5
	v_fma_f32 v3, -v9, v6, v3
	s_delay_alu instid0(VALU_DEP_2)
	v_fmac_f32_e32 v4, v8, v6
	global_store_b64 v[0:1], v[3:4], off
	s_nop 0
	s_sendmsg sendmsg(MSG_DEALLOC_VGPRS)
	s_endpgm
	.section	.rodata,"a",@progbits
	.p2align	6, 0x0
	.amdhsa_kernel _ZN9rocsparseL20bsrxmvn_17_32_kernelILj26E21rocsparse_complex_numIfEiifS2_S2_EEvT2_20rocsparse_direction_NS_24const_host_device_scalarIT0_EES3_PKS3_PKT1_SC_S9_PKT3_PKT4_S7_PT5_21rocsparse_index_base_b
		.amdhsa_group_segment_fixed_size 5408
		.amdhsa_private_segment_fixed_size 0
		.amdhsa_kernarg_size 96
		.amdhsa_user_sgpr_count 15
		.amdhsa_user_sgpr_dispatch_ptr 0
		.amdhsa_user_sgpr_queue_ptr 0
		.amdhsa_user_sgpr_kernarg_segment_ptr 1
		.amdhsa_user_sgpr_dispatch_id 0
		.amdhsa_user_sgpr_private_segment_size 0
		.amdhsa_wavefront_size32 1
		.amdhsa_uses_dynamic_stack 0
		.amdhsa_enable_private_segment 0
		.amdhsa_system_sgpr_workgroup_id_x 1
		.amdhsa_system_sgpr_workgroup_id_y 0
		.amdhsa_system_sgpr_workgroup_id_z 0
		.amdhsa_system_sgpr_workgroup_info 0
		.amdhsa_system_vgpr_workitem_id 0
		.amdhsa_next_free_vgpr 15
		.amdhsa_next_free_sgpr 16
		.amdhsa_reserve_vcc 1
		.amdhsa_float_round_mode_32 0
		.amdhsa_float_round_mode_16_64 0
		.amdhsa_float_denorm_mode_32 3
		.amdhsa_float_denorm_mode_16_64 3
		.amdhsa_dx10_clamp 1
		.amdhsa_ieee_mode 1
		.amdhsa_fp16_overflow 0
		.amdhsa_workgroup_processor_mode 1
		.amdhsa_memory_ordered 1
		.amdhsa_forward_progress 0
		.amdhsa_shared_vgpr_count 0
		.amdhsa_exception_fp_ieee_invalid_op 0
		.amdhsa_exception_fp_denorm_src 0
		.amdhsa_exception_fp_ieee_div_zero 0
		.amdhsa_exception_fp_ieee_overflow 0
		.amdhsa_exception_fp_ieee_underflow 0
		.amdhsa_exception_fp_ieee_inexact 0
		.amdhsa_exception_int_div_zero 0
	.end_amdhsa_kernel
	.section	.text._ZN9rocsparseL20bsrxmvn_17_32_kernelILj26E21rocsparse_complex_numIfEiifS2_S2_EEvT2_20rocsparse_direction_NS_24const_host_device_scalarIT0_EES3_PKS3_PKT1_SC_S9_PKT3_PKT4_S7_PT5_21rocsparse_index_base_b,"axG",@progbits,_ZN9rocsparseL20bsrxmvn_17_32_kernelILj26E21rocsparse_complex_numIfEiifS2_S2_EEvT2_20rocsparse_direction_NS_24const_host_device_scalarIT0_EES3_PKS3_PKT1_SC_S9_PKT3_PKT4_S7_PT5_21rocsparse_index_base_b,comdat
.Lfunc_end393:
	.size	_ZN9rocsparseL20bsrxmvn_17_32_kernelILj26E21rocsparse_complex_numIfEiifS2_S2_EEvT2_20rocsparse_direction_NS_24const_host_device_scalarIT0_EES3_PKS3_PKT1_SC_S9_PKT3_PKT4_S7_PT5_21rocsparse_index_base_b, .Lfunc_end393-_ZN9rocsparseL20bsrxmvn_17_32_kernelILj26E21rocsparse_complex_numIfEiifS2_S2_EEvT2_20rocsparse_direction_NS_24const_host_device_scalarIT0_EES3_PKS3_PKT1_SC_S9_PKT3_PKT4_S7_PT5_21rocsparse_index_base_b
                                        ; -- End function
	.section	.AMDGPU.csdata,"",@progbits
; Kernel info:
; codeLenInByte = 1832
; NumSgprs: 18
; NumVgprs: 15
; ScratchSize: 0
; MemoryBound: 0
; FloatMode: 240
; IeeeMode: 1
; LDSByteSize: 5408 bytes/workgroup (compile time only)
; SGPRBlocks: 2
; VGPRBlocks: 1
; NumSGPRsForWavesPerEU: 18
; NumVGPRsForWavesPerEU: 15
; Occupancy: 11
; WaveLimiterHint : 1
; COMPUTE_PGM_RSRC2:SCRATCH_EN: 0
; COMPUTE_PGM_RSRC2:USER_SGPR: 15
; COMPUTE_PGM_RSRC2:TRAP_HANDLER: 0
; COMPUTE_PGM_RSRC2:TGID_X_EN: 1
; COMPUTE_PGM_RSRC2:TGID_Y_EN: 0
; COMPUTE_PGM_RSRC2:TGID_Z_EN: 0
; COMPUTE_PGM_RSRC2:TIDIG_COMP_CNT: 0
	.section	.text._ZN9rocsparseL20bsrxmvn_17_32_kernelILj27E21rocsparse_complex_numIfEiifS2_S2_EEvT2_20rocsparse_direction_NS_24const_host_device_scalarIT0_EES3_PKS3_PKT1_SC_S9_PKT3_PKT4_S7_PT5_21rocsparse_index_base_b,"axG",@progbits,_ZN9rocsparseL20bsrxmvn_17_32_kernelILj27E21rocsparse_complex_numIfEiifS2_S2_EEvT2_20rocsparse_direction_NS_24const_host_device_scalarIT0_EES3_PKS3_PKT1_SC_S9_PKT3_PKT4_S7_PT5_21rocsparse_index_base_b,comdat
	.globl	_ZN9rocsparseL20bsrxmvn_17_32_kernelILj27E21rocsparse_complex_numIfEiifS2_S2_EEvT2_20rocsparse_direction_NS_24const_host_device_scalarIT0_EES3_PKS3_PKT1_SC_S9_PKT3_PKT4_S7_PT5_21rocsparse_index_base_b ; -- Begin function _ZN9rocsparseL20bsrxmvn_17_32_kernelILj27E21rocsparse_complex_numIfEiifS2_S2_EEvT2_20rocsparse_direction_NS_24const_host_device_scalarIT0_EES3_PKS3_PKT1_SC_S9_PKT3_PKT4_S7_PT5_21rocsparse_index_base_b
	.p2align	8
	.type	_ZN9rocsparseL20bsrxmvn_17_32_kernelILj27E21rocsparse_complex_numIfEiifS2_S2_EEvT2_20rocsparse_direction_NS_24const_host_device_scalarIT0_EES3_PKS3_PKT1_SC_S9_PKT3_PKT4_S7_PT5_21rocsparse_index_base_b,@function
_ZN9rocsparseL20bsrxmvn_17_32_kernelILj27E21rocsparse_complex_numIfEiifS2_S2_EEvT2_20rocsparse_direction_NS_24const_host_device_scalarIT0_EES3_PKS3_PKT1_SC_S9_PKT3_PKT4_S7_PT5_21rocsparse_index_base_b: ; @_ZN9rocsparseL20bsrxmvn_17_32_kernelILj27E21rocsparse_complex_numIfEiifS2_S2_EEvT2_20rocsparse_direction_NS_24const_host_device_scalarIT0_EES3_PKS3_PKT1_SC_S9_PKT3_PKT4_S7_PT5_21rocsparse_index_base_b
; %bb.0:
	s_clause 0x2
	s_load_b64 s[10:11], s[0:1], 0x58
	s_load_b64 s[4:5], s[0:1], 0x8
	;; [unrolled: 1-line block ×3, first 2 shown]
	s_mov_b32 s8, s15
	s_waitcnt lgkmcnt(0)
	s_bitcmp1_b32 s11, 0
	v_mov_b32_e32 v10, s4
	s_cselect_b32 s6, -1, 0
	s_delay_alu instid0(SALU_CYCLE_1)
	s_and_b32 vcc_lo, exec_lo, s6
	s_xor_b32 s6, s6, -1
	s_cbranch_vccz .LBB394_15
; %bb.1:
	v_cndmask_b32_e64 v1, 0, 1, s6
	v_mov_b32_e32 v11, s5
	s_and_not1_b32 vcc_lo, exec_lo, s6
	s_cbranch_vccz .LBB394_16
.LBB394_2:
	s_delay_alu instid0(VALU_DEP_2)
	v_cmp_ne_u32_e32 vcc_lo, 1, v1
	v_mov_b32_e32 v8, s2
	s_cbranch_vccz .LBB394_17
.LBB394_3:
	v_cmp_ne_u32_e32 vcc_lo, 1, v1
	v_mov_b32_e32 v9, s3
	s_cbranch_vccnz .LBB394_5
.LBB394_4:
	v_dual_mov_b32 v1, s2 :: v_dual_mov_b32 v2, s3
	flat_load_b32 v9, v[1:2] offset:4
.LBB394_5:
	s_waitcnt vmcnt(0) lgkmcnt(0)
	v_cmp_eq_f32_e32 vcc_lo, 0, v10
	v_cmp_eq_f32_e64 s2, 0, v11
	s_delay_alu instid0(VALU_DEP_1)
	s_and_b32 s4, vcc_lo, s2
	s_mov_b32 s2, -1
	s_and_saveexec_b32 s3, s4
; %bb.6:
	v_cmp_neq_f32_e32 vcc_lo, 1.0, v8
	v_cmp_neq_f32_e64 s2, 0, v9
	s_delay_alu instid0(VALU_DEP_1) | instskip(NEXT) | instid1(SALU_CYCLE_1)
	s_or_b32 s2, vcc_lo, s2
	s_or_not1_b32 s2, s2, exec_lo
; %bb.7:
	s_or_b32 exec_lo, exec_lo, s3
	s_and_saveexec_b32 s3, s2
	s_cbranch_execz .LBB394_44
; %bb.8:
	s_clause 0x1
	s_load_b128 s[4:7], s[0:1], 0x18
	s_load_b64 s[2:3], s[0:1], 0x28
	s_waitcnt lgkmcnt(0)
	s_cmp_eq_u64 s[4:5], 0
	s_cbranch_scc1 .LBB394_10
; %bb.9:
	s_ashr_i32 s9, s8, 31
	s_delay_alu instid0(SALU_CYCLE_1) | instskip(NEXT) | instid1(SALU_CYCLE_1)
	s_lshl_b64 s[8:9], s[8:9], 2
	s_add_u32 s4, s4, s8
	s_addc_u32 s5, s5, s9
	s_load_b32 s4, s[4:5], 0x0
	s_waitcnt lgkmcnt(0)
	s_sub_i32 s8, s4, s10
.LBB394_10:
	s_load_b32 s4, s[0:1], 0x4
	v_mul_u32_u24_e32 v1, 0x97c, v0
	v_mov_b32_e32 v2, 0
	s_delay_alu instid0(VALU_DEP_2) | instskip(NEXT) | instid1(VALU_DEP_1)
	v_lshrrev_b32_e32 v3, 16, v1
	v_mul_lo_u16 v1, v3, 27
	s_delay_alu instid0(VALU_DEP_1)
	v_sub_nc_u16 v12, v0, v1
	v_mov_b32_e32 v1, 0
	s_waitcnt lgkmcnt(0)
	s_cmp_eq_u32 s4, 1
	s_cselect_b32 vcc_lo, -1, 0
	s_cmp_lg_u32 s4, 1
	s_cselect_b32 s11, -1, 0
	s_ashr_i32 s9, s8, 31
	s_delay_alu instid0(SALU_CYCLE_1) | instskip(NEXT) | instid1(SALU_CYCLE_1)
	s_lshl_b64 s[4:5], s[8:9], 2
	s_add_u32 s6, s6, s4
	s_addc_u32 s7, s7, s5
	s_add_u32 s9, s6, 4
	s_addc_u32 s12, s7, 0
	;; [unrolled: 2-line block ×3, first 2 shown]
	s_cmp_eq_u64 s[2:3], 0
	s_cselect_b32 s3, s12, s5
	s_cselect_b32 s2, s9, s4
	s_load_b32 s9, s[6:7], 0x0
	s_load_b32 s14, s[2:3], 0x0
	s_load_b64 s[2:3], s[0:1], 0x50
	s_waitcnt lgkmcnt(0)
	s_cmp_ge_i32 s9, s14
	s_cbranch_scc1 .LBB394_18
; %bb.11:
	s_clause 0x1
	s_load_b128 s[4:7], s[0:1], 0x30
	s_load_b64 s[12:13], s[0:1], 0x40
	v_and_b32_e32 v1, 0xffff, v3
	v_cmp_gt_u32_e64 s0, 0x2d9, v0
	s_sub_i32 s9, s9, s10
	v_and_b32_e32 v3, 0xffff, v12
	s_sub_i32 s1, s14, s10
	v_subrev_nc_u32_e32 v2, 27, v1
	s_mul_i32 s14, s9, 0xb64
	s_delay_alu instid0(VALU_DEP_1) | instskip(SKIP_2) | instid1(VALU_DEP_3)
	v_cndmask_b32_e64 v1, v2, v1, s0
	v_mov_b32_e32 v2, 0
	v_cmp_lt_u32_e64 s0, 0x2d8, v0
	v_dual_cndmask_b32 v3, v3, v1 :: v_dual_lshlrev_b32 v4, 2, v0
	s_delay_alu instid0(VALU_DEP_3) | instskip(NEXT) | instid1(VALU_DEP_3)
	v_mov_b32_e32 v1, v2
	v_cndmask_b32_e64 v13, 0, 1, s0
	s_mul_hi_i32 s0, s9, 0xb64
	s_waitcnt lgkmcnt(0)
	s_add_u32 s6, s6, s14
	s_addc_u32 s0, s7, s0
	v_add_co_u32 v4, s6, s6, v4
	s_delay_alu instid0(VALU_DEP_1)
	v_add_co_ci_u32_e64 v5, null, s0, 0, s6
	s_set_inst_prefetch_distance 0x1
	s_branch .LBB394_13
	.p2align	6
.LBB394_12:                             ;   in Loop: Header=BB394_13 Depth=1
	s_or_b32 exec_lo, exec_lo, s0
	s_add_i32 s9, s9, 1
	s_delay_alu instid0(SALU_CYCLE_1)
	s_cmp_lt_i32 s9, s1
	s_cbranch_scc0 .LBB394_18
.LBB394_13:                             ; =>This Inner Loop Header: Depth=1
	v_add_nc_u32_e32 v6, s9, v13
	s_mov_b32 s0, exec_lo
	s_delay_alu instid0(VALU_DEP_1)
	v_cmpx_gt_i32_e64 s1, v6
	s_cbranch_execz .LBB394_12
; %bb.14:                               ;   in Loop: Header=BB394_13 Depth=1
	v_ashrrev_i32_e32 v7, 31, v6
	s_delay_alu instid0(VALU_DEP_1) | instskip(NEXT) | instid1(VALU_DEP_1)
	v_lshlrev_b64 v[6:7], 2, v[6:7]
	v_add_co_u32 v6, vcc_lo, s4, v6
	s_delay_alu instid0(VALU_DEP_2) | instskip(SKIP_3) | instid1(VALU_DEP_1)
	v_add_co_ci_u32_e32 v7, vcc_lo, s5, v7, vcc_lo
	global_load_b32 v6, v[6:7], off
	s_waitcnt vmcnt(0)
	v_subrev_nc_u32_e32 v14, s10, v6
	v_mad_u64_u32 v[6:7], null, v14, 27, v[3:4]
	s_delay_alu instid0(VALU_DEP_1) | instskip(NEXT) | instid1(VALU_DEP_1)
	v_ashrrev_i32_e32 v7, 31, v6
	v_lshlrev_b64 v[6:7], 3, v[6:7]
	s_delay_alu instid0(VALU_DEP_1) | instskip(NEXT) | instid1(VALU_DEP_2)
	v_add_co_u32 v6, vcc_lo, s12, v6
	v_add_co_ci_u32_e32 v7, vcc_lo, s13, v7, vcc_lo
	global_load_b32 v14, v[4:5], off
	global_load_b64 v[6:7], v[6:7], off
	v_add_co_u32 v4, vcc_lo, 0xb64, v4
	v_add_co_ci_u32_e32 v5, vcc_lo, 0, v5, vcc_lo
	s_waitcnt vmcnt(0)
	v_fmac_f32_e32 v1, v14, v6
	s_delay_alu instid0(VALU_DEP_1) | instskip(NEXT) | instid1(VALU_DEP_1)
	v_dual_fmac_f32 v2, 0, v6 :: v_dual_fmac_f32 v1, 0x80000000, v7
	v_fmac_f32_e32 v2, v14, v7
	s_branch .LBB394_12
.LBB394_15:
	v_dual_mov_b32 v1, s4 :: v_dual_mov_b32 v2, s5
	flat_load_b32 v10, v[1:2]
	v_cndmask_b32_e64 v1, 0, 1, s6
	v_mov_b32_e32 v11, s5
	s_and_not1_b32 vcc_lo, exec_lo, s6
	s_cbranch_vccnz .LBB394_2
.LBB394_16:
	v_dual_mov_b32 v2, s4 :: v_dual_mov_b32 v3, s5
	flat_load_b32 v11, v[2:3] offset:4
	v_cmp_ne_u32_e32 vcc_lo, 1, v1
	v_mov_b32_e32 v8, s2
	s_cbranch_vccnz .LBB394_3
.LBB394_17:
	v_dual_mov_b32 v2, s2 :: v_dual_mov_b32 v3, s3
	flat_load_b32 v8, v[2:3]
	v_cmp_ne_u32_e32 vcc_lo, 1, v1
	v_mov_b32_e32 v9, s3
	s_cbranch_vccz .LBB394_4
	s_branch .LBB394_5
.LBB394_18:
	s_set_inst_prefetch_distance 0x2
	v_lshlrev_b32_e32 v3, 3, v0
	s_and_b32 vcc_lo, exec_lo, s11
	ds_store_b64 v3, v[1:2]
	s_waitcnt lgkmcnt(0)
	s_barrier
	buffer_gl0_inv
	s_cbranch_vccz .LBB394_30
; %bb.19:
	s_mov_b32 s0, exec_lo
	v_cmpx_gt_u16_e32 11, v12
	s_cbranch_execz .LBB394_21
; %bb.20:
	ds_load_2addr_b64 v[4:7], v3 offset1:16
	s_waitcnt lgkmcnt(0)
	v_dual_add_f32 v4, v6, v4 :: v_dual_add_f32 v5, v7, v5
	ds_store_b64 v3, v[4:5]
.LBB394_21:
	s_or_b32 exec_lo, exec_lo, s0
	s_delay_alu instid0(SALU_CYCLE_1)
	s_mov_b32 s0, exec_lo
	s_waitcnt lgkmcnt(0)
	s_barrier
	buffer_gl0_inv
	v_cmpx_gt_u16_e32 8, v12
	s_cbranch_execz .LBB394_23
; %bb.22:
	ds_load_2addr_b64 v[4:7], v3 offset1:8
	s_waitcnt lgkmcnt(0)
	v_dual_add_f32 v4, v6, v4 :: v_dual_add_f32 v5, v7, v5
	ds_store_b64 v3, v[4:5]
.LBB394_23:
	s_or_b32 exec_lo, exec_lo, s0
	s_delay_alu instid0(SALU_CYCLE_1)
	s_mov_b32 s0, exec_lo
	s_waitcnt lgkmcnt(0)
	s_barrier
	buffer_gl0_inv
	;; [unrolled: 14-line block ×3, first 2 shown]
	v_cmpx_gt_u16_e32 2, v12
	s_cbranch_execz .LBB394_27
; %bb.26:
	ds_load_2addr_b64 v[4:7], v3 offset1:2
	s_waitcnt lgkmcnt(0)
	v_dual_add_f32 v4, v6, v4 :: v_dual_add_f32 v5, v7, v5
	ds_store_b64 v3, v[4:5]
.LBB394_27:
	s_or_b32 exec_lo, exec_lo, s0
	s_mov_b32 s1, 0
	s_mov_b32 s0, 0
	s_mov_b32 s4, exec_lo
	s_waitcnt lgkmcnt(0)
	s_barrier
	buffer_gl0_inv
                                        ; implicit-def: $vgpr5
                                        ; implicit-def: $vgpr4
	v_cmpx_gt_u32_e32 27, v0
	s_xor_b32 s4, exec_lo, s4
; %bb.28:
	v_mul_u32_u24_e32 v4, 27, v0
	s_mov_b32 s0, exec_lo
	s_delay_alu instid0(VALU_DEP_1)
	v_lshlrev_b32_e32 v5, 3, v4
	v_mad_u32_u24 v4, v0, 27, 1
; %bb.29:
	s_or_b32 exec_lo, exec_lo, s4
	s_delay_alu instid0(SALU_CYCLE_1)
	s_and_b32 vcc_lo, exec_lo, s1
	s_cbranch_vccnz .LBB394_31
	s_branch .LBB394_42
.LBB394_30:
	s_mov_b32 s0, 0
                                        ; implicit-def: $vgpr5
                                        ; implicit-def: $vgpr4
	s_cbranch_execz .LBB394_42
.LBB394_31:
	s_mov_b32 s1, exec_lo
	v_cmpx_gt_u32_e32 0x129, v0
	s_cbranch_execz .LBB394_33
; %bb.32:
	ds_load_b64 v[4:5], v3 offset:3456
	ds_load_b64 v[6:7], v3
	s_waitcnt lgkmcnt(0)
	v_dual_add_f32 v4, v4, v6 :: v_dual_add_f32 v5, v5, v7
	ds_store_b64 v3, v[4:5]
.LBB394_33:
	s_or_b32 exec_lo, exec_lo, s1
	s_delay_alu instid0(SALU_CYCLE_1)
	s_mov_b32 s1, exec_lo
	s_waitcnt lgkmcnt(0)
	s_barrier
	buffer_gl0_inv
	v_cmpx_gt_u32_e32 0xd8, v0
	s_cbranch_execz .LBB394_35
; %bb.34:
	ds_load_2addr_b64 v[4:7], v3 offset1:216
	s_waitcnt lgkmcnt(0)
	v_dual_add_f32 v4, v6, v4 :: v_dual_add_f32 v5, v7, v5
	ds_store_b64 v3, v[4:5]
.LBB394_35:
	s_or_b32 exec_lo, exec_lo, s1
	s_delay_alu instid0(SALU_CYCLE_1)
	s_mov_b32 s1, exec_lo
	s_waitcnt lgkmcnt(0)
	s_barrier
	buffer_gl0_inv
	v_cmpx_gt_u32_e32 0x6c, v0
	s_cbranch_execz .LBB394_37
; %bb.36:
	ds_load_2addr_b64 v[4:7], v3 offset1:108
	s_waitcnt lgkmcnt(0)
	v_dual_add_f32 v4, v6, v4 :: v_dual_add_f32 v5, v7, v5
	ds_store_b64 v3, v[4:5]
.LBB394_37:
	;; [unrolled: 14-line block ×3, first 2 shown]
	s_or_b32 exec_lo, exec_lo, s1
	s_delay_alu instid0(SALU_CYCLE_1)
	s_mov_b32 s1, exec_lo
	s_waitcnt lgkmcnt(0)
	buffer_gl0_inv
                                        ; implicit-def: $vgpr4
	v_cmpx_gt_u32_e32 27, v0
; %bb.40:
	v_add_nc_u32_e32 v4, 27, v0
	s_or_b32 s0, s0, exec_lo
                                        ; implicit-def: $vgpr2
; %bb.41:
	s_or_b32 exec_lo, exec_lo, s1
	v_mov_b32_e32 v5, v3
.LBB394_42:
	s_and_saveexec_b32 s1, s0
	s_cbranch_execnz .LBB394_45
; %bb.43:
	s_or_b32 exec_lo, exec_lo, s1
	v_cmp_gt_u32_e32 vcc_lo, 27, v0
	s_and_b32 exec_lo, exec_lo, vcc_lo
	s_cbranch_execnz .LBB394_46
.LBB394_44:
	s_nop 0
	s_sendmsg sendmsg(MSG_DEALLOC_VGPRS)
	s_endpgm
.LBB394_45:
	v_lshlrev_b32_e32 v3, 3, v4
	ds_load_2addr_b32 v[1:2], v5 offset1:1
	ds_load_b64 v[3:4], v3
	s_waitcnt lgkmcnt(0)
	v_dual_add_f32 v2, v4, v2 :: v_dual_add_f32 v1, v3, v1
	s_or_b32 exec_lo, exec_lo, s1
	v_cmp_gt_u32_e32 vcc_lo, 27, v0
	s_and_b32 exec_lo, exec_lo, vcc_lo
	s_cbranch_execz .LBB394_44
.LBB394_46:
	v_mul_f32_e64 v3, v2, -v11
	v_mul_f32_e32 v4, v2, v10
	v_cmp_eq_f32_e32 vcc_lo, 0, v8
	v_cmp_eq_f32_e64 s0, 0, v9
	s_delay_alu instid0(VALU_DEP_4) | instskip(NEXT) | instid1(VALU_DEP_4)
	v_fmac_f32_e32 v3, v10, v1
	v_fmac_f32_e32 v4, v11, v1
	s_delay_alu instid0(VALU_DEP_3) | instskip(NEXT) | instid1(SALU_CYCLE_1)
	s_and_b32 s0, vcc_lo, s0
	s_and_saveexec_b32 s1, s0
	s_delay_alu instid0(SALU_CYCLE_1)
	s_xor_b32 s0, exec_lo, s1
	s_cbranch_execz .LBB394_48
; %bb.47:
	v_mad_u64_u32 v[1:2], null, s8, 27, v[0:1]
	v_mov_b32_e32 v2, 0
                                        ; implicit-def: $vgpr8
                                        ; implicit-def: $vgpr9
	s_delay_alu instid0(VALU_DEP_1) | instskip(NEXT) | instid1(VALU_DEP_1)
	v_lshlrev_b64 v[0:1], 3, v[1:2]
	v_add_co_u32 v0, vcc_lo, s2, v0
	s_delay_alu instid0(VALU_DEP_2)
	v_add_co_ci_u32_e32 v1, vcc_lo, s3, v1, vcc_lo
	global_store_b64 v[0:1], v[3:4], off
                                        ; implicit-def: $vgpr0
                                        ; implicit-def: $vgpr3
.LBB394_48:
	s_and_not1_saveexec_b32 s0, s0
	s_cbranch_execz .LBB394_44
; %bb.49:
	v_mad_u64_u32 v[1:2], null, s8, 27, v[0:1]
	v_mov_b32_e32 v2, 0
	s_delay_alu instid0(VALU_DEP_1) | instskip(NEXT) | instid1(VALU_DEP_1)
	v_lshlrev_b64 v[0:1], 3, v[1:2]
	v_add_co_u32 v0, vcc_lo, s2, v0
	s_delay_alu instid0(VALU_DEP_2) | instskip(SKIP_4) | instid1(VALU_DEP_2)
	v_add_co_ci_u32_e32 v1, vcc_lo, s3, v1, vcc_lo
	global_load_b64 v[5:6], v[0:1], off
	s_waitcnt vmcnt(0)
	v_fmac_f32_e32 v3, v8, v5
	v_fmac_f32_e32 v4, v9, v5
	v_fma_f32 v3, -v9, v6, v3
	s_delay_alu instid0(VALU_DEP_2)
	v_fmac_f32_e32 v4, v8, v6
	global_store_b64 v[0:1], v[3:4], off
	s_nop 0
	s_sendmsg sendmsg(MSG_DEALLOC_VGPRS)
	s_endpgm
	.section	.rodata,"a",@progbits
	.p2align	6, 0x0
	.amdhsa_kernel _ZN9rocsparseL20bsrxmvn_17_32_kernelILj27E21rocsparse_complex_numIfEiifS2_S2_EEvT2_20rocsparse_direction_NS_24const_host_device_scalarIT0_EES3_PKS3_PKT1_SC_S9_PKT3_PKT4_S7_PT5_21rocsparse_index_base_b
		.amdhsa_group_segment_fixed_size 5832
		.amdhsa_private_segment_fixed_size 0
		.amdhsa_kernarg_size 96
		.amdhsa_user_sgpr_count 15
		.amdhsa_user_sgpr_dispatch_ptr 0
		.amdhsa_user_sgpr_queue_ptr 0
		.amdhsa_user_sgpr_kernarg_segment_ptr 1
		.amdhsa_user_sgpr_dispatch_id 0
		.amdhsa_user_sgpr_private_segment_size 0
		.amdhsa_wavefront_size32 1
		.amdhsa_uses_dynamic_stack 0
		.amdhsa_enable_private_segment 0
		.amdhsa_system_sgpr_workgroup_id_x 1
		.amdhsa_system_sgpr_workgroup_id_y 0
		.amdhsa_system_sgpr_workgroup_id_z 0
		.amdhsa_system_sgpr_workgroup_info 0
		.amdhsa_system_vgpr_workitem_id 0
		.amdhsa_next_free_vgpr 15
		.amdhsa_next_free_sgpr 16
		.amdhsa_reserve_vcc 1
		.amdhsa_float_round_mode_32 0
		.amdhsa_float_round_mode_16_64 0
		.amdhsa_float_denorm_mode_32 3
		.amdhsa_float_denorm_mode_16_64 3
		.amdhsa_dx10_clamp 1
		.amdhsa_ieee_mode 1
		.amdhsa_fp16_overflow 0
		.amdhsa_workgroup_processor_mode 1
		.amdhsa_memory_ordered 1
		.amdhsa_forward_progress 0
		.amdhsa_shared_vgpr_count 0
		.amdhsa_exception_fp_ieee_invalid_op 0
		.amdhsa_exception_fp_denorm_src 0
		.amdhsa_exception_fp_ieee_div_zero 0
		.amdhsa_exception_fp_ieee_overflow 0
		.amdhsa_exception_fp_ieee_underflow 0
		.amdhsa_exception_fp_ieee_inexact 0
		.amdhsa_exception_int_div_zero 0
	.end_amdhsa_kernel
	.section	.text._ZN9rocsparseL20bsrxmvn_17_32_kernelILj27E21rocsparse_complex_numIfEiifS2_S2_EEvT2_20rocsparse_direction_NS_24const_host_device_scalarIT0_EES3_PKS3_PKT1_SC_S9_PKT3_PKT4_S7_PT5_21rocsparse_index_base_b,"axG",@progbits,_ZN9rocsparseL20bsrxmvn_17_32_kernelILj27E21rocsparse_complex_numIfEiifS2_S2_EEvT2_20rocsparse_direction_NS_24const_host_device_scalarIT0_EES3_PKS3_PKT1_SC_S9_PKT3_PKT4_S7_PT5_21rocsparse_index_base_b,comdat
.Lfunc_end394:
	.size	_ZN9rocsparseL20bsrxmvn_17_32_kernelILj27E21rocsparse_complex_numIfEiifS2_S2_EEvT2_20rocsparse_direction_NS_24const_host_device_scalarIT0_EES3_PKS3_PKT1_SC_S9_PKT3_PKT4_S7_PT5_21rocsparse_index_base_b, .Lfunc_end394-_ZN9rocsparseL20bsrxmvn_17_32_kernelILj27E21rocsparse_complex_numIfEiifS2_S2_EEvT2_20rocsparse_direction_NS_24const_host_device_scalarIT0_EES3_PKS3_PKT1_SC_S9_PKT3_PKT4_S7_PT5_21rocsparse_index_base_b
                                        ; -- End function
	.section	.AMDGPU.csdata,"",@progbits
; Kernel info:
; codeLenInByte = 1836
; NumSgprs: 18
; NumVgprs: 15
; ScratchSize: 0
; MemoryBound: 0
; FloatMode: 240
; IeeeMode: 1
; LDSByteSize: 5832 bytes/workgroup (compile time only)
; SGPRBlocks: 2
; VGPRBlocks: 1
; NumSGPRsForWavesPerEU: 18
; NumVGPRsForWavesPerEU: 15
; Occupancy: 12
; WaveLimiterHint : 1
; COMPUTE_PGM_RSRC2:SCRATCH_EN: 0
; COMPUTE_PGM_RSRC2:USER_SGPR: 15
; COMPUTE_PGM_RSRC2:TRAP_HANDLER: 0
; COMPUTE_PGM_RSRC2:TGID_X_EN: 1
; COMPUTE_PGM_RSRC2:TGID_Y_EN: 0
; COMPUTE_PGM_RSRC2:TGID_Z_EN: 0
; COMPUTE_PGM_RSRC2:TIDIG_COMP_CNT: 0
	.section	.text._ZN9rocsparseL20bsrxmvn_17_32_kernelILj28E21rocsparse_complex_numIfEiifS2_S2_EEvT2_20rocsparse_direction_NS_24const_host_device_scalarIT0_EES3_PKS3_PKT1_SC_S9_PKT3_PKT4_S7_PT5_21rocsparse_index_base_b,"axG",@progbits,_ZN9rocsparseL20bsrxmvn_17_32_kernelILj28E21rocsparse_complex_numIfEiifS2_S2_EEvT2_20rocsparse_direction_NS_24const_host_device_scalarIT0_EES3_PKS3_PKT1_SC_S9_PKT3_PKT4_S7_PT5_21rocsparse_index_base_b,comdat
	.globl	_ZN9rocsparseL20bsrxmvn_17_32_kernelILj28E21rocsparse_complex_numIfEiifS2_S2_EEvT2_20rocsparse_direction_NS_24const_host_device_scalarIT0_EES3_PKS3_PKT1_SC_S9_PKT3_PKT4_S7_PT5_21rocsparse_index_base_b ; -- Begin function _ZN9rocsparseL20bsrxmvn_17_32_kernelILj28E21rocsparse_complex_numIfEiifS2_S2_EEvT2_20rocsparse_direction_NS_24const_host_device_scalarIT0_EES3_PKS3_PKT1_SC_S9_PKT3_PKT4_S7_PT5_21rocsparse_index_base_b
	.p2align	8
	.type	_ZN9rocsparseL20bsrxmvn_17_32_kernelILj28E21rocsparse_complex_numIfEiifS2_S2_EEvT2_20rocsparse_direction_NS_24const_host_device_scalarIT0_EES3_PKS3_PKT1_SC_S9_PKT3_PKT4_S7_PT5_21rocsparse_index_base_b,@function
_ZN9rocsparseL20bsrxmvn_17_32_kernelILj28E21rocsparse_complex_numIfEiifS2_S2_EEvT2_20rocsparse_direction_NS_24const_host_device_scalarIT0_EES3_PKS3_PKT1_SC_S9_PKT3_PKT4_S7_PT5_21rocsparse_index_base_b: ; @_ZN9rocsparseL20bsrxmvn_17_32_kernelILj28E21rocsparse_complex_numIfEiifS2_S2_EEvT2_20rocsparse_direction_NS_24const_host_device_scalarIT0_EES3_PKS3_PKT1_SC_S9_PKT3_PKT4_S7_PT5_21rocsparse_index_base_b
; %bb.0:
	s_clause 0x2
	s_load_b64 s[10:11], s[0:1], 0x58
	s_load_b64 s[4:5], s[0:1], 0x8
	;; [unrolled: 1-line block ×3, first 2 shown]
	s_mov_b32 s8, s15
	s_waitcnt lgkmcnt(0)
	s_bitcmp1_b32 s11, 0
	v_mov_b32_e32 v10, s4
	s_cselect_b32 s6, -1, 0
	s_delay_alu instid0(SALU_CYCLE_1)
	s_and_b32 vcc_lo, exec_lo, s6
	s_xor_b32 s6, s6, -1
	s_cbranch_vccz .LBB395_15
; %bb.1:
	v_cndmask_b32_e64 v1, 0, 1, s6
	v_mov_b32_e32 v11, s5
	s_and_not1_b32 vcc_lo, exec_lo, s6
	s_cbranch_vccz .LBB395_16
.LBB395_2:
	s_delay_alu instid0(VALU_DEP_2)
	v_cmp_ne_u32_e32 vcc_lo, 1, v1
	v_mov_b32_e32 v8, s2
	s_cbranch_vccz .LBB395_17
.LBB395_3:
	v_cmp_ne_u32_e32 vcc_lo, 1, v1
	v_mov_b32_e32 v9, s3
	s_cbranch_vccnz .LBB395_5
.LBB395_4:
	v_dual_mov_b32 v1, s2 :: v_dual_mov_b32 v2, s3
	flat_load_b32 v9, v[1:2] offset:4
.LBB395_5:
	s_waitcnt vmcnt(0) lgkmcnt(0)
	v_cmp_eq_f32_e32 vcc_lo, 0, v10
	v_cmp_eq_f32_e64 s2, 0, v11
	s_delay_alu instid0(VALU_DEP_1)
	s_and_b32 s4, vcc_lo, s2
	s_mov_b32 s2, -1
	s_and_saveexec_b32 s3, s4
; %bb.6:
	v_cmp_neq_f32_e32 vcc_lo, 1.0, v8
	v_cmp_neq_f32_e64 s2, 0, v9
	s_delay_alu instid0(VALU_DEP_1) | instskip(NEXT) | instid1(SALU_CYCLE_1)
	s_or_b32 s2, vcc_lo, s2
	s_or_not1_b32 s2, s2, exec_lo
; %bb.7:
	s_or_b32 exec_lo, exec_lo, s3
	s_and_saveexec_b32 s3, s2
	s_cbranch_execz .LBB395_44
; %bb.8:
	s_clause 0x1
	s_load_b128 s[4:7], s[0:1], 0x18
	s_load_b64 s[2:3], s[0:1], 0x28
	s_waitcnt lgkmcnt(0)
	s_cmp_eq_u64 s[4:5], 0
	s_cbranch_scc1 .LBB395_10
; %bb.9:
	s_ashr_i32 s9, s8, 31
	s_delay_alu instid0(SALU_CYCLE_1) | instskip(NEXT) | instid1(SALU_CYCLE_1)
	s_lshl_b64 s[8:9], s[8:9], 2
	s_add_u32 s4, s4, s8
	s_addc_u32 s5, s5, s9
	s_load_b32 s4, s[4:5], 0x0
	s_waitcnt lgkmcnt(0)
	s_sub_i32 s8, s4, s10
.LBB395_10:
	s_load_b32 s4, s[0:1], 0x4
	v_mul_u32_u24_e32 v1, 0x925, v0
	v_mov_b32_e32 v2, 0
	s_delay_alu instid0(VALU_DEP_2) | instskip(NEXT) | instid1(VALU_DEP_1)
	v_lshrrev_b32_e32 v3, 16, v1
	v_mul_lo_u16 v1, v3, 28
	s_delay_alu instid0(VALU_DEP_1)
	v_sub_nc_u16 v12, v0, v1
	v_mov_b32_e32 v1, 0
	s_waitcnt lgkmcnt(0)
	s_cmp_eq_u32 s4, 1
	s_cselect_b32 vcc_lo, -1, 0
	s_cmp_lg_u32 s4, 1
	s_cselect_b32 s11, -1, 0
	s_ashr_i32 s9, s8, 31
	s_delay_alu instid0(SALU_CYCLE_1) | instskip(NEXT) | instid1(SALU_CYCLE_1)
	s_lshl_b64 s[4:5], s[8:9], 2
	s_add_u32 s6, s6, s4
	s_addc_u32 s7, s7, s5
	s_add_u32 s9, s6, 4
	s_addc_u32 s12, s7, 0
	;; [unrolled: 2-line block ×3, first 2 shown]
	s_cmp_eq_u64 s[2:3], 0
	s_cselect_b32 s3, s12, s5
	s_cselect_b32 s2, s9, s4
	s_load_b32 s9, s[6:7], 0x0
	s_load_b32 s14, s[2:3], 0x0
	s_load_b64 s[2:3], s[0:1], 0x50
	s_waitcnt lgkmcnt(0)
	s_cmp_ge_i32 s9, s14
	s_cbranch_scc1 .LBB395_18
; %bb.11:
	s_clause 0x1
	s_load_b128 s[4:7], s[0:1], 0x30
	s_load_b64 s[12:13], s[0:1], 0x40
	v_and_b32_e32 v1, 0xffff, v3
	v_cmp_gt_u32_e64 s0, 0x310, v0
	s_sub_i32 s9, s9, s10
	v_and_b32_e32 v3, 0xffff, v12
	s_sub_i32 s1, s14, s10
	v_subrev_nc_u32_e32 v2, 28, v1
	s_mul_i32 s14, s9, 0xc40
	s_delay_alu instid0(VALU_DEP_1) | instskip(SKIP_2) | instid1(VALU_DEP_3)
	v_cndmask_b32_e64 v1, v2, v1, s0
	v_mov_b32_e32 v2, 0
	v_cmp_lt_u32_e64 s0, 0x30f, v0
	v_dual_cndmask_b32 v3, v3, v1 :: v_dual_lshlrev_b32 v4, 2, v0
	s_delay_alu instid0(VALU_DEP_3) | instskip(NEXT) | instid1(VALU_DEP_3)
	v_mov_b32_e32 v1, v2
	v_cndmask_b32_e64 v13, 0, 1, s0
	s_mul_hi_i32 s0, s9, 0xc40
	s_waitcnt lgkmcnt(0)
	s_add_u32 s6, s6, s14
	s_addc_u32 s0, s7, s0
	v_add_co_u32 v4, s6, s6, v4
	s_delay_alu instid0(VALU_DEP_1)
	v_add_co_ci_u32_e64 v5, null, s0, 0, s6
	s_set_inst_prefetch_distance 0x1
	s_branch .LBB395_13
	.p2align	6
.LBB395_12:                             ;   in Loop: Header=BB395_13 Depth=1
	s_or_b32 exec_lo, exec_lo, s0
	s_add_i32 s9, s9, 1
	s_delay_alu instid0(SALU_CYCLE_1)
	s_cmp_lt_i32 s9, s1
	s_cbranch_scc0 .LBB395_18
.LBB395_13:                             ; =>This Inner Loop Header: Depth=1
	v_add_nc_u32_e32 v6, s9, v13
	s_mov_b32 s0, exec_lo
	s_delay_alu instid0(VALU_DEP_1)
	v_cmpx_gt_i32_e64 s1, v6
	s_cbranch_execz .LBB395_12
; %bb.14:                               ;   in Loop: Header=BB395_13 Depth=1
	v_ashrrev_i32_e32 v7, 31, v6
	s_delay_alu instid0(VALU_DEP_1) | instskip(NEXT) | instid1(VALU_DEP_1)
	v_lshlrev_b64 v[6:7], 2, v[6:7]
	v_add_co_u32 v6, vcc_lo, s4, v6
	s_delay_alu instid0(VALU_DEP_2) | instskip(SKIP_3) | instid1(VALU_DEP_1)
	v_add_co_ci_u32_e32 v7, vcc_lo, s5, v7, vcc_lo
	global_load_b32 v6, v[6:7], off
	s_waitcnt vmcnt(0)
	v_subrev_nc_u32_e32 v14, s10, v6
	v_mad_u64_u32 v[6:7], null, v14, 28, v[3:4]
	s_delay_alu instid0(VALU_DEP_1) | instskip(NEXT) | instid1(VALU_DEP_1)
	v_ashrrev_i32_e32 v7, 31, v6
	v_lshlrev_b64 v[6:7], 3, v[6:7]
	s_delay_alu instid0(VALU_DEP_1) | instskip(NEXT) | instid1(VALU_DEP_2)
	v_add_co_u32 v6, vcc_lo, s12, v6
	v_add_co_ci_u32_e32 v7, vcc_lo, s13, v7, vcc_lo
	global_load_b32 v14, v[4:5], off
	global_load_b64 v[6:7], v[6:7], off
	v_add_co_u32 v4, vcc_lo, 0xc40, v4
	v_add_co_ci_u32_e32 v5, vcc_lo, 0, v5, vcc_lo
	s_waitcnt vmcnt(0)
	v_fmac_f32_e32 v1, v14, v6
	s_delay_alu instid0(VALU_DEP_1) | instskip(NEXT) | instid1(VALU_DEP_1)
	v_dual_fmac_f32 v2, 0, v6 :: v_dual_fmac_f32 v1, 0x80000000, v7
	v_fmac_f32_e32 v2, v14, v7
	s_branch .LBB395_12
.LBB395_15:
	v_dual_mov_b32 v1, s4 :: v_dual_mov_b32 v2, s5
	flat_load_b32 v10, v[1:2]
	v_cndmask_b32_e64 v1, 0, 1, s6
	v_mov_b32_e32 v11, s5
	s_and_not1_b32 vcc_lo, exec_lo, s6
	s_cbranch_vccnz .LBB395_2
.LBB395_16:
	v_dual_mov_b32 v2, s4 :: v_dual_mov_b32 v3, s5
	flat_load_b32 v11, v[2:3] offset:4
	v_cmp_ne_u32_e32 vcc_lo, 1, v1
	v_mov_b32_e32 v8, s2
	s_cbranch_vccnz .LBB395_3
.LBB395_17:
	v_dual_mov_b32 v2, s2 :: v_dual_mov_b32 v3, s3
	flat_load_b32 v8, v[2:3]
	v_cmp_ne_u32_e32 vcc_lo, 1, v1
	v_mov_b32_e32 v9, s3
	s_cbranch_vccz .LBB395_4
	s_branch .LBB395_5
.LBB395_18:
	s_set_inst_prefetch_distance 0x2
	v_lshlrev_b32_e32 v3, 3, v0
	s_and_b32 vcc_lo, exec_lo, s11
	ds_store_b64 v3, v[1:2]
	s_waitcnt lgkmcnt(0)
	s_barrier
	buffer_gl0_inv
	s_cbranch_vccz .LBB395_30
; %bb.19:
	s_mov_b32 s0, exec_lo
	v_cmpx_gt_u16_e32 12, v12
	s_cbranch_execz .LBB395_21
; %bb.20:
	ds_load_2addr_b64 v[4:7], v3 offset1:16
	s_waitcnt lgkmcnt(0)
	v_dual_add_f32 v4, v6, v4 :: v_dual_add_f32 v5, v7, v5
	ds_store_b64 v3, v[4:5]
.LBB395_21:
	s_or_b32 exec_lo, exec_lo, s0
	s_delay_alu instid0(SALU_CYCLE_1)
	s_mov_b32 s0, exec_lo
	s_waitcnt lgkmcnt(0)
	s_barrier
	buffer_gl0_inv
	v_cmpx_gt_u16_e32 8, v12
	s_cbranch_execz .LBB395_23
; %bb.22:
	ds_load_2addr_b64 v[4:7], v3 offset1:8
	s_waitcnt lgkmcnt(0)
	v_dual_add_f32 v4, v6, v4 :: v_dual_add_f32 v5, v7, v5
	ds_store_b64 v3, v[4:5]
.LBB395_23:
	s_or_b32 exec_lo, exec_lo, s0
	s_delay_alu instid0(SALU_CYCLE_1)
	s_mov_b32 s0, exec_lo
	s_waitcnt lgkmcnt(0)
	s_barrier
	buffer_gl0_inv
	;; [unrolled: 14-line block ×3, first 2 shown]
	v_cmpx_gt_u16_e32 2, v12
	s_cbranch_execz .LBB395_27
; %bb.26:
	ds_load_2addr_b64 v[4:7], v3 offset1:2
	s_waitcnt lgkmcnt(0)
	v_dual_add_f32 v4, v6, v4 :: v_dual_add_f32 v5, v7, v5
	ds_store_b64 v3, v[4:5]
.LBB395_27:
	s_or_b32 exec_lo, exec_lo, s0
	s_mov_b32 s1, 0
	s_mov_b32 s0, 0
	s_mov_b32 s4, exec_lo
	s_waitcnt lgkmcnt(0)
	s_barrier
	buffer_gl0_inv
                                        ; implicit-def: $vgpr5
                                        ; implicit-def: $vgpr4
	v_cmpx_gt_u32_e32 28, v0
	s_xor_b32 s4, exec_lo, s4
; %bb.28:
	v_mul_u32_u24_e32 v4, 28, v0
	s_mov_b32 s0, exec_lo
	s_delay_alu instid0(VALU_DEP_1)
	v_lshlrev_b32_e32 v5, 3, v4
	v_or_b32_e32 v4, 1, v4
; %bb.29:
	s_or_b32 exec_lo, exec_lo, s4
	s_delay_alu instid0(SALU_CYCLE_1)
	s_and_b32 vcc_lo, exec_lo, s1
	s_cbranch_vccnz .LBB395_31
	s_branch .LBB395_42
.LBB395_30:
	s_mov_b32 s0, 0
                                        ; implicit-def: $vgpr5
                                        ; implicit-def: $vgpr4
	s_cbranch_execz .LBB395_42
.LBB395_31:
	s_mov_b32 s1, exec_lo
	v_cmpx_gt_u32_e32 0x150, v0
	s_cbranch_execz .LBB395_33
; %bb.32:
	ds_load_2addr_stride64_b64 v[4:7], v3 offset1:7
	s_waitcnt lgkmcnt(0)
	v_dual_add_f32 v4, v6, v4 :: v_dual_add_f32 v5, v7, v5
	ds_store_b64 v3, v[4:5]
.LBB395_33:
	s_or_b32 exec_lo, exec_lo, s1
	s_delay_alu instid0(SALU_CYCLE_1)
	s_mov_b32 s1, exec_lo
	s_waitcnt lgkmcnt(0)
	s_barrier
	buffer_gl0_inv
	v_cmpx_gt_u32_e32 0xe0, v0
	s_cbranch_execz .LBB395_35
; %bb.34:
	ds_load_2addr_b64 v[4:7], v3 offset1:224
	s_waitcnt lgkmcnt(0)
	v_dual_add_f32 v4, v6, v4 :: v_dual_add_f32 v5, v7, v5
	ds_store_b64 v3, v[4:5]
.LBB395_35:
	s_or_b32 exec_lo, exec_lo, s1
	s_delay_alu instid0(SALU_CYCLE_1)
	s_mov_b32 s1, exec_lo
	s_waitcnt lgkmcnt(0)
	s_barrier
	buffer_gl0_inv
	v_cmpx_gt_u32_e32 0x70, v0
	s_cbranch_execz .LBB395_37
; %bb.36:
	ds_load_2addr_b64 v[4:7], v3 offset1:112
	s_waitcnt lgkmcnt(0)
	v_dual_add_f32 v4, v6, v4 :: v_dual_add_f32 v5, v7, v5
	ds_store_b64 v3, v[4:5]
.LBB395_37:
	;; [unrolled: 14-line block ×3, first 2 shown]
	s_or_b32 exec_lo, exec_lo, s1
	s_delay_alu instid0(SALU_CYCLE_1)
	s_mov_b32 s1, exec_lo
	s_waitcnt lgkmcnt(0)
	buffer_gl0_inv
                                        ; implicit-def: $vgpr4
	v_cmpx_gt_u32_e32 28, v0
; %bb.40:
	v_add_nc_u32_e32 v4, 28, v0
	s_or_b32 s0, s0, exec_lo
                                        ; implicit-def: $vgpr2
; %bb.41:
	s_or_b32 exec_lo, exec_lo, s1
	v_mov_b32_e32 v5, v3
.LBB395_42:
	s_and_saveexec_b32 s1, s0
	s_cbranch_execnz .LBB395_45
; %bb.43:
	s_or_b32 exec_lo, exec_lo, s1
	v_cmp_gt_u32_e32 vcc_lo, 28, v0
	s_and_b32 exec_lo, exec_lo, vcc_lo
	s_cbranch_execnz .LBB395_46
.LBB395_44:
	s_nop 0
	s_sendmsg sendmsg(MSG_DEALLOC_VGPRS)
	s_endpgm
.LBB395_45:
	v_lshlrev_b32_e32 v3, 3, v4
	ds_load_2addr_b32 v[1:2], v5 offset1:1
	ds_load_b64 v[3:4], v3
	s_waitcnt lgkmcnt(0)
	v_dual_add_f32 v2, v4, v2 :: v_dual_add_f32 v1, v3, v1
	s_or_b32 exec_lo, exec_lo, s1
	v_cmp_gt_u32_e32 vcc_lo, 28, v0
	s_and_b32 exec_lo, exec_lo, vcc_lo
	s_cbranch_execz .LBB395_44
.LBB395_46:
	v_mul_f32_e64 v3, v2, -v11
	v_mul_f32_e32 v4, v2, v10
	v_cmp_eq_f32_e32 vcc_lo, 0, v8
	v_cmp_eq_f32_e64 s0, 0, v9
	s_delay_alu instid0(VALU_DEP_4) | instskip(NEXT) | instid1(VALU_DEP_4)
	v_fmac_f32_e32 v3, v10, v1
	v_fmac_f32_e32 v4, v11, v1
	s_delay_alu instid0(VALU_DEP_3) | instskip(NEXT) | instid1(SALU_CYCLE_1)
	s_and_b32 s0, vcc_lo, s0
	s_and_saveexec_b32 s1, s0
	s_delay_alu instid0(SALU_CYCLE_1)
	s_xor_b32 s0, exec_lo, s1
	s_cbranch_execz .LBB395_48
; %bb.47:
	v_mad_u64_u32 v[1:2], null, s8, 28, v[0:1]
	v_mov_b32_e32 v2, 0
                                        ; implicit-def: $vgpr8
                                        ; implicit-def: $vgpr9
	s_delay_alu instid0(VALU_DEP_1) | instskip(NEXT) | instid1(VALU_DEP_1)
	v_lshlrev_b64 v[0:1], 3, v[1:2]
	v_add_co_u32 v0, vcc_lo, s2, v0
	s_delay_alu instid0(VALU_DEP_2)
	v_add_co_ci_u32_e32 v1, vcc_lo, s3, v1, vcc_lo
	global_store_b64 v[0:1], v[3:4], off
                                        ; implicit-def: $vgpr0
                                        ; implicit-def: $vgpr3
.LBB395_48:
	s_and_not1_saveexec_b32 s0, s0
	s_cbranch_execz .LBB395_44
; %bb.49:
	v_mad_u64_u32 v[1:2], null, s8, 28, v[0:1]
	v_mov_b32_e32 v2, 0
	s_delay_alu instid0(VALU_DEP_1) | instskip(NEXT) | instid1(VALU_DEP_1)
	v_lshlrev_b64 v[0:1], 3, v[1:2]
	v_add_co_u32 v0, vcc_lo, s2, v0
	s_delay_alu instid0(VALU_DEP_2) | instskip(SKIP_4) | instid1(VALU_DEP_2)
	v_add_co_ci_u32_e32 v1, vcc_lo, s3, v1, vcc_lo
	global_load_b64 v[5:6], v[0:1], off
	s_waitcnt vmcnt(0)
	v_fmac_f32_e32 v3, v8, v5
	v_fmac_f32_e32 v4, v9, v5
	v_fma_f32 v3, -v9, v6, v3
	s_delay_alu instid0(VALU_DEP_2)
	v_fmac_f32_e32 v4, v8, v6
	global_store_b64 v[0:1], v[3:4], off
	s_nop 0
	s_sendmsg sendmsg(MSG_DEALLOC_VGPRS)
	s_endpgm
	.section	.rodata,"a",@progbits
	.p2align	6, 0x0
	.amdhsa_kernel _ZN9rocsparseL20bsrxmvn_17_32_kernelILj28E21rocsparse_complex_numIfEiifS2_S2_EEvT2_20rocsparse_direction_NS_24const_host_device_scalarIT0_EES3_PKS3_PKT1_SC_S9_PKT3_PKT4_S7_PT5_21rocsparse_index_base_b
		.amdhsa_group_segment_fixed_size 6272
		.amdhsa_private_segment_fixed_size 0
		.amdhsa_kernarg_size 96
		.amdhsa_user_sgpr_count 15
		.amdhsa_user_sgpr_dispatch_ptr 0
		.amdhsa_user_sgpr_queue_ptr 0
		.amdhsa_user_sgpr_kernarg_segment_ptr 1
		.amdhsa_user_sgpr_dispatch_id 0
		.amdhsa_user_sgpr_private_segment_size 0
		.amdhsa_wavefront_size32 1
		.amdhsa_uses_dynamic_stack 0
		.amdhsa_enable_private_segment 0
		.amdhsa_system_sgpr_workgroup_id_x 1
		.amdhsa_system_sgpr_workgroup_id_y 0
		.amdhsa_system_sgpr_workgroup_id_z 0
		.amdhsa_system_sgpr_workgroup_info 0
		.amdhsa_system_vgpr_workitem_id 0
		.amdhsa_next_free_vgpr 15
		.amdhsa_next_free_sgpr 16
		.amdhsa_reserve_vcc 1
		.amdhsa_float_round_mode_32 0
		.amdhsa_float_round_mode_16_64 0
		.amdhsa_float_denorm_mode_32 3
		.amdhsa_float_denorm_mode_16_64 3
		.amdhsa_dx10_clamp 1
		.amdhsa_ieee_mode 1
		.amdhsa_fp16_overflow 0
		.amdhsa_workgroup_processor_mode 1
		.amdhsa_memory_ordered 1
		.amdhsa_forward_progress 0
		.amdhsa_shared_vgpr_count 0
		.amdhsa_exception_fp_ieee_invalid_op 0
		.amdhsa_exception_fp_denorm_src 0
		.amdhsa_exception_fp_ieee_div_zero 0
		.amdhsa_exception_fp_ieee_overflow 0
		.amdhsa_exception_fp_ieee_underflow 0
		.amdhsa_exception_fp_ieee_inexact 0
		.amdhsa_exception_int_div_zero 0
	.end_amdhsa_kernel
	.section	.text._ZN9rocsparseL20bsrxmvn_17_32_kernelILj28E21rocsparse_complex_numIfEiifS2_S2_EEvT2_20rocsparse_direction_NS_24const_host_device_scalarIT0_EES3_PKS3_PKT1_SC_S9_PKT3_PKT4_S7_PT5_21rocsparse_index_base_b,"axG",@progbits,_ZN9rocsparseL20bsrxmvn_17_32_kernelILj28E21rocsparse_complex_numIfEiifS2_S2_EEvT2_20rocsparse_direction_NS_24const_host_device_scalarIT0_EES3_PKS3_PKT1_SC_S9_PKT3_PKT4_S7_PT5_21rocsparse_index_base_b,comdat
.Lfunc_end395:
	.size	_ZN9rocsparseL20bsrxmvn_17_32_kernelILj28E21rocsparse_complex_numIfEiifS2_S2_EEvT2_20rocsparse_direction_NS_24const_host_device_scalarIT0_EES3_PKS3_PKT1_SC_S9_PKT3_PKT4_S7_PT5_21rocsparse_index_base_b, .Lfunc_end395-_ZN9rocsparseL20bsrxmvn_17_32_kernelILj28E21rocsparse_complex_numIfEiifS2_S2_EEvT2_20rocsparse_direction_NS_24const_host_device_scalarIT0_EES3_PKS3_PKT1_SC_S9_PKT3_PKT4_S7_PT5_21rocsparse_index_base_b
                                        ; -- End function
	.section	.AMDGPU.csdata,"",@progbits
; Kernel info:
; codeLenInByte = 1824
; NumSgprs: 18
; NumVgprs: 15
; ScratchSize: 0
; MemoryBound: 0
; FloatMode: 240
; IeeeMode: 1
; LDSByteSize: 6272 bytes/workgroup (compile time only)
; SGPRBlocks: 2
; VGPRBlocks: 1
; NumSGPRsForWavesPerEU: 18
; NumVGPRsForWavesPerEU: 15
; Occupancy: 13
; WaveLimiterHint : 1
; COMPUTE_PGM_RSRC2:SCRATCH_EN: 0
; COMPUTE_PGM_RSRC2:USER_SGPR: 15
; COMPUTE_PGM_RSRC2:TRAP_HANDLER: 0
; COMPUTE_PGM_RSRC2:TGID_X_EN: 1
; COMPUTE_PGM_RSRC2:TGID_Y_EN: 0
; COMPUTE_PGM_RSRC2:TGID_Z_EN: 0
; COMPUTE_PGM_RSRC2:TIDIG_COMP_CNT: 0
	.section	.text._ZN9rocsparseL20bsrxmvn_17_32_kernelILj29E21rocsparse_complex_numIfEiifS2_S2_EEvT2_20rocsparse_direction_NS_24const_host_device_scalarIT0_EES3_PKS3_PKT1_SC_S9_PKT3_PKT4_S7_PT5_21rocsparse_index_base_b,"axG",@progbits,_ZN9rocsparseL20bsrxmvn_17_32_kernelILj29E21rocsparse_complex_numIfEiifS2_S2_EEvT2_20rocsparse_direction_NS_24const_host_device_scalarIT0_EES3_PKS3_PKT1_SC_S9_PKT3_PKT4_S7_PT5_21rocsparse_index_base_b,comdat
	.globl	_ZN9rocsparseL20bsrxmvn_17_32_kernelILj29E21rocsparse_complex_numIfEiifS2_S2_EEvT2_20rocsparse_direction_NS_24const_host_device_scalarIT0_EES3_PKS3_PKT1_SC_S9_PKT3_PKT4_S7_PT5_21rocsparse_index_base_b ; -- Begin function _ZN9rocsparseL20bsrxmvn_17_32_kernelILj29E21rocsparse_complex_numIfEiifS2_S2_EEvT2_20rocsparse_direction_NS_24const_host_device_scalarIT0_EES3_PKS3_PKT1_SC_S9_PKT3_PKT4_S7_PT5_21rocsparse_index_base_b
	.p2align	8
	.type	_ZN9rocsparseL20bsrxmvn_17_32_kernelILj29E21rocsparse_complex_numIfEiifS2_S2_EEvT2_20rocsparse_direction_NS_24const_host_device_scalarIT0_EES3_PKS3_PKT1_SC_S9_PKT3_PKT4_S7_PT5_21rocsparse_index_base_b,@function
_ZN9rocsparseL20bsrxmvn_17_32_kernelILj29E21rocsparse_complex_numIfEiifS2_S2_EEvT2_20rocsparse_direction_NS_24const_host_device_scalarIT0_EES3_PKS3_PKT1_SC_S9_PKT3_PKT4_S7_PT5_21rocsparse_index_base_b: ; @_ZN9rocsparseL20bsrxmvn_17_32_kernelILj29E21rocsparse_complex_numIfEiifS2_S2_EEvT2_20rocsparse_direction_NS_24const_host_device_scalarIT0_EES3_PKS3_PKT1_SC_S9_PKT3_PKT4_S7_PT5_21rocsparse_index_base_b
; %bb.0:
	s_clause 0x2
	s_load_b64 s[10:11], s[0:1], 0x58
	s_load_b64 s[4:5], s[0:1], 0x8
	;; [unrolled: 1-line block ×3, first 2 shown]
	s_mov_b32 s8, s15
	s_waitcnt lgkmcnt(0)
	s_bitcmp1_b32 s11, 0
	v_mov_b32_e32 v10, s4
	s_cselect_b32 s6, -1, 0
	s_delay_alu instid0(SALU_CYCLE_1)
	s_and_b32 vcc_lo, exec_lo, s6
	s_xor_b32 s6, s6, -1
	s_cbranch_vccz .LBB396_15
; %bb.1:
	v_cndmask_b32_e64 v1, 0, 1, s6
	v_mov_b32_e32 v11, s5
	s_and_not1_b32 vcc_lo, exec_lo, s6
	s_cbranch_vccz .LBB396_16
.LBB396_2:
	s_delay_alu instid0(VALU_DEP_2)
	v_cmp_ne_u32_e32 vcc_lo, 1, v1
	v_mov_b32_e32 v8, s2
	s_cbranch_vccz .LBB396_17
.LBB396_3:
	v_cmp_ne_u32_e32 vcc_lo, 1, v1
	v_mov_b32_e32 v9, s3
	s_cbranch_vccnz .LBB396_5
.LBB396_4:
	v_dual_mov_b32 v1, s2 :: v_dual_mov_b32 v2, s3
	flat_load_b32 v9, v[1:2] offset:4
.LBB396_5:
	s_waitcnt vmcnt(0) lgkmcnt(0)
	v_cmp_eq_f32_e32 vcc_lo, 0, v10
	v_cmp_eq_f32_e64 s2, 0, v11
	s_delay_alu instid0(VALU_DEP_1)
	s_and_b32 s4, vcc_lo, s2
	s_mov_b32 s2, -1
	s_and_saveexec_b32 s3, s4
; %bb.6:
	v_cmp_neq_f32_e32 vcc_lo, 1.0, v8
	v_cmp_neq_f32_e64 s2, 0, v9
	s_delay_alu instid0(VALU_DEP_1) | instskip(NEXT) | instid1(SALU_CYCLE_1)
	s_or_b32 s2, vcc_lo, s2
	s_or_not1_b32 s2, s2, exec_lo
; %bb.7:
	s_or_b32 exec_lo, exec_lo, s3
	s_and_saveexec_b32 s3, s2
	s_cbranch_execz .LBB396_44
; %bb.8:
	s_clause 0x1
	s_load_b128 s[4:7], s[0:1], 0x18
	s_load_b64 s[2:3], s[0:1], 0x28
	s_waitcnt lgkmcnt(0)
	s_cmp_eq_u64 s[4:5], 0
	s_cbranch_scc1 .LBB396_10
; %bb.9:
	s_ashr_i32 s9, s8, 31
	s_delay_alu instid0(SALU_CYCLE_1) | instskip(NEXT) | instid1(SALU_CYCLE_1)
	s_lshl_b64 s[8:9], s[8:9], 2
	s_add_u32 s4, s4, s8
	s_addc_u32 s5, s5, s9
	s_load_b32 s4, s[4:5], 0x0
	s_waitcnt lgkmcnt(0)
	s_sub_i32 s8, s4, s10
.LBB396_10:
	s_load_b32 s4, s[0:1], 0x4
	v_mul_u32_u24_e32 v1, 0x8d4, v0
	v_mov_b32_e32 v2, 0
	s_delay_alu instid0(VALU_DEP_2) | instskip(NEXT) | instid1(VALU_DEP_1)
	v_lshrrev_b32_e32 v3, 16, v1
	v_mul_lo_u16 v1, v3, 29
	s_delay_alu instid0(VALU_DEP_1)
	v_sub_nc_u16 v12, v0, v1
	v_mov_b32_e32 v1, 0
	s_waitcnt lgkmcnt(0)
	s_cmp_eq_u32 s4, 1
	s_cselect_b32 vcc_lo, -1, 0
	s_cmp_lg_u32 s4, 1
	s_cselect_b32 s11, -1, 0
	s_ashr_i32 s9, s8, 31
	s_delay_alu instid0(SALU_CYCLE_1) | instskip(NEXT) | instid1(SALU_CYCLE_1)
	s_lshl_b64 s[4:5], s[8:9], 2
	s_add_u32 s6, s6, s4
	s_addc_u32 s7, s7, s5
	s_add_u32 s9, s6, 4
	s_addc_u32 s12, s7, 0
	;; [unrolled: 2-line block ×3, first 2 shown]
	s_cmp_eq_u64 s[2:3], 0
	s_cselect_b32 s3, s12, s5
	s_cselect_b32 s2, s9, s4
	s_load_b32 s9, s[6:7], 0x0
	s_load_b32 s14, s[2:3], 0x0
	s_load_b64 s[2:3], s[0:1], 0x50
	s_waitcnt lgkmcnt(0)
	s_cmp_ge_i32 s9, s14
	s_cbranch_scc1 .LBB396_18
; %bb.11:
	s_clause 0x1
	s_load_b128 s[4:7], s[0:1], 0x30
	s_load_b64 s[12:13], s[0:1], 0x40
	v_and_b32_e32 v1, 0xffff, v3
	v_cmp_gt_u32_e64 s0, 0x349, v0
	s_sub_i32 s9, s9, s10
	v_and_b32_e32 v3, 0xffff, v12
	s_sub_i32 s1, s14, s10
	v_subrev_nc_u32_e32 v2, 29, v1
	s_mul_i32 s14, s9, 0xd24
	s_delay_alu instid0(VALU_DEP_1) | instskip(SKIP_2) | instid1(VALU_DEP_3)
	v_cndmask_b32_e64 v1, v2, v1, s0
	v_mov_b32_e32 v2, 0
	v_cmp_lt_u32_e64 s0, 0x348, v0
	v_dual_cndmask_b32 v3, v3, v1 :: v_dual_lshlrev_b32 v4, 2, v0
	s_delay_alu instid0(VALU_DEP_3) | instskip(NEXT) | instid1(VALU_DEP_3)
	v_mov_b32_e32 v1, v2
	v_cndmask_b32_e64 v13, 0, 1, s0
	s_mul_hi_i32 s0, s9, 0xd24
	s_waitcnt lgkmcnt(0)
	s_add_u32 s6, s6, s14
	s_addc_u32 s0, s7, s0
	v_add_co_u32 v4, s6, s6, v4
	s_delay_alu instid0(VALU_DEP_1)
	v_add_co_ci_u32_e64 v5, null, s0, 0, s6
	s_set_inst_prefetch_distance 0x1
	s_branch .LBB396_13
	.p2align	6
.LBB396_12:                             ;   in Loop: Header=BB396_13 Depth=1
	s_or_b32 exec_lo, exec_lo, s0
	s_add_i32 s9, s9, 1
	s_delay_alu instid0(SALU_CYCLE_1)
	s_cmp_lt_i32 s9, s1
	s_cbranch_scc0 .LBB396_18
.LBB396_13:                             ; =>This Inner Loop Header: Depth=1
	v_add_nc_u32_e32 v6, s9, v13
	s_mov_b32 s0, exec_lo
	s_delay_alu instid0(VALU_DEP_1)
	v_cmpx_gt_i32_e64 s1, v6
	s_cbranch_execz .LBB396_12
; %bb.14:                               ;   in Loop: Header=BB396_13 Depth=1
	v_ashrrev_i32_e32 v7, 31, v6
	s_delay_alu instid0(VALU_DEP_1) | instskip(NEXT) | instid1(VALU_DEP_1)
	v_lshlrev_b64 v[6:7], 2, v[6:7]
	v_add_co_u32 v6, vcc_lo, s4, v6
	s_delay_alu instid0(VALU_DEP_2) | instskip(SKIP_3) | instid1(VALU_DEP_1)
	v_add_co_ci_u32_e32 v7, vcc_lo, s5, v7, vcc_lo
	global_load_b32 v6, v[6:7], off
	s_waitcnt vmcnt(0)
	v_subrev_nc_u32_e32 v14, s10, v6
	v_mad_u64_u32 v[6:7], null, v14, 29, v[3:4]
	s_delay_alu instid0(VALU_DEP_1) | instskip(NEXT) | instid1(VALU_DEP_1)
	v_ashrrev_i32_e32 v7, 31, v6
	v_lshlrev_b64 v[6:7], 3, v[6:7]
	s_delay_alu instid0(VALU_DEP_1) | instskip(NEXT) | instid1(VALU_DEP_2)
	v_add_co_u32 v6, vcc_lo, s12, v6
	v_add_co_ci_u32_e32 v7, vcc_lo, s13, v7, vcc_lo
	global_load_b32 v14, v[4:5], off
	global_load_b64 v[6:7], v[6:7], off
	v_add_co_u32 v4, vcc_lo, 0xd24, v4
	v_add_co_ci_u32_e32 v5, vcc_lo, 0, v5, vcc_lo
	s_waitcnt vmcnt(0)
	v_fmac_f32_e32 v1, v14, v6
	s_delay_alu instid0(VALU_DEP_1) | instskip(NEXT) | instid1(VALU_DEP_1)
	v_dual_fmac_f32 v2, 0, v6 :: v_dual_fmac_f32 v1, 0x80000000, v7
	v_fmac_f32_e32 v2, v14, v7
	s_branch .LBB396_12
.LBB396_15:
	v_dual_mov_b32 v1, s4 :: v_dual_mov_b32 v2, s5
	flat_load_b32 v10, v[1:2]
	v_cndmask_b32_e64 v1, 0, 1, s6
	v_mov_b32_e32 v11, s5
	s_and_not1_b32 vcc_lo, exec_lo, s6
	s_cbranch_vccnz .LBB396_2
.LBB396_16:
	v_dual_mov_b32 v2, s4 :: v_dual_mov_b32 v3, s5
	flat_load_b32 v11, v[2:3] offset:4
	v_cmp_ne_u32_e32 vcc_lo, 1, v1
	v_mov_b32_e32 v8, s2
	s_cbranch_vccnz .LBB396_3
.LBB396_17:
	v_dual_mov_b32 v2, s2 :: v_dual_mov_b32 v3, s3
	flat_load_b32 v8, v[2:3]
	v_cmp_ne_u32_e32 vcc_lo, 1, v1
	v_mov_b32_e32 v9, s3
	s_cbranch_vccz .LBB396_4
	s_branch .LBB396_5
.LBB396_18:
	s_set_inst_prefetch_distance 0x2
	v_lshlrev_b32_e32 v3, 3, v0
	s_and_b32 vcc_lo, exec_lo, s11
	ds_store_b64 v3, v[1:2]
	s_waitcnt lgkmcnt(0)
	s_barrier
	buffer_gl0_inv
	s_cbranch_vccz .LBB396_30
; %bb.19:
	s_mov_b32 s0, exec_lo
	v_cmpx_gt_u16_e32 13, v12
	s_cbranch_execz .LBB396_21
; %bb.20:
	ds_load_2addr_b64 v[4:7], v3 offset1:16
	s_waitcnt lgkmcnt(0)
	v_dual_add_f32 v4, v6, v4 :: v_dual_add_f32 v5, v7, v5
	ds_store_b64 v3, v[4:5]
.LBB396_21:
	s_or_b32 exec_lo, exec_lo, s0
	s_delay_alu instid0(SALU_CYCLE_1)
	s_mov_b32 s0, exec_lo
	s_waitcnt lgkmcnt(0)
	s_barrier
	buffer_gl0_inv
	v_cmpx_gt_u16_e32 8, v12
	s_cbranch_execz .LBB396_23
; %bb.22:
	ds_load_2addr_b64 v[4:7], v3 offset1:8
	s_waitcnt lgkmcnt(0)
	v_dual_add_f32 v4, v6, v4 :: v_dual_add_f32 v5, v7, v5
	ds_store_b64 v3, v[4:5]
.LBB396_23:
	s_or_b32 exec_lo, exec_lo, s0
	s_delay_alu instid0(SALU_CYCLE_1)
	s_mov_b32 s0, exec_lo
	s_waitcnt lgkmcnt(0)
	s_barrier
	buffer_gl0_inv
	;; [unrolled: 14-line block ×3, first 2 shown]
	v_cmpx_gt_u16_e32 2, v12
	s_cbranch_execz .LBB396_27
; %bb.26:
	ds_load_2addr_b64 v[4:7], v3 offset1:2
	s_waitcnt lgkmcnt(0)
	v_dual_add_f32 v4, v6, v4 :: v_dual_add_f32 v5, v7, v5
	ds_store_b64 v3, v[4:5]
.LBB396_27:
	s_or_b32 exec_lo, exec_lo, s0
	s_mov_b32 s1, 0
	s_mov_b32 s0, 0
	s_mov_b32 s4, exec_lo
	s_waitcnt lgkmcnt(0)
	s_barrier
	buffer_gl0_inv
                                        ; implicit-def: $vgpr5
                                        ; implicit-def: $vgpr4
	v_cmpx_gt_u32_e32 29, v0
	s_xor_b32 s4, exec_lo, s4
; %bb.28:
	v_mul_u32_u24_e32 v4, 29, v0
	s_mov_b32 s0, exec_lo
	s_delay_alu instid0(VALU_DEP_1)
	v_lshlrev_b32_e32 v5, 3, v4
	v_mad_u32_u24 v4, v0, 29, 1
; %bb.29:
	s_or_b32 exec_lo, exec_lo, s4
	s_delay_alu instid0(SALU_CYCLE_1)
	s_and_b32 vcc_lo, exec_lo, s1
	s_cbranch_vccnz .LBB396_31
	s_branch .LBB396_42
.LBB396_30:
	s_mov_b32 s0, 0
                                        ; implicit-def: $vgpr5
                                        ; implicit-def: $vgpr4
	s_cbranch_execz .LBB396_42
.LBB396_31:
	s_mov_b32 s1, exec_lo
	v_cmpx_gt_u32_e32 0x179, v0
	s_cbranch_execz .LBB396_33
; %bb.32:
	ds_load_b64 v[4:5], v3 offset:3712
	ds_load_b64 v[6:7], v3
	s_waitcnt lgkmcnt(0)
	v_dual_add_f32 v4, v4, v6 :: v_dual_add_f32 v5, v5, v7
	ds_store_b64 v3, v[4:5]
.LBB396_33:
	s_or_b32 exec_lo, exec_lo, s1
	s_delay_alu instid0(SALU_CYCLE_1)
	s_mov_b32 s1, exec_lo
	s_waitcnt lgkmcnt(0)
	s_barrier
	buffer_gl0_inv
	v_cmpx_gt_u32_e32 0xe8, v0
	s_cbranch_execz .LBB396_35
; %bb.34:
	ds_load_2addr_b64 v[4:7], v3 offset1:232
	s_waitcnt lgkmcnt(0)
	v_dual_add_f32 v4, v6, v4 :: v_dual_add_f32 v5, v7, v5
	ds_store_b64 v3, v[4:5]
.LBB396_35:
	s_or_b32 exec_lo, exec_lo, s1
	s_delay_alu instid0(SALU_CYCLE_1)
	s_mov_b32 s1, exec_lo
	s_waitcnt lgkmcnt(0)
	s_barrier
	buffer_gl0_inv
	v_cmpx_gt_u32_e32 0x74, v0
	s_cbranch_execz .LBB396_37
; %bb.36:
	ds_load_2addr_b64 v[4:7], v3 offset1:116
	s_waitcnt lgkmcnt(0)
	v_dual_add_f32 v4, v6, v4 :: v_dual_add_f32 v5, v7, v5
	ds_store_b64 v3, v[4:5]
.LBB396_37:
	;; [unrolled: 14-line block ×3, first 2 shown]
	s_or_b32 exec_lo, exec_lo, s1
	s_delay_alu instid0(SALU_CYCLE_1)
	s_mov_b32 s1, exec_lo
	s_waitcnt lgkmcnt(0)
	buffer_gl0_inv
                                        ; implicit-def: $vgpr4
	v_cmpx_gt_u32_e32 29, v0
; %bb.40:
	v_add_nc_u32_e32 v4, 29, v0
	s_or_b32 s0, s0, exec_lo
                                        ; implicit-def: $vgpr2
; %bb.41:
	s_or_b32 exec_lo, exec_lo, s1
	v_mov_b32_e32 v5, v3
.LBB396_42:
	s_and_saveexec_b32 s1, s0
	s_cbranch_execnz .LBB396_45
; %bb.43:
	s_or_b32 exec_lo, exec_lo, s1
	v_cmp_gt_u32_e32 vcc_lo, 29, v0
	s_and_b32 exec_lo, exec_lo, vcc_lo
	s_cbranch_execnz .LBB396_46
.LBB396_44:
	s_nop 0
	s_sendmsg sendmsg(MSG_DEALLOC_VGPRS)
	s_endpgm
.LBB396_45:
	v_lshlrev_b32_e32 v3, 3, v4
	ds_load_2addr_b32 v[1:2], v5 offset1:1
	ds_load_b64 v[3:4], v3
	s_waitcnt lgkmcnt(0)
	v_dual_add_f32 v2, v4, v2 :: v_dual_add_f32 v1, v3, v1
	s_or_b32 exec_lo, exec_lo, s1
	v_cmp_gt_u32_e32 vcc_lo, 29, v0
	s_and_b32 exec_lo, exec_lo, vcc_lo
	s_cbranch_execz .LBB396_44
.LBB396_46:
	v_mul_f32_e64 v3, v2, -v11
	v_mul_f32_e32 v4, v2, v10
	v_cmp_eq_f32_e32 vcc_lo, 0, v8
	v_cmp_eq_f32_e64 s0, 0, v9
	s_delay_alu instid0(VALU_DEP_4) | instskip(NEXT) | instid1(VALU_DEP_4)
	v_fmac_f32_e32 v3, v10, v1
	v_fmac_f32_e32 v4, v11, v1
	s_delay_alu instid0(VALU_DEP_3) | instskip(NEXT) | instid1(SALU_CYCLE_1)
	s_and_b32 s0, vcc_lo, s0
	s_and_saveexec_b32 s1, s0
	s_delay_alu instid0(SALU_CYCLE_1)
	s_xor_b32 s0, exec_lo, s1
	s_cbranch_execz .LBB396_48
; %bb.47:
	v_mad_u64_u32 v[1:2], null, s8, 29, v[0:1]
	v_mov_b32_e32 v2, 0
                                        ; implicit-def: $vgpr8
                                        ; implicit-def: $vgpr9
	s_delay_alu instid0(VALU_DEP_1) | instskip(NEXT) | instid1(VALU_DEP_1)
	v_lshlrev_b64 v[0:1], 3, v[1:2]
	v_add_co_u32 v0, vcc_lo, s2, v0
	s_delay_alu instid0(VALU_DEP_2)
	v_add_co_ci_u32_e32 v1, vcc_lo, s3, v1, vcc_lo
	global_store_b64 v[0:1], v[3:4], off
                                        ; implicit-def: $vgpr0
                                        ; implicit-def: $vgpr3
.LBB396_48:
	s_and_not1_saveexec_b32 s0, s0
	s_cbranch_execz .LBB396_44
; %bb.49:
	v_mad_u64_u32 v[1:2], null, s8, 29, v[0:1]
	v_mov_b32_e32 v2, 0
	s_delay_alu instid0(VALU_DEP_1) | instskip(NEXT) | instid1(VALU_DEP_1)
	v_lshlrev_b64 v[0:1], 3, v[1:2]
	v_add_co_u32 v0, vcc_lo, s2, v0
	s_delay_alu instid0(VALU_DEP_2) | instskip(SKIP_4) | instid1(VALU_DEP_2)
	v_add_co_ci_u32_e32 v1, vcc_lo, s3, v1, vcc_lo
	global_load_b64 v[5:6], v[0:1], off
	s_waitcnt vmcnt(0)
	v_fmac_f32_e32 v3, v8, v5
	v_fmac_f32_e32 v4, v9, v5
	v_fma_f32 v3, -v9, v6, v3
	s_delay_alu instid0(VALU_DEP_2)
	v_fmac_f32_e32 v4, v8, v6
	global_store_b64 v[0:1], v[3:4], off
	s_nop 0
	s_sendmsg sendmsg(MSG_DEALLOC_VGPRS)
	s_endpgm
	.section	.rodata,"a",@progbits
	.p2align	6, 0x0
	.amdhsa_kernel _ZN9rocsparseL20bsrxmvn_17_32_kernelILj29E21rocsparse_complex_numIfEiifS2_S2_EEvT2_20rocsparse_direction_NS_24const_host_device_scalarIT0_EES3_PKS3_PKT1_SC_S9_PKT3_PKT4_S7_PT5_21rocsparse_index_base_b
		.amdhsa_group_segment_fixed_size 6728
		.amdhsa_private_segment_fixed_size 0
		.amdhsa_kernarg_size 96
		.amdhsa_user_sgpr_count 15
		.amdhsa_user_sgpr_dispatch_ptr 0
		.amdhsa_user_sgpr_queue_ptr 0
		.amdhsa_user_sgpr_kernarg_segment_ptr 1
		.amdhsa_user_sgpr_dispatch_id 0
		.amdhsa_user_sgpr_private_segment_size 0
		.amdhsa_wavefront_size32 1
		.amdhsa_uses_dynamic_stack 0
		.amdhsa_enable_private_segment 0
		.amdhsa_system_sgpr_workgroup_id_x 1
		.amdhsa_system_sgpr_workgroup_id_y 0
		.amdhsa_system_sgpr_workgroup_id_z 0
		.amdhsa_system_sgpr_workgroup_info 0
		.amdhsa_system_vgpr_workitem_id 0
		.amdhsa_next_free_vgpr 15
		.amdhsa_next_free_sgpr 16
		.amdhsa_reserve_vcc 1
		.amdhsa_float_round_mode_32 0
		.amdhsa_float_round_mode_16_64 0
		.amdhsa_float_denorm_mode_32 3
		.amdhsa_float_denorm_mode_16_64 3
		.amdhsa_dx10_clamp 1
		.amdhsa_ieee_mode 1
		.amdhsa_fp16_overflow 0
		.amdhsa_workgroup_processor_mode 1
		.amdhsa_memory_ordered 1
		.amdhsa_forward_progress 0
		.amdhsa_shared_vgpr_count 0
		.amdhsa_exception_fp_ieee_invalid_op 0
		.amdhsa_exception_fp_denorm_src 0
		.amdhsa_exception_fp_ieee_div_zero 0
		.amdhsa_exception_fp_ieee_overflow 0
		.amdhsa_exception_fp_ieee_underflow 0
		.amdhsa_exception_fp_ieee_inexact 0
		.amdhsa_exception_int_div_zero 0
	.end_amdhsa_kernel
	.section	.text._ZN9rocsparseL20bsrxmvn_17_32_kernelILj29E21rocsparse_complex_numIfEiifS2_S2_EEvT2_20rocsparse_direction_NS_24const_host_device_scalarIT0_EES3_PKS3_PKT1_SC_S9_PKT3_PKT4_S7_PT5_21rocsparse_index_base_b,"axG",@progbits,_ZN9rocsparseL20bsrxmvn_17_32_kernelILj29E21rocsparse_complex_numIfEiifS2_S2_EEvT2_20rocsparse_direction_NS_24const_host_device_scalarIT0_EES3_PKS3_PKT1_SC_S9_PKT3_PKT4_S7_PT5_21rocsparse_index_base_b,comdat
.Lfunc_end396:
	.size	_ZN9rocsparseL20bsrxmvn_17_32_kernelILj29E21rocsparse_complex_numIfEiifS2_S2_EEvT2_20rocsparse_direction_NS_24const_host_device_scalarIT0_EES3_PKS3_PKT1_SC_S9_PKT3_PKT4_S7_PT5_21rocsparse_index_base_b, .Lfunc_end396-_ZN9rocsparseL20bsrxmvn_17_32_kernelILj29E21rocsparse_complex_numIfEiifS2_S2_EEvT2_20rocsparse_direction_NS_24const_host_device_scalarIT0_EES3_PKS3_PKT1_SC_S9_PKT3_PKT4_S7_PT5_21rocsparse_index_base_b
                                        ; -- End function
	.section	.AMDGPU.csdata,"",@progbits
; Kernel info:
; codeLenInByte = 1836
; NumSgprs: 18
; NumVgprs: 15
; ScratchSize: 0
; MemoryBound: 0
; FloatMode: 240
; IeeeMode: 1
; LDSByteSize: 6728 bytes/workgroup (compile time only)
; SGPRBlocks: 2
; VGPRBlocks: 1
; NumSGPRsForWavesPerEU: 18
; NumVGPRsForWavesPerEU: 15
; Occupancy: 14
; WaveLimiterHint : 1
; COMPUTE_PGM_RSRC2:SCRATCH_EN: 0
; COMPUTE_PGM_RSRC2:USER_SGPR: 15
; COMPUTE_PGM_RSRC2:TRAP_HANDLER: 0
; COMPUTE_PGM_RSRC2:TGID_X_EN: 1
; COMPUTE_PGM_RSRC2:TGID_Y_EN: 0
; COMPUTE_PGM_RSRC2:TGID_Z_EN: 0
; COMPUTE_PGM_RSRC2:TIDIG_COMP_CNT: 0
	.section	.text._ZN9rocsparseL20bsrxmvn_17_32_kernelILj30E21rocsparse_complex_numIfEiifS2_S2_EEvT2_20rocsparse_direction_NS_24const_host_device_scalarIT0_EES3_PKS3_PKT1_SC_S9_PKT3_PKT4_S7_PT5_21rocsparse_index_base_b,"axG",@progbits,_ZN9rocsparseL20bsrxmvn_17_32_kernelILj30E21rocsparse_complex_numIfEiifS2_S2_EEvT2_20rocsparse_direction_NS_24const_host_device_scalarIT0_EES3_PKS3_PKT1_SC_S9_PKT3_PKT4_S7_PT5_21rocsparse_index_base_b,comdat
	.globl	_ZN9rocsparseL20bsrxmvn_17_32_kernelILj30E21rocsparse_complex_numIfEiifS2_S2_EEvT2_20rocsparse_direction_NS_24const_host_device_scalarIT0_EES3_PKS3_PKT1_SC_S9_PKT3_PKT4_S7_PT5_21rocsparse_index_base_b ; -- Begin function _ZN9rocsparseL20bsrxmvn_17_32_kernelILj30E21rocsparse_complex_numIfEiifS2_S2_EEvT2_20rocsparse_direction_NS_24const_host_device_scalarIT0_EES3_PKS3_PKT1_SC_S9_PKT3_PKT4_S7_PT5_21rocsparse_index_base_b
	.p2align	8
	.type	_ZN9rocsparseL20bsrxmvn_17_32_kernelILj30E21rocsparse_complex_numIfEiifS2_S2_EEvT2_20rocsparse_direction_NS_24const_host_device_scalarIT0_EES3_PKS3_PKT1_SC_S9_PKT3_PKT4_S7_PT5_21rocsparse_index_base_b,@function
_ZN9rocsparseL20bsrxmvn_17_32_kernelILj30E21rocsparse_complex_numIfEiifS2_S2_EEvT2_20rocsparse_direction_NS_24const_host_device_scalarIT0_EES3_PKS3_PKT1_SC_S9_PKT3_PKT4_S7_PT5_21rocsparse_index_base_b: ; @_ZN9rocsparseL20bsrxmvn_17_32_kernelILj30E21rocsparse_complex_numIfEiifS2_S2_EEvT2_20rocsparse_direction_NS_24const_host_device_scalarIT0_EES3_PKS3_PKT1_SC_S9_PKT3_PKT4_S7_PT5_21rocsparse_index_base_b
; %bb.0:
	s_clause 0x2
	s_load_b64 s[10:11], s[0:1], 0x58
	s_load_b64 s[4:5], s[0:1], 0x8
	;; [unrolled: 1-line block ×3, first 2 shown]
	s_mov_b32 s8, s15
	s_waitcnt lgkmcnt(0)
	s_bitcmp1_b32 s11, 0
	v_mov_b32_e32 v10, s4
	s_cselect_b32 s6, -1, 0
	s_delay_alu instid0(SALU_CYCLE_1)
	s_and_b32 vcc_lo, exec_lo, s6
	s_xor_b32 s6, s6, -1
	s_cbranch_vccz .LBB397_15
; %bb.1:
	v_cndmask_b32_e64 v1, 0, 1, s6
	v_mov_b32_e32 v11, s5
	s_and_not1_b32 vcc_lo, exec_lo, s6
	s_cbranch_vccz .LBB397_16
.LBB397_2:
	s_delay_alu instid0(VALU_DEP_2)
	v_cmp_ne_u32_e32 vcc_lo, 1, v1
	v_mov_b32_e32 v8, s2
	s_cbranch_vccz .LBB397_17
.LBB397_3:
	v_cmp_ne_u32_e32 vcc_lo, 1, v1
	v_mov_b32_e32 v9, s3
	s_cbranch_vccnz .LBB397_5
.LBB397_4:
	v_dual_mov_b32 v1, s2 :: v_dual_mov_b32 v2, s3
	flat_load_b32 v9, v[1:2] offset:4
.LBB397_5:
	s_waitcnt vmcnt(0) lgkmcnt(0)
	v_cmp_eq_f32_e32 vcc_lo, 0, v10
	v_cmp_eq_f32_e64 s2, 0, v11
	s_delay_alu instid0(VALU_DEP_1)
	s_and_b32 s4, vcc_lo, s2
	s_mov_b32 s2, -1
	s_and_saveexec_b32 s3, s4
; %bb.6:
	v_cmp_neq_f32_e32 vcc_lo, 1.0, v8
	v_cmp_neq_f32_e64 s2, 0, v9
	s_delay_alu instid0(VALU_DEP_1) | instskip(NEXT) | instid1(SALU_CYCLE_1)
	s_or_b32 s2, vcc_lo, s2
	s_or_not1_b32 s2, s2, exec_lo
; %bb.7:
	s_or_b32 exec_lo, exec_lo, s3
	s_and_saveexec_b32 s3, s2
	s_cbranch_execz .LBB397_44
; %bb.8:
	s_clause 0x1
	s_load_b128 s[4:7], s[0:1], 0x18
	s_load_b64 s[2:3], s[0:1], 0x28
	s_waitcnt lgkmcnt(0)
	s_cmp_eq_u64 s[4:5], 0
	s_cbranch_scc1 .LBB397_10
; %bb.9:
	s_ashr_i32 s9, s8, 31
	s_delay_alu instid0(SALU_CYCLE_1) | instskip(NEXT) | instid1(SALU_CYCLE_1)
	s_lshl_b64 s[8:9], s[8:9], 2
	s_add_u32 s4, s4, s8
	s_addc_u32 s5, s5, s9
	s_load_b32 s4, s[4:5], 0x0
	s_waitcnt lgkmcnt(0)
	s_sub_i32 s8, s4, s10
.LBB397_10:
	s_load_b32 s4, s[0:1], 0x4
	v_mul_u32_u24_e32 v1, 0x889, v0
	v_mov_b32_e32 v2, 0
	s_delay_alu instid0(VALU_DEP_2) | instskip(NEXT) | instid1(VALU_DEP_1)
	v_lshrrev_b32_e32 v3, 16, v1
	v_mul_lo_u16 v1, v3, 30
	s_delay_alu instid0(VALU_DEP_1)
	v_sub_nc_u16 v12, v0, v1
	v_mov_b32_e32 v1, 0
	s_waitcnt lgkmcnt(0)
	s_cmp_eq_u32 s4, 1
	s_cselect_b32 vcc_lo, -1, 0
	s_cmp_lg_u32 s4, 1
	s_cselect_b32 s11, -1, 0
	s_ashr_i32 s9, s8, 31
	s_delay_alu instid0(SALU_CYCLE_1) | instskip(NEXT) | instid1(SALU_CYCLE_1)
	s_lshl_b64 s[4:5], s[8:9], 2
	s_add_u32 s6, s6, s4
	s_addc_u32 s7, s7, s5
	s_add_u32 s9, s6, 4
	s_addc_u32 s12, s7, 0
	;; [unrolled: 2-line block ×3, first 2 shown]
	s_cmp_eq_u64 s[2:3], 0
	s_cselect_b32 s3, s12, s5
	s_cselect_b32 s2, s9, s4
	s_load_b32 s9, s[6:7], 0x0
	s_load_b32 s14, s[2:3], 0x0
	s_load_b64 s[2:3], s[0:1], 0x50
	s_waitcnt lgkmcnt(0)
	s_cmp_ge_i32 s9, s14
	s_cbranch_scc1 .LBB397_18
; %bb.11:
	s_clause 0x1
	s_load_b128 s[4:7], s[0:1], 0x30
	s_load_b64 s[12:13], s[0:1], 0x40
	v_and_b32_e32 v1, 0xffff, v3
	v_cmp_gt_u32_e64 s0, 0x384, v0
	s_sub_i32 s9, s9, s10
	v_and_b32_e32 v3, 0xffff, v12
	s_sub_i32 s1, s14, s10
	v_subrev_nc_u32_e32 v2, 30, v1
	s_mul_i32 s14, s9, 0xe10
	s_delay_alu instid0(VALU_DEP_1) | instskip(SKIP_2) | instid1(VALU_DEP_3)
	v_cndmask_b32_e64 v1, v2, v1, s0
	v_mov_b32_e32 v2, 0
	v_cmp_lt_u32_e64 s0, 0x383, v0
	v_dual_cndmask_b32 v3, v3, v1 :: v_dual_lshlrev_b32 v4, 2, v0
	s_delay_alu instid0(VALU_DEP_3) | instskip(NEXT) | instid1(VALU_DEP_3)
	v_mov_b32_e32 v1, v2
	v_cndmask_b32_e64 v13, 0, 1, s0
	s_mul_hi_i32 s0, s9, 0xe10
	s_waitcnt lgkmcnt(0)
	s_add_u32 s6, s6, s14
	s_addc_u32 s0, s7, s0
	v_add_co_u32 v4, s6, s6, v4
	s_delay_alu instid0(VALU_DEP_1)
	v_add_co_ci_u32_e64 v5, null, s0, 0, s6
	s_set_inst_prefetch_distance 0x1
	s_branch .LBB397_13
	.p2align	6
.LBB397_12:                             ;   in Loop: Header=BB397_13 Depth=1
	s_or_b32 exec_lo, exec_lo, s0
	s_add_i32 s9, s9, 1
	s_delay_alu instid0(SALU_CYCLE_1)
	s_cmp_lt_i32 s9, s1
	s_cbranch_scc0 .LBB397_18
.LBB397_13:                             ; =>This Inner Loop Header: Depth=1
	v_add_nc_u32_e32 v6, s9, v13
	s_mov_b32 s0, exec_lo
	s_delay_alu instid0(VALU_DEP_1)
	v_cmpx_gt_i32_e64 s1, v6
	s_cbranch_execz .LBB397_12
; %bb.14:                               ;   in Loop: Header=BB397_13 Depth=1
	v_ashrrev_i32_e32 v7, 31, v6
	s_delay_alu instid0(VALU_DEP_1) | instskip(NEXT) | instid1(VALU_DEP_1)
	v_lshlrev_b64 v[6:7], 2, v[6:7]
	v_add_co_u32 v6, vcc_lo, s4, v6
	s_delay_alu instid0(VALU_DEP_2) | instskip(SKIP_3) | instid1(VALU_DEP_1)
	v_add_co_ci_u32_e32 v7, vcc_lo, s5, v7, vcc_lo
	global_load_b32 v6, v[6:7], off
	s_waitcnt vmcnt(0)
	v_subrev_nc_u32_e32 v14, s10, v6
	v_mad_u64_u32 v[6:7], null, v14, 30, v[3:4]
	s_delay_alu instid0(VALU_DEP_1) | instskip(NEXT) | instid1(VALU_DEP_1)
	v_ashrrev_i32_e32 v7, 31, v6
	v_lshlrev_b64 v[6:7], 3, v[6:7]
	s_delay_alu instid0(VALU_DEP_1) | instskip(NEXT) | instid1(VALU_DEP_2)
	v_add_co_u32 v6, vcc_lo, s12, v6
	v_add_co_ci_u32_e32 v7, vcc_lo, s13, v7, vcc_lo
	global_load_b32 v14, v[4:5], off
	global_load_b64 v[6:7], v[6:7], off
	v_add_co_u32 v4, vcc_lo, 0xe10, v4
	v_add_co_ci_u32_e32 v5, vcc_lo, 0, v5, vcc_lo
	s_waitcnt vmcnt(0)
	v_fmac_f32_e32 v1, v14, v6
	s_delay_alu instid0(VALU_DEP_1) | instskip(NEXT) | instid1(VALU_DEP_1)
	v_dual_fmac_f32 v2, 0, v6 :: v_dual_fmac_f32 v1, 0x80000000, v7
	v_fmac_f32_e32 v2, v14, v7
	s_branch .LBB397_12
.LBB397_15:
	v_dual_mov_b32 v1, s4 :: v_dual_mov_b32 v2, s5
	flat_load_b32 v10, v[1:2]
	v_cndmask_b32_e64 v1, 0, 1, s6
	v_mov_b32_e32 v11, s5
	s_and_not1_b32 vcc_lo, exec_lo, s6
	s_cbranch_vccnz .LBB397_2
.LBB397_16:
	v_dual_mov_b32 v2, s4 :: v_dual_mov_b32 v3, s5
	flat_load_b32 v11, v[2:3] offset:4
	v_cmp_ne_u32_e32 vcc_lo, 1, v1
	v_mov_b32_e32 v8, s2
	s_cbranch_vccnz .LBB397_3
.LBB397_17:
	v_dual_mov_b32 v2, s2 :: v_dual_mov_b32 v3, s3
	flat_load_b32 v8, v[2:3]
	v_cmp_ne_u32_e32 vcc_lo, 1, v1
	v_mov_b32_e32 v9, s3
	s_cbranch_vccz .LBB397_4
	s_branch .LBB397_5
.LBB397_18:
	s_set_inst_prefetch_distance 0x2
	v_lshlrev_b32_e32 v3, 3, v0
	s_and_b32 vcc_lo, exec_lo, s11
	ds_store_b64 v3, v[1:2]
	s_waitcnt lgkmcnt(0)
	s_barrier
	buffer_gl0_inv
	s_cbranch_vccz .LBB397_30
; %bb.19:
	s_mov_b32 s0, exec_lo
	v_cmpx_gt_u16_e32 14, v12
	s_cbranch_execz .LBB397_21
; %bb.20:
	ds_load_2addr_b64 v[4:7], v3 offset1:16
	s_waitcnt lgkmcnt(0)
	v_dual_add_f32 v4, v6, v4 :: v_dual_add_f32 v5, v7, v5
	ds_store_b64 v3, v[4:5]
.LBB397_21:
	s_or_b32 exec_lo, exec_lo, s0
	s_delay_alu instid0(SALU_CYCLE_1)
	s_mov_b32 s0, exec_lo
	s_waitcnt lgkmcnt(0)
	s_barrier
	buffer_gl0_inv
	v_cmpx_gt_u16_e32 8, v12
	s_cbranch_execz .LBB397_23
; %bb.22:
	ds_load_2addr_b64 v[4:7], v3 offset1:8
	s_waitcnt lgkmcnt(0)
	v_dual_add_f32 v4, v6, v4 :: v_dual_add_f32 v5, v7, v5
	ds_store_b64 v3, v[4:5]
.LBB397_23:
	s_or_b32 exec_lo, exec_lo, s0
	s_delay_alu instid0(SALU_CYCLE_1)
	s_mov_b32 s0, exec_lo
	s_waitcnt lgkmcnt(0)
	s_barrier
	buffer_gl0_inv
	;; [unrolled: 14-line block ×3, first 2 shown]
	v_cmpx_gt_u16_e32 2, v12
	s_cbranch_execz .LBB397_27
; %bb.26:
	ds_load_2addr_b64 v[4:7], v3 offset1:2
	s_waitcnt lgkmcnt(0)
	v_dual_add_f32 v4, v6, v4 :: v_dual_add_f32 v5, v7, v5
	ds_store_b64 v3, v[4:5]
.LBB397_27:
	s_or_b32 exec_lo, exec_lo, s0
	s_mov_b32 s1, 0
	s_mov_b32 s0, 0
	s_mov_b32 s4, exec_lo
	s_waitcnt lgkmcnt(0)
	s_barrier
	buffer_gl0_inv
                                        ; implicit-def: $vgpr5
                                        ; implicit-def: $vgpr4
	v_cmpx_gt_u32_e32 30, v0
	s_xor_b32 s4, exec_lo, s4
; %bb.28:
	v_mul_u32_u24_e32 v4, 30, v0
	s_mov_b32 s0, exec_lo
	s_delay_alu instid0(VALU_DEP_1)
	v_lshlrev_b32_e32 v5, 3, v4
	v_or_b32_e32 v4, 1, v4
; %bb.29:
	s_or_b32 exec_lo, exec_lo, s4
	s_delay_alu instid0(SALU_CYCLE_1)
	s_and_b32 vcc_lo, exec_lo, s1
	s_cbranch_vccnz .LBB397_31
	s_branch .LBB397_42
.LBB397_30:
	s_mov_b32 s0, 0
                                        ; implicit-def: $vgpr5
                                        ; implicit-def: $vgpr4
	s_cbranch_execz .LBB397_42
.LBB397_31:
	s_mov_b32 s1, exec_lo
	v_cmpx_gt_u32_e32 0x1a4, v0
	s_cbranch_execz .LBB397_33
; %bb.32:
	ds_load_b64 v[4:5], v3 offset:3840
	ds_load_b64 v[6:7], v3
	s_waitcnt lgkmcnt(0)
	v_dual_add_f32 v4, v4, v6 :: v_dual_add_f32 v5, v5, v7
	ds_store_b64 v3, v[4:5]
.LBB397_33:
	s_or_b32 exec_lo, exec_lo, s1
	s_delay_alu instid0(SALU_CYCLE_1)
	s_mov_b32 s1, exec_lo
	s_waitcnt lgkmcnt(0)
	s_barrier
	buffer_gl0_inv
	v_cmpx_gt_u32_e32 0xf0, v0
	s_cbranch_execz .LBB397_35
; %bb.34:
	ds_load_2addr_b64 v[4:7], v3 offset1:240
	s_waitcnt lgkmcnt(0)
	v_dual_add_f32 v4, v6, v4 :: v_dual_add_f32 v5, v7, v5
	ds_store_b64 v3, v[4:5]
.LBB397_35:
	s_or_b32 exec_lo, exec_lo, s1
	s_delay_alu instid0(SALU_CYCLE_1)
	s_mov_b32 s1, exec_lo
	s_waitcnt lgkmcnt(0)
	s_barrier
	buffer_gl0_inv
	v_cmpx_gt_u32_e32 0x78, v0
	s_cbranch_execz .LBB397_37
; %bb.36:
	ds_load_2addr_b64 v[4:7], v3 offset1:120
	s_waitcnt lgkmcnt(0)
	v_dual_add_f32 v4, v6, v4 :: v_dual_add_f32 v5, v7, v5
	ds_store_b64 v3, v[4:5]
.LBB397_37:
	;; [unrolled: 14-line block ×3, first 2 shown]
	s_or_b32 exec_lo, exec_lo, s1
	s_delay_alu instid0(SALU_CYCLE_1)
	s_mov_b32 s1, exec_lo
	s_waitcnt lgkmcnt(0)
	buffer_gl0_inv
                                        ; implicit-def: $vgpr4
	v_cmpx_gt_u32_e32 30, v0
; %bb.40:
	v_add_nc_u32_e32 v4, 30, v0
	s_or_b32 s0, s0, exec_lo
                                        ; implicit-def: $vgpr2
; %bb.41:
	s_or_b32 exec_lo, exec_lo, s1
	v_mov_b32_e32 v5, v3
.LBB397_42:
	s_and_saveexec_b32 s1, s0
	s_cbranch_execnz .LBB397_45
; %bb.43:
	s_or_b32 exec_lo, exec_lo, s1
	v_cmp_gt_u32_e32 vcc_lo, 30, v0
	s_and_b32 exec_lo, exec_lo, vcc_lo
	s_cbranch_execnz .LBB397_46
.LBB397_44:
	s_nop 0
	s_sendmsg sendmsg(MSG_DEALLOC_VGPRS)
	s_endpgm
.LBB397_45:
	v_lshlrev_b32_e32 v3, 3, v4
	ds_load_2addr_b32 v[1:2], v5 offset1:1
	ds_load_b64 v[3:4], v3
	s_waitcnt lgkmcnt(0)
	v_dual_add_f32 v2, v4, v2 :: v_dual_add_f32 v1, v3, v1
	s_or_b32 exec_lo, exec_lo, s1
	v_cmp_gt_u32_e32 vcc_lo, 30, v0
	s_and_b32 exec_lo, exec_lo, vcc_lo
	s_cbranch_execz .LBB397_44
.LBB397_46:
	v_mul_f32_e64 v3, v2, -v11
	v_mul_f32_e32 v4, v2, v10
	v_cmp_eq_f32_e32 vcc_lo, 0, v8
	v_cmp_eq_f32_e64 s0, 0, v9
	s_delay_alu instid0(VALU_DEP_4) | instskip(NEXT) | instid1(VALU_DEP_4)
	v_fmac_f32_e32 v3, v10, v1
	v_fmac_f32_e32 v4, v11, v1
	s_delay_alu instid0(VALU_DEP_3) | instskip(NEXT) | instid1(SALU_CYCLE_1)
	s_and_b32 s0, vcc_lo, s0
	s_and_saveexec_b32 s1, s0
	s_delay_alu instid0(SALU_CYCLE_1)
	s_xor_b32 s0, exec_lo, s1
	s_cbranch_execz .LBB397_48
; %bb.47:
	v_mad_u64_u32 v[1:2], null, s8, 30, v[0:1]
	v_mov_b32_e32 v2, 0
                                        ; implicit-def: $vgpr8
                                        ; implicit-def: $vgpr9
	s_delay_alu instid0(VALU_DEP_1) | instskip(NEXT) | instid1(VALU_DEP_1)
	v_lshlrev_b64 v[0:1], 3, v[1:2]
	v_add_co_u32 v0, vcc_lo, s2, v0
	s_delay_alu instid0(VALU_DEP_2)
	v_add_co_ci_u32_e32 v1, vcc_lo, s3, v1, vcc_lo
	global_store_b64 v[0:1], v[3:4], off
                                        ; implicit-def: $vgpr0
                                        ; implicit-def: $vgpr3
.LBB397_48:
	s_and_not1_saveexec_b32 s0, s0
	s_cbranch_execz .LBB397_44
; %bb.49:
	v_mad_u64_u32 v[1:2], null, s8, 30, v[0:1]
	v_mov_b32_e32 v2, 0
	s_delay_alu instid0(VALU_DEP_1) | instskip(NEXT) | instid1(VALU_DEP_1)
	v_lshlrev_b64 v[0:1], 3, v[1:2]
	v_add_co_u32 v0, vcc_lo, s2, v0
	s_delay_alu instid0(VALU_DEP_2) | instskip(SKIP_4) | instid1(VALU_DEP_2)
	v_add_co_ci_u32_e32 v1, vcc_lo, s3, v1, vcc_lo
	global_load_b64 v[5:6], v[0:1], off
	s_waitcnt vmcnt(0)
	v_fmac_f32_e32 v3, v8, v5
	v_fmac_f32_e32 v4, v9, v5
	v_fma_f32 v3, -v9, v6, v3
	s_delay_alu instid0(VALU_DEP_2)
	v_fmac_f32_e32 v4, v8, v6
	global_store_b64 v[0:1], v[3:4], off
	s_nop 0
	s_sendmsg sendmsg(MSG_DEALLOC_VGPRS)
	s_endpgm
	.section	.rodata,"a",@progbits
	.p2align	6, 0x0
	.amdhsa_kernel _ZN9rocsparseL20bsrxmvn_17_32_kernelILj30E21rocsparse_complex_numIfEiifS2_S2_EEvT2_20rocsparse_direction_NS_24const_host_device_scalarIT0_EES3_PKS3_PKT1_SC_S9_PKT3_PKT4_S7_PT5_21rocsparse_index_base_b
		.amdhsa_group_segment_fixed_size 7200
		.amdhsa_private_segment_fixed_size 0
		.amdhsa_kernarg_size 96
		.amdhsa_user_sgpr_count 15
		.amdhsa_user_sgpr_dispatch_ptr 0
		.amdhsa_user_sgpr_queue_ptr 0
		.amdhsa_user_sgpr_kernarg_segment_ptr 1
		.amdhsa_user_sgpr_dispatch_id 0
		.amdhsa_user_sgpr_private_segment_size 0
		.amdhsa_wavefront_size32 1
		.amdhsa_uses_dynamic_stack 0
		.amdhsa_enable_private_segment 0
		.amdhsa_system_sgpr_workgroup_id_x 1
		.amdhsa_system_sgpr_workgroup_id_y 0
		.amdhsa_system_sgpr_workgroup_id_z 0
		.amdhsa_system_sgpr_workgroup_info 0
		.amdhsa_system_vgpr_workitem_id 0
		.amdhsa_next_free_vgpr 15
		.amdhsa_next_free_sgpr 16
		.amdhsa_reserve_vcc 1
		.amdhsa_float_round_mode_32 0
		.amdhsa_float_round_mode_16_64 0
		.amdhsa_float_denorm_mode_32 3
		.amdhsa_float_denorm_mode_16_64 3
		.amdhsa_dx10_clamp 1
		.amdhsa_ieee_mode 1
		.amdhsa_fp16_overflow 0
		.amdhsa_workgroup_processor_mode 1
		.amdhsa_memory_ordered 1
		.amdhsa_forward_progress 0
		.amdhsa_shared_vgpr_count 0
		.amdhsa_exception_fp_ieee_invalid_op 0
		.amdhsa_exception_fp_denorm_src 0
		.amdhsa_exception_fp_ieee_div_zero 0
		.amdhsa_exception_fp_ieee_overflow 0
		.amdhsa_exception_fp_ieee_underflow 0
		.amdhsa_exception_fp_ieee_inexact 0
		.amdhsa_exception_int_div_zero 0
	.end_amdhsa_kernel
	.section	.text._ZN9rocsparseL20bsrxmvn_17_32_kernelILj30E21rocsparse_complex_numIfEiifS2_S2_EEvT2_20rocsparse_direction_NS_24const_host_device_scalarIT0_EES3_PKS3_PKT1_SC_S9_PKT3_PKT4_S7_PT5_21rocsparse_index_base_b,"axG",@progbits,_ZN9rocsparseL20bsrxmvn_17_32_kernelILj30E21rocsparse_complex_numIfEiifS2_S2_EEvT2_20rocsparse_direction_NS_24const_host_device_scalarIT0_EES3_PKS3_PKT1_SC_S9_PKT3_PKT4_S7_PT5_21rocsparse_index_base_b,comdat
.Lfunc_end397:
	.size	_ZN9rocsparseL20bsrxmvn_17_32_kernelILj30E21rocsparse_complex_numIfEiifS2_S2_EEvT2_20rocsparse_direction_NS_24const_host_device_scalarIT0_EES3_PKS3_PKT1_SC_S9_PKT3_PKT4_S7_PT5_21rocsparse_index_base_b, .Lfunc_end397-_ZN9rocsparseL20bsrxmvn_17_32_kernelILj30E21rocsparse_complex_numIfEiifS2_S2_EEvT2_20rocsparse_direction_NS_24const_host_device_scalarIT0_EES3_PKS3_PKT1_SC_S9_PKT3_PKT4_S7_PT5_21rocsparse_index_base_b
                                        ; -- End function
	.section	.AMDGPU.csdata,"",@progbits
; Kernel info:
; codeLenInByte = 1832
; NumSgprs: 18
; NumVgprs: 15
; ScratchSize: 0
; MemoryBound: 0
; FloatMode: 240
; IeeeMode: 1
; LDSByteSize: 7200 bytes/workgroup (compile time only)
; SGPRBlocks: 2
; VGPRBlocks: 1
; NumSGPRsForWavesPerEU: 18
; NumVGPRsForWavesPerEU: 15
; Occupancy: 15
; WaveLimiterHint : 1
; COMPUTE_PGM_RSRC2:SCRATCH_EN: 0
; COMPUTE_PGM_RSRC2:USER_SGPR: 15
; COMPUTE_PGM_RSRC2:TRAP_HANDLER: 0
; COMPUTE_PGM_RSRC2:TGID_X_EN: 1
; COMPUTE_PGM_RSRC2:TGID_Y_EN: 0
; COMPUTE_PGM_RSRC2:TGID_Z_EN: 0
; COMPUTE_PGM_RSRC2:TIDIG_COMP_CNT: 0
	.section	.text._ZN9rocsparseL20bsrxmvn_17_32_kernelILj31E21rocsparse_complex_numIfEiifS2_S2_EEvT2_20rocsparse_direction_NS_24const_host_device_scalarIT0_EES3_PKS3_PKT1_SC_S9_PKT3_PKT4_S7_PT5_21rocsparse_index_base_b,"axG",@progbits,_ZN9rocsparseL20bsrxmvn_17_32_kernelILj31E21rocsparse_complex_numIfEiifS2_S2_EEvT2_20rocsparse_direction_NS_24const_host_device_scalarIT0_EES3_PKS3_PKT1_SC_S9_PKT3_PKT4_S7_PT5_21rocsparse_index_base_b,comdat
	.globl	_ZN9rocsparseL20bsrxmvn_17_32_kernelILj31E21rocsparse_complex_numIfEiifS2_S2_EEvT2_20rocsparse_direction_NS_24const_host_device_scalarIT0_EES3_PKS3_PKT1_SC_S9_PKT3_PKT4_S7_PT5_21rocsparse_index_base_b ; -- Begin function _ZN9rocsparseL20bsrxmvn_17_32_kernelILj31E21rocsparse_complex_numIfEiifS2_S2_EEvT2_20rocsparse_direction_NS_24const_host_device_scalarIT0_EES3_PKS3_PKT1_SC_S9_PKT3_PKT4_S7_PT5_21rocsparse_index_base_b
	.p2align	8
	.type	_ZN9rocsparseL20bsrxmvn_17_32_kernelILj31E21rocsparse_complex_numIfEiifS2_S2_EEvT2_20rocsparse_direction_NS_24const_host_device_scalarIT0_EES3_PKS3_PKT1_SC_S9_PKT3_PKT4_S7_PT5_21rocsparse_index_base_b,@function
_ZN9rocsparseL20bsrxmvn_17_32_kernelILj31E21rocsparse_complex_numIfEiifS2_S2_EEvT2_20rocsparse_direction_NS_24const_host_device_scalarIT0_EES3_PKS3_PKT1_SC_S9_PKT3_PKT4_S7_PT5_21rocsparse_index_base_b: ; @_ZN9rocsparseL20bsrxmvn_17_32_kernelILj31E21rocsparse_complex_numIfEiifS2_S2_EEvT2_20rocsparse_direction_NS_24const_host_device_scalarIT0_EES3_PKS3_PKT1_SC_S9_PKT3_PKT4_S7_PT5_21rocsparse_index_base_b
; %bb.0:
	s_clause 0x2
	s_load_b64 s[10:11], s[0:1], 0x58
	s_load_b64 s[4:5], s[0:1], 0x8
	;; [unrolled: 1-line block ×3, first 2 shown]
	s_mov_b32 s8, s15
	s_waitcnt lgkmcnt(0)
	s_bitcmp1_b32 s11, 0
	v_mov_b32_e32 v10, s4
	s_cselect_b32 s6, -1, 0
	s_delay_alu instid0(SALU_CYCLE_1)
	s_and_b32 vcc_lo, exec_lo, s6
	s_xor_b32 s6, s6, -1
	s_cbranch_vccz .LBB398_15
; %bb.1:
	v_cndmask_b32_e64 v1, 0, 1, s6
	v_mov_b32_e32 v11, s5
	s_and_not1_b32 vcc_lo, exec_lo, s6
	s_cbranch_vccz .LBB398_16
.LBB398_2:
	s_delay_alu instid0(VALU_DEP_2)
	v_cmp_ne_u32_e32 vcc_lo, 1, v1
	v_mov_b32_e32 v8, s2
	s_cbranch_vccz .LBB398_17
.LBB398_3:
	v_cmp_ne_u32_e32 vcc_lo, 1, v1
	v_mov_b32_e32 v9, s3
	s_cbranch_vccnz .LBB398_5
.LBB398_4:
	v_dual_mov_b32 v1, s2 :: v_dual_mov_b32 v2, s3
	flat_load_b32 v9, v[1:2] offset:4
.LBB398_5:
	s_waitcnt vmcnt(0) lgkmcnt(0)
	v_cmp_eq_f32_e32 vcc_lo, 0, v10
	v_cmp_eq_f32_e64 s2, 0, v11
	s_delay_alu instid0(VALU_DEP_1)
	s_and_b32 s4, vcc_lo, s2
	s_mov_b32 s2, -1
	s_and_saveexec_b32 s3, s4
; %bb.6:
	v_cmp_neq_f32_e32 vcc_lo, 1.0, v8
	v_cmp_neq_f32_e64 s2, 0, v9
	s_delay_alu instid0(VALU_DEP_1) | instskip(NEXT) | instid1(SALU_CYCLE_1)
	s_or_b32 s2, vcc_lo, s2
	s_or_not1_b32 s2, s2, exec_lo
; %bb.7:
	s_or_b32 exec_lo, exec_lo, s3
	s_and_saveexec_b32 s3, s2
	s_cbranch_execz .LBB398_44
; %bb.8:
	s_clause 0x1
	s_load_b128 s[4:7], s[0:1], 0x18
	s_load_b64 s[2:3], s[0:1], 0x28
	s_waitcnt lgkmcnt(0)
	s_cmp_eq_u64 s[4:5], 0
	s_cbranch_scc1 .LBB398_10
; %bb.9:
	s_ashr_i32 s9, s8, 31
	s_delay_alu instid0(SALU_CYCLE_1) | instskip(NEXT) | instid1(SALU_CYCLE_1)
	s_lshl_b64 s[8:9], s[8:9], 2
	s_add_u32 s4, s4, s8
	s_addc_u32 s5, s5, s9
	s_load_b32 s4, s[4:5], 0x0
	s_waitcnt lgkmcnt(0)
	s_sub_i32 s8, s4, s10
.LBB398_10:
	s_load_b32 s4, s[0:1], 0x4
	v_mul_u32_u24_e32 v1, 0x843, v0
	v_mov_b32_e32 v2, 0
	s_delay_alu instid0(VALU_DEP_2) | instskip(NEXT) | instid1(VALU_DEP_1)
	v_lshrrev_b32_e32 v3, 16, v1
	v_mul_lo_u16 v1, v3, 31
	s_delay_alu instid0(VALU_DEP_1)
	v_sub_nc_u16 v12, v0, v1
	v_mov_b32_e32 v1, 0
	s_waitcnt lgkmcnt(0)
	s_cmp_eq_u32 s4, 1
	s_cselect_b32 vcc_lo, -1, 0
	s_cmp_lg_u32 s4, 1
	s_cselect_b32 s11, -1, 0
	s_ashr_i32 s9, s8, 31
	s_delay_alu instid0(SALU_CYCLE_1) | instskip(NEXT) | instid1(SALU_CYCLE_1)
	s_lshl_b64 s[4:5], s[8:9], 2
	s_add_u32 s6, s6, s4
	s_addc_u32 s7, s7, s5
	s_add_u32 s9, s6, 4
	s_addc_u32 s12, s7, 0
	;; [unrolled: 2-line block ×3, first 2 shown]
	s_cmp_eq_u64 s[2:3], 0
	s_cselect_b32 s3, s12, s5
	s_cselect_b32 s2, s9, s4
	s_load_b32 s9, s[6:7], 0x0
	s_load_b32 s14, s[2:3], 0x0
	s_load_b64 s[2:3], s[0:1], 0x50
	s_waitcnt lgkmcnt(0)
	s_cmp_ge_i32 s9, s14
	s_cbranch_scc1 .LBB398_18
; %bb.11:
	s_clause 0x1
	s_load_b128 s[4:7], s[0:1], 0x30
	s_load_b64 s[12:13], s[0:1], 0x40
	v_and_b32_e32 v1, 0xffff, v3
	v_cmp_gt_u32_e64 s0, 0x3c1, v0
	s_sub_i32 s9, s9, s10
	v_and_b32_e32 v3, 0xffff, v12
	s_sub_i32 s1, s14, s10
	v_subrev_nc_u32_e32 v2, 31, v1
	s_mul_i32 s14, s9, 0xf04
	s_delay_alu instid0(VALU_DEP_1) | instskip(SKIP_2) | instid1(VALU_DEP_3)
	v_cndmask_b32_e64 v1, v2, v1, s0
	v_mov_b32_e32 v2, 0
	v_cmp_lt_u32_e64 s0, 0x3c0, v0
	v_dual_cndmask_b32 v3, v3, v1 :: v_dual_lshlrev_b32 v4, 2, v0
	s_delay_alu instid0(VALU_DEP_3) | instskip(NEXT) | instid1(VALU_DEP_3)
	v_mov_b32_e32 v1, v2
	v_cndmask_b32_e64 v13, 0, 1, s0
	s_mul_hi_i32 s0, s9, 0xf04
	s_waitcnt lgkmcnt(0)
	s_add_u32 s6, s6, s14
	s_addc_u32 s0, s7, s0
	v_add_co_u32 v4, s6, s6, v4
	s_delay_alu instid0(VALU_DEP_1)
	v_add_co_ci_u32_e64 v5, null, s0, 0, s6
	s_set_inst_prefetch_distance 0x1
	s_branch .LBB398_13
	.p2align	6
.LBB398_12:                             ;   in Loop: Header=BB398_13 Depth=1
	s_or_b32 exec_lo, exec_lo, s0
	s_add_i32 s9, s9, 1
	s_delay_alu instid0(SALU_CYCLE_1)
	s_cmp_lt_i32 s9, s1
	s_cbranch_scc0 .LBB398_18
.LBB398_13:                             ; =>This Inner Loop Header: Depth=1
	v_add_nc_u32_e32 v6, s9, v13
	s_mov_b32 s0, exec_lo
	s_delay_alu instid0(VALU_DEP_1)
	v_cmpx_gt_i32_e64 s1, v6
	s_cbranch_execz .LBB398_12
; %bb.14:                               ;   in Loop: Header=BB398_13 Depth=1
	v_ashrrev_i32_e32 v7, 31, v6
	s_delay_alu instid0(VALU_DEP_1) | instskip(NEXT) | instid1(VALU_DEP_1)
	v_lshlrev_b64 v[6:7], 2, v[6:7]
	v_add_co_u32 v6, vcc_lo, s4, v6
	s_delay_alu instid0(VALU_DEP_2) | instskip(SKIP_3) | instid1(VALU_DEP_1)
	v_add_co_ci_u32_e32 v7, vcc_lo, s5, v7, vcc_lo
	global_load_b32 v6, v[6:7], off
	s_waitcnt vmcnt(0)
	v_subrev_nc_u32_e32 v14, s10, v6
	v_mad_u64_u32 v[6:7], null, v14, 31, v[3:4]
	s_delay_alu instid0(VALU_DEP_1) | instskip(NEXT) | instid1(VALU_DEP_1)
	v_ashrrev_i32_e32 v7, 31, v6
	v_lshlrev_b64 v[6:7], 3, v[6:7]
	s_delay_alu instid0(VALU_DEP_1) | instskip(NEXT) | instid1(VALU_DEP_2)
	v_add_co_u32 v6, vcc_lo, s12, v6
	v_add_co_ci_u32_e32 v7, vcc_lo, s13, v7, vcc_lo
	global_load_b32 v14, v[4:5], off
	global_load_b64 v[6:7], v[6:7], off
	v_add_co_u32 v4, vcc_lo, 0xf04, v4
	v_add_co_ci_u32_e32 v5, vcc_lo, 0, v5, vcc_lo
	s_waitcnt vmcnt(0)
	v_fmac_f32_e32 v1, v14, v6
	s_delay_alu instid0(VALU_DEP_1) | instskip(NEXT) | instid1(VALU_DEP_1)
	v_dual_fmac_f32 v2, 0, v6 :: v_dual_fmac_f32 v1, 0x80000000, v7
	v_fmac_f32_e32 v2, v14, v7
	s_branch .LBB398_12
.LBB398_15:
	v_dual_mov_b32 v1, s4 :: v_dual_mov_b32 v2, s5
	flat_load_b32 v10, v[1:2]
	v_cndmask_b32_e64 v1, 0, 1, s6
	v_mov_b32_e32 v11, s5
	s_and_not1_b32 vcc_lo, exec_lo, s6
	s_cbranch_vccnz .LBB398_2
.LBB398_16:
	v_dual_mov_b32 v2, s4 :: v_dual_mov_b32 v3, s5
	flat_load_b32 v11, v[2:3] offset:4
	v_cmp_ne_u32_e32 vcc_lo, 1, v1
	v_mov_b32_e32 v8, s2
	s_cbranch_vccnz .LBB398_3
.LBB398_17:
	v_dual_mov_b32 v2, s2 :: v_dual_mov_b32 v3, s3
	flat_load_b32 v8, v[2:3]
	v_cmp_ne_u32_e32 vcc_lo, 1, v1
	v_mov_b32_e32 v9, s3
	s_cbranch_vccz .LBB398_4
	s_branch .LBB398_5
.LBB398_18:
	s_set_inst_prefetch_distance 0x2
	v_lshlrev_b32_e32 v3, 3, v0
	s_and_b32 vcc_lo, exec_lo, s11
	ds_store_b64 v3, v[1:2]
	s_waitcnt lgkmcnt(0)
	s_barrier
	buffer_gl0_inv
	s_cbranch_vccz .LBB398_30
; %bb.19:
	s_mov_b32 s0, exec_lo
	v_cmpx_gt_u16_e32 15, v12
	s_cbranch_execz .LBB398_21
; %bb.20:
	ds_load_2addr_b64 v[4:7], v3 offset1:16
	s_waitcnt lgkmcnt(0)
	v_dual_add_f32 v4, v6, v4 :: v_dual_add_f32 v5, v7, v5
	ds_store_b64 v3, v[4:5]
.LBB398_21:
	s_or_b32 exec_lo, exec_lo, s0
	s_delay_alu instid0(SALU_CYCLE_1)
	s_mov_b32 s0, exec_lo
	s_waitcnt lgkmcnt(0)
	s_barrier
	buffer_gl0_inv
	v_cmpx_gt_u16_e32 8, v12
	s_cbranch_execz .LBB398_23
; %bb.22:
	ds_load_2addr_b64 v[4:7], v3 offset1:8
	s_waitcnt lgkmcnt(0)
	v_dual_add_f32 v4, v6, v4 :: v_dual_add_f32 v5, v7, v5
	ds_store_b64 v3, v[4:5]
.LBB398_23:
	s_or_b32 exec_lo, exec_lo, s0
	s_delay_alu instid0(SALU_CYCLE_1)
	s_mov_b32 s0, exec_lo
	s_waitcnt lgkmcnt(0)
	s_barrier
	buffer_gl0_inv
	;; [unrolled: 14-line block ×3, first 2 shown]
	v_cmpx_gt_u16_e32 2, v12
	s_cbranch_execz .LBB398_27
; %bb.26:
	ds_load_2addr_b64 v[4:7], v3 offset1:2
	s_waitcnt lgkmcnt(0)
	v_dual_add_f32 v4, v6, v4 :: v_dual_add_f32 v5, v7, v5
	ds_store_b64 v3, v[4:5]
.LBB398_27:
	s_or_b32 exec_lo, exec_lo, s0
	s_mov_b32 s1, 0
	s_mov_b32 s0, 0
	s_mov_b32 s4, exec_lo
	s_waitcnt lgkmcnt(0)
	s_barrier
	buffer_gl0_inv
                                        ; implicit-def: $vgpr5
                                        ; implicit-def: $vgpr4
	v_cmpx_gt_u32_e32 31, v0
	s_xor_b32 s4, exec_lo, s4
; %bb.28:
	v_mul_u32_u24_e32 v4, 31, v0
	s_mov_b32 s0, exec_lo
	s_delay_alu instid0(VALU_DEP_1)
	v_lshlrev_b32_e32 v5, 3, v4
	v_mad_u32_u24 v4, v0, 31, 1
; %bb.29:
	s_or_b32 exec_lo, exec_lo, s4
	s_delay_alu instid0(SALU_CYCLE_1)
	s_and_b32 vcc_lo, exec_lo, s1
	s_cbranch_vccnz .LBB398_31
	s_branch .LBB398_42
.LBB398_30:
	s_mov_b32 s0, 0
                                        ; implicit-def: $vgpr5
                                        ; implicit-def: $vgpr4
	s_cbranch_execz .LBB398_42
.LBB398_31:
	s_mov_b32 s1, exec_lo
	v_cmpx_gt_u32_e32 0x1d1, v0
	s_cbranch_execz .LBB398_33
; %bb.32:
	ds_load_b64 v[4:5], v3 offset:3968
	ds_load_b64 v[6:7], v3
	s_waitcnt lgkmcnt(0)
	v_dual_add_f32 v4, v4, v6 :: v_dual_add_f32 v5, v5, v7
	ds_store_b64 v3, v[4:5]
.LBB398_33:
	s_or_b32 exec_lo, exec_lo, s1
	s_delay_alu instid0(SALU_CYCLE_1)
	s_mov_b32 s1, exec_lo
	s_waitcnt lgkmcnt(0)
	s_barrier
	buffer_gl0_inv
	v_cmpx_gt_u32_e32 0xf8, v0
	s_cbranch_execz .LBB398_35
; %bb.34:
	ds_load_2addr_b64 v[4:7], v3 offset1:248
	s_waitcnt lgkmcnt(0)
	v_dual_add_f32 v4, v6, v4 :: v_dual_add_f32 v5, v7, v5
	ds_store_b64 v3, v[4:5]
.LBB398_35:
	s_or_b32 exec_lo, exec_lo, s1
	s_delay_alu instid0(SALU_CYCLE_1)
	s_mov_b32 s1, exec_lo
	s_waitcnt lgkmcnt(0)
	s_barrier
	buffer_gl0_inv
	v_cmpx_gt_u32_e32 0x7c, v0
	s_cbranch_execz .LBB398_37
; %bb.36:
	ds_load_2addr_b64 v[4:7], v3 offset1:124
	s_waitcnt lgkmcnt(0)
	v_dual_add_f32 v4, v6, v4 :: v_dual_add_f32 v5, v7, v5
	ds_store_b64 v3, v[4:5]
.LBB398_37:
	;; [unrolled: 14-line block ×3, first 2 shown]
	s_or_b32 exec_lo, exec_lo, s1
	s_delay_alu instid0(SALU_CYCLE_1)
	s_mov_b32 s1, exec_lo
	s_waitcnt lgkmcnt(0)
	buffer_gl0_inv
                                        ; implicit-def: $vgpr4
	v_cmpx_gt_u32_e32 31, v0
; %bb.40:
	v_add_nc_u32_e32 v4, 31, v0
	s_or_b32 s0, s0, exec_lo
                                        ; implicit-def: $vgpr2
; %bb.41:
	s_or_b32 exec_lo, exec_lo, s1
	v_mov_b32_e32 v5, v3
.LBB398_42:
	s_and_saveexec_b32 s1, s0
	s_cbranch_execnz .LBB398_45
; %bb.43:
	s_or_b32 exec_lo, exec_lo, s1
	v_cmp_gt_u32_e32 vcc_lo, 31, v0
	s_and_b32 exec_lo, exec_lo, vcc_lo
	s_cbranch_execnz .LBB398_46
.LBB398_44:
	s_nop 0
	s_sendmsg sendmsg(MSG_DEALLOC_VGPRS)
	s_endpgm
.LBB398_45:
	v_lshlrev_b32_e32 v3, 3, v4
	ds_load_2addr_b32 v[1:2], v5 offset1:1
	ds_load_b64 v[3:4], v3
	s_waitcnt lgkmcnt(0)
	v_dual_add_f32 v2, v4, v2 :: v_dual_add_f32 v1, v3, v1
	s_or_b32 exec_lo, exec_lo, s1
	v_cmp_gt_u32_e32 vcc_lo, 31, v0
	s_and_b32 exec_lo, exec_lo, vcc_lo
	s_cbranch_execz .LBB398_44
.LBB398_46:
	v_mul_f32_e64 v3, v2, -v11
	v_mul_f32_e32 v4, v2, v10
	v_cmp_eq_f32_e32 vcc_lo, 0, v8
	v_cmp_eq_f32_e64 s0, 0, v9
	s_delay_alu instid0(VALU_DEP_4) | instskip(NEXT) | instid1(VALU_DEP_4)
	v_fmac_f32_e32 v3, v10, v1
	v_fmac_f32_e32 v4, v11, v1
	s_delay_alu instid0(VALU_DEP_3) | instskip(NEXT) | instid1(SALU_CYCLE_1)
	s_and_b32 s0, vcc_lo, s0
	s_and_saveexec_b32 s1, s0
	s_delay_alu instid0(SALU_CYCLE_1)
	s_xor_b32 s0, exec_lo, s1
	s_cbranch_execz .LBB398_48
; %bb.47:
	v_mad_u64_u32 v[1:2], null, s8, 31, v[0:1]
	v_mov_b32_e32 v2, 0
                                        ; implicit-def: $vgpr8
                                        ; implicit-def: $vgpr9
	s_delay_alu instid0(VALU_DEP_1) | instskip(NEXT) | instid1(VALU_DEP_1)
	v_lshlrev_b64 v[0:1], 3, v[1:2]
	v_add_co_u32 v0, vcc_lo, s2, v0
	s_delay_alu instid0(VALU_DEP_2)
	v_add_co_ci_u32_e32 v1, vcc_lo, s3, v1, vcc_lo
	global_store_b64 v[0:1], v[3:4], off
                                        ; implicit-def: $vgpr0
                                        ; implicit-def: $vgpr3
.LBB398_48:
	s_and_not1_saveexec_b32 s0, s0
	s_cbranch_execz .LBB398_44
; %bb.49:
	v_mad_u64_u32 v[1:2], null, s8, 31, v[0:1]
	v_mov_b32_e32 v2, 0
	s_delay_alu instid0(VALU_DEP_1) | instskip(NEXT) | instid1(VALU_DEP_1)
	v_lshlrev_b64 v[0:1], 3, v[1:2]
	v_add_co_u32 v0, vcc_lo, s2, v0
	s_delay_alu instid0(VALU_DEP_2) | instskip(SKIP_4) | instid1(VALU_DEP_2)
	v_add_co_ci_u32_e32 v1, vcc_lo, s3, v1, vcc_lo
	global_load_b64 v[5:6], v[0:1], off
	s_waitcnt vmcnt(0)
	v_fmac_f32_e32 v3, v8, v5
	v_fmac_f32_e32 v4, v9, v5
	v_fma_f32 v3, -v9, v6, v3
	s_delay_alu instid0(VALU_DEP_2)
	v_fmac_f32_e32 v4, v8, v6
	global_store_b64 v[0:1], v[3:4], off
	s_nop 0
	s_sendmsg sendmsg(MSG_DEALLOC_VGPRS)
	s_endpgm
	.section	.rodata,"a",@progbits
	.p2align	6, 0x0
	.amdhsa_kernel _ZN9rocsparseL20bsrxmvn_17_32_kernelILj31E21rocsparse_complex_numIfEiifS2_S2_EEvT2_20rocsparse_direction_NS_24const_host_device_scalarIT0_EES3_PKS3_PKT1_SC_S9_PKT3_PKT4_S7_PT5_21rocsparse_index_base_b
		.amdhsa_group_segment_fixed_size 7688
		.amdhsa_private_segment_fixed_size 0
		.amdhsa_kernarg_size 96
		.amdhsa_user_sgpr_count 15
		.amdhsa_user_sgpr_dispatch_ptr 0
		.amdhsa_user_sgpr_queue_ptr 0
		.amdhsa_user_sgpr_kernarg_segment_ptr 1
		.amdhsa_user_sgpr_dispatch_id 0
		.amdhsa_user_sgpr_private_segment_size 0
		.amdhsa_wavefront_size32 1
		.amdhsa_uses_dynamic_stack 0
		.amdhsa_enable_private_segment 0
		.amdhsa_system_sgpr_workgroup_id_x 1
		.amdhsa_system_sgpr_workgroup_id_y 0
		.amdhsa_system_sgpr_workgroup_id_z 0
		.amdhsa_system_sgpr_workgroup_info 0
		.amdhsa_system_vgpr_workitem_id 0
		.amdhsa_next_free_vgpr 15
		.amdhsa_next_free_sgpr 16
		.amdhsa_reserve_vcc 1
		.amdhsa_float_round_mode_32 0
		.amdhsa_float_round_mode_16_64 0
		.amdhsa_float_denorm_mode_32 3
		.amdhsa_float_denorm_mode_16_64 3
		.amdhsa_dx10_clamp 1
		.amdhsa_ieee_mode 1
		.amdhsa_fp16_overflow 0
		.amdhsa_workgroup_processor_mode 1
		.amdhsa_memory_ordered 1
		.amdhsa_forward_progress 0
		.amdhsa_shared_vgpr_count 0
		.amdhsa_exception_fp_ieee_invalid_op 0
		.amdhsa_exception_fp_denorm_src 0
		.amdhsa_exception_fp_ieee_div_zero 0
		.amdhsa_exception_fp_ieee_overflow 0
		.amdhsa_exception_fp_ieee_underflow 0
		.amdhsa_exception_fp_ieee_inexact 0
		.amdhsa_exception_int_div_zero 0
	.end_amdhsa_kernel
	.section	.text._ZN9rocsparseL20bsrxmvn_17_32_kernelILj31E21rocsparse_complex_numIfEiifS2_S2_EEvT2_20rocsparse_direction_NS_24const_host_device_scalarIT0_EES3_PKS3_PKT1_SC_S9_PKT3_PKT4_S7_PT5_21rocsparse_index_base_b,"axG",@progbits,_ZN9rocsparseL20bsrxmvn_17_32_kernelILj31E21rocsparse_complex_numIfEiifS2_S2_EEvT2_20rocsparse_direction_NS_24const_host_device_scalarIT0_EES3_PKS3_PKT1_SC_S9_PKT3_PKT4_S7_PT5_21rocsparse_index_base_b,comdat
.Lfunc_end398:
	.size	_ZN9rocsparseL20bsrxmvn_17_32_kernelILj31E21rocsparse_complex_numIfEiifS2_S2_EEvT2_20rocsparse_direction_NS_24const_host_device_scalarIT0_EES3_PKS3_PKT1_SC_S9_PKT3_PKT4_S7_PT5_21rocsparse_index_base_b, .Lfunc_end398-_ZN9rocsparseL20bsrxmvn_17_32_kernelILj31E21rocsparse_complex_numIfEiifS2_S2_EEvT2_20rocsparse_direction_NS_24const_host_device_scalarIT0_EES3_PKS3_PKT1_SC_S9_PKT3_PKT4_S7_PT5_21rocsparse_index_base_b
                                        ; -- End function
	.section	.AMDGPU.csdata,"",@progbits
; Kernel info:
; codeLenInByte = 1836
; NumSgprs: 18
; NumVgprs: 15
; ScratchSize: 0
; MemoryBound: 0
; FloatMode: 240
; IeeeMode: 1
; LDSByteSize: 7688 bytes/workgroup (compile time only)
; SGPRBlocks: 2
; VGPRBlocks: 1
; NumSGPRsForWavesPerEU: 18
; NumVGPRsForWavesPerEU: 15
; Occupancy: 16
; WaveLimiterHint : 1
; COMPUTE_PGM_RSRC2:SCRATCH_EN: 0
; COMPUTE_PGM_RSRC2:USER_SGPR: 15
; COMPUTE_PGM_RSRC2:TRAP_HANDLER: 0
; COMPUTE_PGM_RSRC2:TGID_X_EN: 1
; COMPUTE_PGM_RSRC2:TGID_Y_EN: 0
; COMPUTE_PGM_RSRC2:TGID_Z_EN: 0
; COMPUTE_PGM_RSRC2:TIDIG_COMP_CNT: 0
	.section	.text._ZN9rocsparseL20bsrxmvn_17_32_kernelILj32E21rocsparse_complex_numIfEiifS2_S2_EEvT2_20rocsparse_direction_NS_24const_host_device_scalarIT0_EES3_PKS3_PKT1_SC_S9_PKT3_PKT4_S7_PT5_21rocsparse_index_base_b,"axG",@progbits,_ZN9rocsparseL20bsrxmvn_17_32_kernelILj32E21rocsparse_complex_numIfEiifS2_S2_EEvT2_20rocsparse_direction_NS_24const_host_device_scalarIT0_EES3_PKS3_PKT1_SC_S9_PKT3_PKT4_S7_PT5_21rocsparse_index_base_b,comdat
	.globl	_ZN9rocsparseL20bsrxmvn_17_32_kernelILj32E21rocsparse_complex_numIfEiifS2_S2_EEvT2_20rocsparse_direction_NS_24const_host_device_scalarIT0_EES3_PKS3_PKT1_SC_S9_PKT3_PKT4_S7_PT5_21rocsparse_index_base_b ; -- Begin function _ZN9rocsparseL20bsrxmvn_17_32_kernelILj32E21rocsparse_complex_numIfEiifS2_S2_EEvT2_20rocsparse_direction_NS_24const_host_device_scalarIT0_EES3_PKS3_PKT1_SC_S9_PKT3_PKT4_S7_PT5_21rocsparse_index_base_b
	.p2align	8
	.type	_ZN9rocsparseL20bsrxmvn_17_32_kernelILj32E21rocsparse_complex_numIfEiifS2_S2_EEvT2_20rocsparse_direction_NS_24const_host_device_scalarIT0_EES3_PKS3_PKT1_SC_S9_PKT3_PKT4_S7_PT5_21rocsparse_index_base_b,@function
_ZN9rocsparseL20bsrxmvn_17_32_kernelILj32E21rocsparse_complex_numIfEiifS2_S2_EEvT2_20rocsparse_direction_NS_24const_host_device_scalarIT0_EES3_PKS3_PKT1_SC_S9_PKT3_PKT4_S7_PT5_21rocsparse_index_base_b: ; @_ZN9rocsparseL20bsrxmvn_17_32_kernelILj32E21rocsparse_complex_numIfEiifS2_S2_EEvT2_20rocsparse_direction_NS_24const_host_device_scalarIT0_EES3_PKS3_PKT1_SC_S9_PKT3_PKT4_S7_PT5_21rocsparse_index_base_b
; %bb.0:
	s_clause 0x2
	s_load_b64 s[10:11], s[0:1], 0x58
	s_load_b64 s[4:5], s[0:1], 0x8
	s_load_b64 s[2:3], s[0:1], 0x48
	s_mov_b32 s8, s15
	s_waitcnt lgkmcnt(0)
	s_bitcmp1_b32 s11, 0
	v_mov_b32_e32 v7, s4
	s_cselect_b32 s6, -1, 0
	s_delay_alu instid0(SALU_CYCLE_1)
	s_and_b32 vcc_lo, exec_lo, s6
	s_xor_b32 s6, s6, -1
	s_cbranch_vccz .LBB399_25
; %bb.1:
	v_cndmask_b32_e64 v1, 0, 1, s6
	v_mov_b32_e32 v8, s5
	s_and_not1_b32 vcc_lo, exec_lo, s6
	s_cbranch_vccz .LBB399_26
.LBB399_2:
	s_delay_alu instid0(VALU_DEP_2)
	v_cmp_ne_u32_e32 vcc_lo, 1, v1
	v_mov_b32_e32 v5, s2
	s_cbranch_vccz .LBB399_27
.LBB399_3:
	v_cmp_ne_u32_e32 vcc_lo, 1, v1
	v_mov_b32_e32 v6, s3
	s_cbranch_vccnz .LBB399_5
.LBB399_4:
	v_dual_mov_b32 v1, s2 :: v_dual_mov_b32 v2, s3
	flat_load_b32 v6, v[1:2] offset:4
.LBB399_5:
	s_waitcnt vmcnt(0) lgkmcnt(0)
	v_cmp_eq_f32_e32 vcc_lo, 0, v7
	v_cmp_eq_f32_e64 s2, 0, v8
	s_delay_alu instid0(VALU_DEP_1)
	s_and_b32 s4, vcc_lo, s2
	s_mov_b32 s2, -1
	s_and_saveexec_b32 s3, s4
; %bb.6:
	v_cmp_neq_f32_e32 vcc_lo, 1.0, v5
	v_cmp_neq_f32_e64 s2, 0, v6
	s_delay_alu instid0(VALU_DEP_1) | instskip(NEXT) | instid1(SALU_CYCLE_1)
	s_or_b32 s2, vcc_lo, s2
	s_or_not1_b32 s2, s2, exec_lo
; %bb.7:
	s_or_b32 exec_lo, exec_lo, s3
	s_and_saveexec_b32 s3, s2
	s_cbranch_execz .LBB399_42
; %bb.8:
	s_clause 0x1
	s_load_b128 s[4:7], s[0:1], 0x18
	s_load_b64 s[2:3], s[0:1], 0x28
	s_waitcnt lgkmcnt(0)
	s_cmp_eq_u64 s[4:5], 0
	s_cbranch_scc1 .LBB399_10
; %bb.9:
	s_ashr_i32 s9, s8, 31
	s_delay_alu instid0(SALU_CYCLE_1) | instskip(NEXT) | instid1(SALU_CYCLE_1)
	s_lshl_b64 s[8:9], s[8:9], 2
	s_add_u32 s4, s4, s8
	s_addc_u32 s5, s5, s9
	s_load_b32 s4, s[4:5], 0x0
	s_waitcnt lgkmcnt(0)
	s_sub_i32 s8, s4, s10
.LBB399_10:
	s_load_b32 s4, s[0:1], 0x4
	v_dual_mov_b32 v2, 0 :: v_dual_and_b32 v9, 31, v0
	v_mov_b32_e32 v1, 0
	s_waitcnt lgkmcnt(0)
	s_cmp_eq_u32 s4, 1
	s_cselect_b32 vcc_lo, -1, 0
	s_cmp_lg_u32 s4, 1
	s_cselect_b32 s11, -1, 0
	s_ashr_i32 s9, s8, 31
	s_delay_alu instid0(SALU_CYCLE_1) | instskip(NEXT) | instid1(SALU_CYCLE_1)
	s_lshl_b64 s[4:5], s[8:9], 2
	s_add_u32 s6, s6, s4
	s_addc_u32 s7, s7, s5
	s_add_u32 s9, s6, 4
	s_addc_u32 s12, s7, 0
	;; [unrolled: 2-line block ×3, first 2 shown]
	s_cmp_eq_u64 s[2:3], 0
	s_cselect_b32 s3, s12, s5
	s_cselect_b32 s2, s9, s4
	s_load_b32 s4, s[6:7], 0x0
	s_load_b32 s6, s[2:3], 0x0
	s_load_b64 s[2:3], s[0:1], 0x50
	s_waitcnt lgkmcnt(0)
	s_cmp_ge_i32 s4, s6
	s_cbranch_scc1 .LBB399_13
; %bb.11:
	s_clause 0x1
	s_load_b128 s[12:15], s[0:1], 0x30
	s_load_b64 s[0:1], s[0:1], 0x40
	s_sub_i32 s4, s4, s10
	v_lshrrev_b32_e32 v1, 5, v0
	s_ashr_i32 s5, s4, 31
	v_mov_b32_e32 v2, 0
	s_lshl_b64 s[16:17], s[4:5], 12
	s_lshl_b64 s[18:19], s[4:5], 2
	v_lshl_or_b32 v3, v0, 2, s16
	v_mov_b32_e32 v4, s17
	v_dual_cndmask_b32 v10, v9, v1 :: v_dual_mov_b32 v1, v2
	s_sub_i32 s5, s6, s10
	s_waitcnt lgkmcnt(0)
	v_add_co_u32 v3, vcc_lo, s14, v3
	v_add_co_ci_u32_e32 v4, vcc_lo, s15, v4, vcc_lo
	s_add_u32 s6, s12, s18
	s_addc_u32 s7, s13, s19
	.p2align	6
.LBB399_12:                             ; =>This Inner Loop Header: Depth=1
	s_load_b32 s9, s[6:7], 0x0
	s_add_i32 s4, s4, 1
	s_waitcnt lgkmcnt(0)
	s_sub_i32 s9, s9, s10
	s_add_u32 s6, s6, 4
	v_lshl_or_b32 v11, s9, 5, v10
	s_addc_u32 s7, s7, 0
	s_cmp_lt_i32 s4, s5
	s_delay_alu instid0(VALU_DEP_1) | instskip(NEXT) | instid1(VALU_DEP_1)
	v_ashrrev_i32_e32 v12, 31, v11
	v_lshlrev_b64 v[11:12], 3, v[11:12]
	s_delay_alu instid0(VALU_DEP_1) | instskip(NEXT) | instid1(VALU_DEP_2)
	v_add_co_u32 v11, vcc_lo, s0, v11
	v_add_co_ci_u32_e32 v12, vcc_lo, s1, v12, vcc_lo
	global_load_b32 v13, v[3:4], off
	global_load_b64 v[11:12], v[11:12], off
	v_add_co_u32 v3, vcc_lo, 0x1000, v3
	v_add_co_ci_u32_e32 v4, vcc_lo, 0, v4, vcc_lo
	s_waitcnt vmcnt(0)
	v_fmac_f32_e32 v1, v13, v11
	s_delay_alu instid0(VALU_DEP_1) | instskip(NEXT) | instid1(VALU_DEP_1)
	v_dual_fmac_f32 v2, 0, v11 :: v_dual_fmac_f32 v1, 0x80000000, v12
	v_fmac_f32_e32 v2, v13, v12
	s_cbranch_scc1 .LBB399_12
.LBB399_13:
	v_lshlrev_b32_e32 v3, 3, v0
	s_and_b32 vcc_lo, exec_lo, s11
	ds_store_b64 v3, v[1:2]
	s_waitcnt lgkmcnt(0)
	s_barrier
	buffer_gl0_inv
	s_cbranch_vccz .LBB399_28
; %bb.14:
	s_mov_b32 s0, exec_lo
	v_cmpx_gt_u32_e32 16, v9
	s_cbranch_execz .LBB399_16
; %bb.15:
	ds_load_2addr_b64 v[10:13], v3 offset1:16
	s_waitcnt lgkmcnt(0)
	v_dual_add_f32 v10, v12, v10 :: v_dual_add_f32 v11, v13, v11
	ds_store_b64 v3, v[10:11]
.LBB399_16:
	s_or_b32 exec_lo, exec_lo, s0
	s_delay_alu instid0(SALU_CYCLE_1)
	s_mov_b32 s0, exec_lo
	s_waitcnt lgkmcnt(0)
	s_barrier
	buffer_gl0_inv
	v_cmpx_gt_u32_e32 8, v9
	s_cbranch_execz .LBB399_18
; %bb.17:
	ds_load_2addr_b64 v[10:13], v3 offset1:8
	s_waitcnt lgkmcnt(0)
	v_dual_add_f32 v10, v12, v10 :: v_dual_add_f32 v11, v13, v11
	ds_store_b64 v3, v[10:11]
.LBB399_18:
	s_or_b32 exec_lo, exec_lo, s0
	s_delay_alu instid0(SALU_CYCLE_1)
	s_mov_b32 s0, exec_lo
	s_waitcnt lgkmcnt(0)
	s_barrier
	buffer_gl0_inv
	;; [unrolled: 14-line block ×3, first 2 shown]
	v_cmpx_gt_u32_e32 2, v9
	s_cbranch_execz .LBB399_22
; %bb.21:
	ds_load_2addr_b64 v[9:12], v3 offset1:2
	s_waitcnt lgkmcnt(0)
	v_dual_add_f32 v9, v11, v9 :: v_dual_add_f32 v10, v12, v10
	ds_store_b64 v3, v[9:10]
.LBB399_22:
	s_or_b32 exec_lo, exec_lo, s0
	s_mov_b32 s1, 0
	s_mov_b32 s0, 0
	s_mov_b32 s4, exec_lo
	s_waitcnt lgkmcnt(0)
	s_barrier
	buffer_gl0_inv
                                        ; implicit-def: $vgpr9
                                        ; implicit-def: $vgpr4
	v_cmpx_gt_u32_e32 32, v0
	s_xor_b32 s4, exec_lo, s4
; %bb.23:
	v_mad_u32_u24 v9, 0xf8, v0, v3
	v_lshl_or_b32 v4, v0, 5, 1
	s_mov_b32 s0, exec_lo
; %bb.24:
	s_or_b32 exec_lo, exec_lo, s4
	s_delay_alu instid0(SALU_CYCLE_1)
	s_and_b32 vcc_lo, exec_lo, s1
	s_cbranch_vccnz .LBB399_29
	s_branch .LBB399_40
.LBB399_25:
	v_dual_mov_b32 v1, s4 :: v_dual_mov_b32 v2, s5
	flat_load_b32 v7, v[1:2]
	v_cndmask_b32_e64 v1, 0, 1, s6
	v_mov_b32_e32 v8, s5
	s_and_not1_b32 vcc_lo, exec_lo, s6
	s_cbranch_vccnz .LBB399_2
.LBB399_26:
	v_dual_mov_b32 v2, s4 :: v_dual_mov_b32 v3, s5
	flat_load_b32 v8, v[2:3] offset:4
	v_cmp_ne_u32_e32 vcc_lo, 1, v1
	v_mov_b32_e32 v5, s2
	s_cbranch_vccnz .LBB399_3
.LBB399_27:
	v_dual_mov_b32 v2, s2 :: v_dual_mov_b32 v3, s3
	flat_load_b32 v5, v[2:3]
	v_cmp_ne_u32_e32 vcc_lo, 1, v1
	v_mov_b32_e32 v6, s3
	s_cbranch_vccz .LBB399_4
	s_branch .LBB399_5
.LBB399_28:
	s_mov_b32 s0, 0
                                        ; implicit-def: $vgpr9
                                        ; implicit-def: $vgpr4
	s_cbranch_execz .LBB399_40
.LBB399_29:
	s_mov_b32 s1, exec_lo
	v_cmpx_gt_u32_e32 0x200, v0
	s_cbranch_execz .LBB399_31
; %bb.30:
	ds_load_2addr_stride64_b64 v[9:12], v3 offset1:8
	s_waitcnt lgkmcnt(0)
	v_dual_add_f32 v9, v11, v9 :: v_dual_add_f32 v10, v12, v10
	ds_store_b64 v3, v[9:10]
.LBB399_31:
	s_or_b32 exec_lo, exec_lo, s1
	s_delay_alu instid0(SALU_CYCLE_1)
	s_mov_b32 s1, exec_lo
	s_waitcnt lgkmcnt(0)
	s_barrier
	buffer_gl0_inv
	v_cmpx_gt_u32_e32 0x100, v0
	s_cbranch_execz .LBB399_33
; %bb.32:
	ds_load_2addr_stride64_b64 v[9:12], v3 offset1:4
	s_waitcnt lgkmcnt(0)
	v_dual_add_f32 v9, v11, v9 :: v_dual_add_f32 v10, v12, v10
	ds_store_b64 v3, v[9:10]
.LBB399_33:
	s_or_b32 exec_lo, exec_lo, s1
	s_delay_alu instid0(SALU_CYCLE_1)
	s_mov_b32 s1, exec_lo
	s_waitcnt lgkmcnt(0)
	s_barrier
	buffer_gl0_inv
	;; [unrolled: 14-line block ×3, first 2 shown]
	v_cmpx_gt_u32_e32 64, v0
	s_cbranch_execz .LBB399_37
; %bb.36:
	ds_load_2addr_stride64_b64 v[9:12], v3 offset1:1
	s_waitcnt lgkmcnt(0)
	v_dual_add_f32 v9, v11, v9 :: v_dual_add_f32 v10, v12, v10
	ds_store_b64 v3, v[9:10]
.LBB399_37:
	s_or_b32 exec_lo, exec_lo, s1
	s_delay_alu instid0(SALU_CYCLE_1)
	s_mov_b32 s1, exec_lo
	s_waitcnt lgkmcnt(0)
	buffer_gl0_inv
                                        ; implicit-def: $vgpr4
	v_cmpx_gt_u32_e32 32, v0
; %bb.38:
	v_or_b32_e32 v4, 32, v0
	s_or_b32 s0, s0, exec_lo
                                        ; implicit-def: $vgpr2
; %bb.39:
	s_or_b32 exec_lo, exec_lo, s1
	v_mov_b32_e32 v9, v3
.LBB399_40:
	s_and_saveexec_b32 s1, s0
	s_cbranch_execnz .LBB399_43
; %bb.41:
	s_or_b32 exec_lo, exec_lo, s1
	v_cmp_gt_u32_e32 vcc_lo, 32, v0
	s_and_b32 exec_lo, exec_lo, vcc_lo
	s_cbranch_execnz .LBB399_44
.LBB399_42:
	s_nop 0
	s_sendmsg sendmsg(MSG_DEALLOC_VGPRS)
	s_endpgm
.LBB399_43:
	v_lshlrev_b32_e32 v3, 3, v4
	ds_load_2addr_b32 v[1:2], v9 offset1:1
	ds_load_b64 v[3:4], v3
	s_waitcnt lgkmcnt(0)
	v_dual_add_f32 v2, v4, v2 :: v_dual_add_f32 v1, v3, v1
	s_or_b32 exec_lo, exec_lo, s1
	v_cmp_gt_u32_e32 vcc_lo, 32, v0
	s_and_b32 exec_lo, exec_lo, vcc_lo
	s_cbranch_execz .LBB399_42
.LBB399_44:
	v_mul_f32_e64 v3, v2, -v8
	v_mul_f32_e32 v4, v2, v7
	v_cmp_eq_f32_e32 vcc_lo, 0, v5
	v_cmp_eq_f32_e64 s0, 0, v6
	v_lshl_or_b32 v0, s8, 5, v0
	v_fmac_f32_e32 v3, v7, v1
	v_fmac_f32_e32 v4, v8, v1
	s_delay_alu instid0(VALU_DEP_4) | instskip(NEXT) | instid1(SALU_CYCLE_1)
	s_and_b32 s0, vcc_lo, s0
	s_and_saveexec_b32 s1, s0
	s_delay_alu instid0(SALU_CYCLE_1)
	s_xor_b32 s0, exec_lo, s1
	s_cbranch_execz .LBB399_46
; %bb.45:
	v_mov_b32_e32 v1, 0
                                        ; implicit-def: $vgpr5
                                        ; implicit-def: $vgpr6
	s_delay_alu instid0(VALU_DEP_1) | instskip(NEXT) | instid1(VALU_DEP_1)
	v_lshlrev_b64 v[0:1], 3, v[0:1]
	v_add_co_u32 v0, vcc_lo, s2, v0
	s_delay_alu instid0(VALU_DEP_2)
	v_add_co_ci_u32_e32 v1, vcc_lo, s3, v1, vcc_lo
	global_store_b64 v[0:1], v[3:4], off
                                        ; implicit-def: $vgpr0
                                        ; implicit-def: $vgpr3
.LBB399_46:
	s_and_not1_saveexec_b32 s0, s0
	s_cbranch_execz .LBB399_42
; %bb.47:
	v_mov_b32_e32 v1, 0
	s_delay_alu instid0(VALU_DEP_1) | instskip(NEXT) | instid1(VALU_DEP_1)
	v_lshlrev_b64 v[0:1], 3, v[0:1]
	v_add_co_u32 v0, vcc_lo, s2, v0
	s_delay_alu instid0(VALU_DEP_2) | instskip(SKIP_4) | instid1(VALU_DEP_2)
	v_add_co_ci_u32_e32 v1, vcc_lo, s3, v1, vcc_lo
	global_load_b64 v[7:8], v[0:1], off
	s_waitcnt vmcnt(0)
	v_fmac_f32_e32 v4, v6, v7
	v_fmac_f32_e32 v3, v5, v7
	;; [unrolled: 1-line block ×3, first 2 shown]
	s_delay_alu instid0(VALU_DEP_2)
	v_fma_f32 v3, -v6, v8, v3
	global_store_b64 v[0:1], v[3:4], off
	s_nop 0
	s_sendmsg sendmsg(MSG_DEALLOC_VGPRS)
	s_endpgm
	.section	.rodata,"a",@progbits
	.p2align	6, 0x0
	.amdhsa_kernel _ZN9rocsparseL20bsrxmvn_17_32_kernelILj32E21rocsparse_complex_numIfEiifS2_S2_EEvT2_20rocsparse_direction_NS_24const_host_device_scalarIT0_EES3_PKS3_PKT1_SC_S9_PKT3_PKT4_S7_PT5_21rocsparse_index_base_b
		.amdhsa_group_segment_fixed_size 8192
		.amdhsa_private_segment_fixed_size 0
		.amdhsa_kernarg_size 96
		.amdhsa_user_sgpr_count 15
		.amdhsa_user_sgpr_dispatch_ptr 0
		.amdhsa_user_sgpr_queue_ptr 0
		.amdhsa_user_sgpr_kernarg_segment_ptr 1
		.amdhsa_user_sgpr_dispatch_id 0
		.amdhsa_user_sgpr_private_segment_size 0
		.amdhsa_wavefront_size32 1
		.amdhsa_uses_dynamic_stack 0
		.amdhsa_enable_private_segment 0
		.amdhsa_system_sgpr_workgroup_id_x 1
		.amdhsa_system_sgpr_workgroup_id_y 0
		.amdhsa_system_sgpr_workgroup_id_z 0
		.amdhsa_system_sgpr_workgroup_info 0
		.amdhsa_system_vgpr_workitem_id 0
		.amdhsa_next_free_vgpr 14
		.amdhsa_next_free_sgpr 20
		.amdhsa_reserve_vcc 1
		.amdhsa_float_round_mode_32 0
		.amdhsa_float_round_mode_16_64 0
		.amdhsa_float_denorm_mode_32 3
		.amdhsa_float_denorm_mode_16_64 3
		.amdhsa_dx10_clamp 1
		.amdhsa_ieee_mode 1
		.amdhsa_fp16_overflow 0
		.amdhsa_workgroup_processor_mode 1
		.amdhsa_memory_ordered 1
		.amdhsa_forward_progress 0
		.amdhsa_shared_vgpr_count 0
		.amdhsa_exception_fp_ieee_invalid_op 0
		.amdhsa_exception_fp_denorm_src 0
		.amdhsa_exception_fp_ieee_div_zero 0
		.amdhsa_exception_fp_ieee_overflow 0
		.amdhsa_exception_fp_ieee_underflow 0
		.amdhsa_exception_fp_ieee_inexact 0
		.amdhsa_exception_int_div_zero 0
	.end_amdhsa_kernel
	.section	.text._ZN9rocsparseL20bsrxmvn_17_32_kernelILj32E21rocsparse_complex_numIfEiifS2_S2_EEvT2_20rocsparse_direction_NS_24const_host_device_scalarIT0_EES3_PKS3_PKT1_SC_S9_PKT3_PKT4_S7_PT5_21rocsparse_index_base_b,"axG",@progbits,_ZN9rocsparseL20bsrxmvn_17_32_kernelILj32E21rocsparse_complex_numIfEiifS2_S2_EEvT2_20rocsparse_direction_NS_24const_host_device_scalarIT0_EES3_PKS3_PKT1_SC_S9_PKT3_PKT4_S7_PT5_21rocsparse_index_base_b,comdat
.Lfunc_end399:
	.size	_ZN9rocsparseL20bsrxmvn_17_32_kernelILj32E21rocsparse_complex_numIfEiifS2_S2_EEvT2_20rocsparse_direction_NS_24const_host_device_scalarIT0_EES3_PKS3_PKT1_SC_S9_PKT3_PKT4_S7_PT5_21rocsparse_index_base_b, .Lfunc_end399-_ZN9rocsparseL20bsrxmvn_17_32_kernelILj32E21rocsparse_complex_numIfEiifS2_S2_EEvT2_20rocsparse_direction_NS_24const_host_device_scalarIT0_EES3_PKS3_PKT1_SC_S9_PKT3_PKT4_S7_PT5_21rocsparse_index_base_b
                                        ; -- End function
	.section	.AMDGPU.csdata,"",@progbits
; Kernel info:
; codeLenInByte = 1644
; NumSgprs: 22
; NumVgprs: 14
; ScratchSize: 0
; MemoryBound: 0
; FloatMode: 240
; IeeeMode: 1
; LDSByteSize: 8192 bytes/workgroup (compile time only)
; SGPRBlocks: 2
; VGPRBlocks: 1
; NumSGPRsForWavesPerEU: 22
; NumVGPRsForWavesPerEU: 14
; Occupancy: 16
; WaveLimiterHint : 1
; COMPUTE_PGM_RSRC2:SCRATCH_EN: 0
; COMPUTE_PGM_RSRC2:USER_SGPR: 15
; COMPUTE_PGM_RSRC2:TRAP_HANDLER: 0
; COMPUTE_PGM_RSRC2:TGID_X_EN: 1
; COMPUTE_PGM_RSRC2:TGID_Y_EN: 0
; COMPUTE_PGM_RSRC2:TGID_Z_EN: 0
; COMPUTE_PGM_RSRC2:TIDIG_COMP_CNT: 0
	.section	.text._ZN9rocsparseL20bsrxmvn_17_32_kernelILj17E21rocsparse_complex_numIfElifS2_S2_EEvT2_20rocsparse_direction_NS_24const_host_device_scalarIT0_EES3_PKS3_PKT1_SC_S9_PKT3_PKT4_S7_PT5_21rocsparse_index_base_b,"axG",@progbits,_ZN9rocsparseL20bsrxmvn_17_32_kernelILj17E21rocsparse_complex_numIfElifS2_S2_EEvT2_20rocsparse_direction_NS_24const_host_device_scalarIT0_EES3_PKS3_PKT1_SC_S9_PKT3_PKT4_S7_PT5_21rocsparse_index_base_b,comdat
	.globl	_ZN9rocsparseL20bsrxmvn_17_32_kernelILj17E21rocsparse_complex_numIfElifS2_S2_EEvT2_20rocsparse_direction_NS_24const_host_device_scalarIT0_EES3_PKS3_PKT1_SC_S9_PKT3_PKT4_S7_PT5_21rocsparse_index_base_b ; -- Begin function _ZN9rocsparseL20bsrxmvn_17_32_kernelILj17E21rocsparse_complex_numIfElifS2_S2_EEvT2_20rocsparse_direction_NS_24const_host_device_scalarIT0_EES3_PKS3_PKT1_SC_S9_PKT3_PKT4_S7_PT5_21rocsparse_index_base_b
	.p2align	8
	.type	_ZN9rocsparseL20bsrxmvn_17_32_kernelILj17E21rocsparse_complex_numIfElifS2_S2_EEvT2_20rocsparse_direction_NS_24const_host_device_scalarIT0_EES3_PKS3_PKT1_SC_S9_PKT3_PKT4_S7_PT5_21rocsparse_index_base_b,@function
_ZN9rocsparseL20bsrxmvn_17_32_kernelILj17E21rocsparse_complex_numIfElifS2_S2_EEvT2_20rocsparse_direction_NS_24const_host_device_scalarIT0_EES3_PKS3_PKT1_SC_S9_PKT3_PKT4_S7_PT5_21rocsparse_index_base_b: ; @_ZN9rocsparseL20bsrxmvn_17_32_kernelILj17E21rocsparse_complex_numIfElifS2_S2_EEvT2_20rocsparse_direction_NS_24const_host_device_scalarIT0_EES3_PKS3_PKT1_SC_S9_PKT3_PKT4_S7_PT5_21rocsparse_index_base_b
; %bb.0:
	s_clause 0x2
	s_load_b64 s[12:13], s[0:1], 0x58
	s_load_b64 s[4:5], s[0:1], 0x8
	;; [unrolled: 1-line block ×3, first 2 shown]
	s_mov_b32 s8, s15
	s_waitcnt lgkmcnt(0)
	s_bitcmp1_b32 s13, 0
	v_mov_b32_e32 v10, s4
	s_cselect_b32 s6, -1, 0
	s_delay_alu instid0(SALU_CYCLE_1)
	s_and_b32 vcc_lo, exec_lo, s6
	s_xor_b32 s6, s6, -1
	s_cbranch_vccz .LBB400_15
; %bb.1:
	v_cndmask_b32_e64 v1, 0, 1, s6
	v_mov_b32_e32 v11, s5
	s_and_not1_b32 vcc_lo, exec_lo, s6
	s_cbranch_vccz .LBB400_16
.LBB400_2:
	s_delay_alu instid0(VALU_DEP_2)
	v_cmp_ne_u32_e32 vcc_lo, 1, v1
	v_mov_b32_e32 v8, s2
	s_cbranch_vccz .LBB400_17
.LBB400_3:
	v_cmp_ne_u32_e32 vcc_lo, 1, v1
	v_mov_b32_e32 v9, s3
	s_cbranch_vccnz .LBB400_5
.LBB400_4:
	v_dual_mov_b32 v1, s2 :: v_dual_mov_b32 v2, s3
	flat_load_b32 v9, v[1:2] offset:4
.LBB400_5:
	s_waitcnt vmcnt(0) lgkmcnt(0)
	v_cmp_eq_f32_e32 vcc_lo, 0, v10
	v_cmp_eq_f32_e64 s2, 0, v11
	s_delay_alu instid0(VALU_DEP_1)
	s_and_b32 s4, vcc_lo, s2
	s_mov_b32 s2, -1
	s_and_saveexec_b32 s3, s4
; %bb.6:
	v_cmp_neq_f32_e32 vcc_lo, 1.0, v8
	v_cmp_neq_f32_e64 s2, 0, v9
	s_delay_alu instid0(VALU_DEP_1) | instskip(NEXT) | instid1(SALU_CYCLE_1)
	s_or_b32 s2, vcc_lo, s2
	s_or_not1_b32 s2, s2, exec_lo
; %bb.7:
	s_or_b32 exec_lo, exec_lo, s3
	s_and_saveexec_b32 s3, s2
	s_cbranch_execz .LBB400_44
; %bb.8:
	s_clause 0x1
	s_load_b128 s[4:7], s[0:1], 0x18
	s_load_b64 s[10:11], s[0:1], 0x28
	s_waitcnt lgkmcnt(0)
	s_cmp_eq_u64 s[4:5], 0
	s_cbranch_scc1 .LBB400_10
; %bb.9:
	s_ashr_i32 s9, s8, 31
	s_delay_alu instid0(SALU_CYCLE_1) | instskip(NEXT) | instid1(SALU_CYCLE_1)
	s_lshl_b64 s[2:3], s[8:9], 2
	s_add_u32 s2, s4, s2
	s_addc_u32 s3, s5, s3
	s_load_b32 s2, s[2:3], 0x0
	s_waitcnt lgkmcnt(0)
	s_sub_i32 s8, s2, s12
.LBB400_10:
	s_load_b32 s3, s[0:1], 0x4
	v_mul_u32_u24_e32 v1, 0xf10, v0
	v_mov_b32_e32 v2, 0
	s_delay_alu instid0(VALU_DEP_2) | instskip(NEXT) | instid1(VALU_DEP_1)
	v_lshrrev_b32_e32 v3, 16, v1
	v_mul_lo_u16 v1, v3, 17
	s_delay_alu instid0(VALU_DEP_1)
	v_sub_nc_u16 v12, v0, v1
	v_mov_b32_e32 v1, 0
	s_waitcnt lgkmcnt(0)
	s_cmp_eq_u32 s3, 1
	s_cselect_b32 s2, -1, 0
	s_cmp_lg_u32 s3, 1
	s_cselect_b32 s3, -1, 0
	s_ashr_i32 s9, s8, 31
	s_delay_alu instid0(SALU_CYCLE_1) | instskip(NEXT) | instid1(SALU_CYCLE_1)
	s_lshl_b64 s[4:5], s[8:9], 3
	s_add_u32 s6, s6, s4
	s_addc_u32 s7, s7, s5
	s_add_u32 s9, s6, 8
	s_addc_u32 s13, s7, 0
	;; [unrolled: 2-line block ×3, first 2 shown]
	s_cmp_eq_u64 s[10:11], 0
	s_load_b64 s[10:11], s[0:1], 0x50
	s_cselect_b32 s5, s13, s5
	s_cselect_b32 s4, s9, s4
	s_load_b64 s[18:19], s[6:7], 0x0
	s_load_b64 s[14:15], s[4:5], 0x0
	s_waitcnt lgkmcnt(0)
	v_cmp_ge_i64_e64 s4, s[18:19], s[14:15]
	s_delay_alu instid0(VALU_DEP_1)
	s_and_b32 vcc_lo, exec_lo, s4
	s_cbranch_vccnz .LBB400_18
; %bb.11:
	v_mul_lo_u16 v1, v3, 31
	v_and_b32_e32 v2, 0xffff, v0
	s_sub_u32 s14, s14, s12
	s_subb_u32 s15, s15, 0
	s_sub_u32 s16, s18, s12
	v_lshrrev_b16 v1, 9, v1
	v_mul_u32_u24_e32 v2, 0xe3, v2
	s_subb_u32 s17, s19, 0
	s_clause 0x1
	s_load_b128 s[4:7], s[0:1], 0x30
	s_load_b64 s[0:1], s[0:1], 0x40
	s_mul_hi_u32 s9, s16, 0x484
	v_mul_lo_u16 v1, v1, 17
	v_lshrrev_b32_e32 v13, 16, v2
	s_mul_i32 s13, s17, 0x484
	v_and_b32_e32 v4, 0xffff, v12
	s_add_i32 s9, s9, s13
	v_sub_nc_u16 v1, v3, v1
	v_add_co_u32 v2, s13, s18, v13
	s_delay_alu instid0(VALU_DEP_1) | instskip(NEXT) | instid1(VALU_DEP_3)
	v_add_co_ci_u32_e64 v5, null, s19, 0, s13
	v_and_b32_e32 v1, 0xff, v1
	s_mul_i32 s20, s16, 0x484
	s_delay_alu instid0(VALU_DEP_1)
	v_cndmask_b32_e64 v3, v4, v1, s2
	v_sub_co_u32 v4, vcc_lo, v2, s12
	v_mov_b32_e32 v2, 0
	v_subrev_co_ci_u32_e32 v5, vcc_lo, 0, v5, vcc_lo
	v_lshlrev_b32_e32 v1, 2, v0
	s_waitcnt lgkmcnt(0)
	s_add_u32 s2, s6, s20
	s_addc_u32 s6, s7, s9
	v_lshlrev_b64 v[6:7], 2, v[4:5]
	v_add_co_u32 v4, s2, s2, v1
	s_delay_alu instid0(VALU_DEP_1) | instskip(NEXT) | instid1(VALU_DEP_3)
	v_add_co_ci_u32_e64 v5, null, s6, 0, s2
	v_add_co_u32 v6, vcc_lo, s4, v6
	s_delay_alu instid0(VALU_DEP_4)
	v_add_co_ci_u32_e32 v7, vcc_lo, s5, v7, vcc_lo
	v_mov_b32_e32 v1, v2
	s_set_inst_prefetch_distance 0x1
	s_branch .LBB400_13
	.p2align	6
.LBB400_12:                             ;   in Loop: Header=BB400_13 Depth=1
	s_or_b32 exec_lo, exec_lo, s2
	s_add_u32 s16, s16, 1
	s_addc_u32 s17, s17, 0
	v_add_co_u32 v6, vcc_lo, v6, 4
	v_cmp_lt_i64_e64 s2, s[16:17], s[14:15]
	v_add_co_ci_u32_e32 v7, vcc_lo, 0, v7, vcc_lo
	s_delay_alu instid0(VALU_DEP_2)
	s_and_b32 vcc_lo, exec_lo, s2
	s_cbranch_vccz .LBB400_18
.LBB400_13:                             ; =>This Inner Loop Header: Depth=1
	v_add_co_u32 v14, s2, v13, s16
	s_delay_alu instid0(VALU_DEP_1) | instskip(SKIP_1) | instid1(VALU_DEP_1)
	v_add_co_ci_u32_e64 v15, null, 0, s17, s2
	s_mov_b32 s2, exec_lo
	v_cmpx_gt_i64_e64 s[14:15], v[14:15]
	s_cbranch_execz .LBB400_12
; %bb.14:                               ;   in Loop: Header=BB400_13 Depth=1
	global_load_b32 v14, v[6:7], off
	s_waitcnt vmcnt(0)
	v_subrev_nc_u32_e32 v16, s12, v14
	s_delay_alu instid0(VALU_DEP_1) | instskip(NEXT) | instid1(VALU_DEP_1)
	v_mad_u64_u32 v[14:15], null, v16, 17, v[3:4]
	v_ashrrev_i32_e32 v15, 31, v14
	s_delay_alu instid0(VALU_DEP_1) | instskip(NEXT) | instid1(VALU_DEP_1)
	v_lshlrev_b64 v[14:15], 3, v[14:15]
	v_add_co_u32 v14, vcc_lo, s0, v14
	s_delay_alu instid0(VALU_DEP_2)
	v_add_co_ci_u32_e32 v15, vcc_lo, s1, v15, vcc_lo
	global_load_b32 v16, v[4:5], off
	global_load_b64 v[14:15], v[14:15], off
	v_add_co_u32 v4, vcc_lo, 0x484, v4
	v_add_co_ci_u32_e32 v5, vcc_lo, 0, v5, vcc_lo
	s_waitcnt vmcnt(0)
	v_fmac_f32_e32 v1, v16, v14
	s_delay_alu instid0(VALU_DEP_1) | instskip(NEXT) | instid1(VALU_DEP_1)
	v_dual_fmac_f32 v2, 0, v14 :: v_dual_fmac_f32 v1, 0x80000000, v15
	v_fmac_f32_e32 v2, v16, v15
	s_branch .LBB400_12
.LBB400_15:
	v_dual_mov_b32 v1, s4 :: v_dual_mov_b32 v2, s5
	flat_load_b32 v10, v[1:2]
	v_cndmask_b32_e64 v1, 0, 1, s6
	v_mov_b32_e32 v11, s5
	s_and_not1_b32 vcc_lo, exec_lo, s6
	s_cbranch_vccnz .LBB400_2
.LBB400_16:
	v_dual_mov_b32 v2, s4 :: v_dual_mov_b32 v3, s5
	flat_load_b32 v11, v[2:3] offset:4
	v_cmp_ne_u32_e32 vcc_lo, 1, v1
	v_mov_b32_e32 v8, s2
	s_cbranch_vccnz .LBB400_3
.LBB400_17:
	v_dual_mov_b32 v2, s2 :: v_dual_mov_b32 v3, s3
	flat_load_b32 v8, v[2:3]
	v_cmp_ne_u32_e32 vcc_lo, 1, v1
	v_mov_b32_e32 v9, s3
	s_cbranch_vccz .LBB400_4
	s_branch .LBB400_5
.LBB400_18:
	s_set_inst_prefetch_distance 0x2
	v_lshlrev_b32_e32 v3, 3, v0
	s_and_b32 vcc_lo, exec_lo, s3
	ds_store_b64 v3, v[1:2]
	s_waitcnt lgkmcnt(0)
	s_barrier
	buffer_gl0_inv
	s_cbranch_vccz .LBB400_30
; %bb.19:
	s_mov_b32 s0, exec_lo
	v_cmpx_eq_u16_e32 0, v12
	s_cbranch_execz .LBB400_21
; %bb.20:
	ds_load_2addr_b64 v[4:7], v3 offset1:16
	s_waitcnt lgkmcnt(0)
	v_dual_add_f32 v4, v6, v4 :: v_dual_add_f32 v5, v7, v5
	ds_store_b64 v3, v[4:5]
.LBB400_21:
	s_or_b32 exec_lo, exec_lo, s0
	s_delay_alu instid0(SALU_CYCLE_1)
	s_mov_b32 s0, exec_lo
	s_waitcnt lgkmcnt(0)
	s_barrier
	buffer_gl0_inv
	v_cmpx_gt_u16_e32 8, v12
	s_cbranch_execz .LBB400_23
; %bb.22:
	ds_load_2addr_b64 v[4:7], v3 offset1:8
	s_waitcnt lgkmcnt(0)
	v_dual_add_f32 v4, v6, v4 :: v_dual_add_f32 v5, v7, v5
	ds_store_b64 v3, v[4:5]
.LBB400_23:
	s_or_b32 exec_lo, exec_lo, s0
	s_delay_alu instid0(SALU_CYCLE_1)
	s_mov_b32 s0, exec_lo
	s_waitcnt lgkmcnt(0)
	s_barrier
	buffer_gl0_inv
	v_cmpx_gt_u16_e32 4, v12
	;; [unrolled: 14-line block ×3, first 2 shown]
	s_cbranch_execz .LBB400_27
; %bb.26:
	ds_load_2addr_b64 v[4:7], v3 offset1:2
	s_waitcnt lgkmcnt(0)
	v_dual_add_f32 v4, v6, v4 :: v_dual_add_f32 v5, v7, v5
	ds_store_b64 v3, v[4:5]
.LBB400_27:
	s_or_b32 exec_lo, exec_lo, s0
	s_mov_b32 s0, 0
	s_mov_b32 s1, 0
	s_mov_b32 s2, exec_lo
	s_waitcnt lgkmcnt(0)
	s_barrier
	buffer_gl0_inv
                                        ; implicit-def: $vgpr5
                                        ; implicit-def: $vgpr4
	v_cmpx_gt_u32_e32 17, v0
	s_xor_b32 s2, exec_lo, s2
; %bb.28:
	v_mul_u32_u24_e32 v4, 17, v0
	s_mov_b32 s1, exec_lo
	s_delay_alu instid0(VALU_DEP_1)
	v_lshlrev_b32_e32 v5, 3, v4
	v_mad_u32_u24 v4, v0, 17, 1
; %bb.29:
	s_or_b32 exec_lo, exec_lo, s2
	s_delay_alu instid0(SALU_CYCLE_1)
	s_and_b32 vcc_lo, exec_lo, s0
	v_cmp_gt_u32_e64 s0, 17, v0
	s_cbranch_vccnz .LBB400_31
	s_branch .LBB400_42
.LBB400_30:
	s_mov_b32 s1, 0
                                        ; implicit-def: $vgpr5
                                        ; implicit-def: $vgpr4
	v_cmp_gt_u32_e64 s0, 17, v0
	s_cbranch_execz .LBB400_42
.LBB400_31:
	s_delay_alu instid0(VALU_DEP_1)
	s_and_saveexec_b32 s2, s0
	s_cbranch_execz .LBB400_33
; %bb.32:
	ds_load_b64 v[4:5], v3 offset:2176
	ds_load_b64 v[6:7], v3
	s_waitcnt lgkmcnt(0)
	v_dual_add_f32 v4, v4, v6 :: v_dual_add_f32 v5, v5, v7
	ds_store_b64 v3, v[4:5]
.LBB400_33:
	s_or_b32 exec_lo, exec_lo, s2
	s_delay_alu instid0(SALU_CYCLE_1)
	s_mov_b32 s2, exec_lo
	s_waitcnt lgkmcnt(0)
	s_barrier
	buffer_gl0_inv
	v_cmpx_gt_u32_e32 0x88, v0
	s_cbranch_execz .LBB400_35
; %bb.34:
	ds_load_2addr_b64 v[4:7], v3 offset1:136
	s_waitcnt lgkmcnt(0)
	v_dual_add_f32 v4, v6, v4 :: v_dual_add_f32 v5, v7, v5
	ds_store_b64 v3, v[4:5]
.LBB400_35:
	s_or_b32 exec_lo, exec_lo, s2
	s_delay_alu instid0(SALU_CYCLE_1)
	s_mov_b32 s2, exec_lo
	s_waitcnt lgkmcnt(0)
	s_barrier
	buffer_gl0_inv
	v_cmpx_gt_u32_e32 0x44, v0
	s_cbranch_execz .LBB400_37
; %bb.36:
	ds_load_2addr_b64 v[4:7], v3 offset1:68
	s_waitcnt lgkmcnt(0)
	v_dual_add_f32 v4, v6, v4 :: v_dual_add_f32 v5, v7, v5
	ds_store_b64 v3, v[4:5]
.LBB400_37:
	;; [unrolled: 14-line block ×3, first 2 shown]
	s_or_b32 exec_lo, exec_lo, s2
	s_waitcnt lgkmcnt(0)
	buffer_gl0_inv
                                        ; implicit-def: $vgpr4
	s_and_saveexec_b32 s2, s0
; %bb.40:
	v_add_nc_u32_e32 v4, 17, v0
	s_or_b32 s1, s1, exec_lo
                                        ; implicit-def: $vgpr2
; %bb.41:
	s_or_b32 exec_lo, exec_lo, s2
	v_mov_b32_e32 v5, v3
.LBB400_42:
	s_and_saveexec_b32 s0, s1
	s_cbranch_execnz .LBB400_45
; %bb.43:
	s_or_b32 exec_lo, exec_lo, s0
	v_cmp_gt_u32_e32 vcc_lo, 17, v0
	s_and_b32 exec_lo, exec_lo, vcc_lo
	s_cbranch_execnz .LBB400_46
.LBB400_44:
	s_nop 0
	s_sendmsg sendmsg(MSG_DEALLOC_VGPRS)
	s_endpgm
.LBB400_45:
	v_lshlrev_b32_e32 v3, 3, v4
	ds_load_2addr_b32 v[1:2], v5 offset1:1
	ds_load_b64 v[3:4], v3
	s_waitcnt lgkmcnt(0)
	v_dual_add_f32 v2, v4, v2 :: v_dual_add_f32 v1, v3, v1
	s_or_b32 exec_lo, exec_lo, s0
	v_cmp_gt_u32_e32 vcc_lo, 17, v0
	s_and_b32 exec_lo, exec_lo, vcc_lo
	s_cbranch_execz .LBB400_44
.LBB400_46:
	v_mul_f32_e64 v3, v2, -v11
	v_mul_f32_e32 v4, v2, v10
	v_cmp_eq_f32_e32 vcc_lo, 0, v8
	v_cmp_eq_f32_e64 s0, 0, v9
	s_delay_alu instid0(VALU_DEP_4) | instskip(NEXT) | instid1(VALU_DEP_4)
	v_fmac_f32_e32 v3, v10, v1
	v_fmac_f32_e32 v4, v11, v1
	s_delay_alu instid0(VALU_DEP_3) | instskip(NEXT) | instid1(SALU_CYCLE_1)
	s_and_b32 s0, vcc_lo, s0
	s_and_saveexec_b32 s1, s0
	s_delay_alu instid0(SALU_CYCLE_1)
	s_xor_b32 s0, exec_lo, s1
	s_cbranch_execz .LBB400_48
; %bb.47:
	v_mad_u64_u32 v[1:2], null, s8, 17, v[0:1]
	v_mov_b32_e32 v2, 0
                                        ; implicit-def: $vgpr8
                                        ; implicit-def: $vgpr9
	s_delay_alu instid0(VALU_DEP_1) | instskip(NEXT) | instid1(VALU_DEP_1)
	v_lshlrev_b64 v[0:1], 3, v[1:2]
	v_add_co_u32 v0, vcc_lo, s10, v0
	s_delay_alu instid0(VALU_DEP_2)
	v_add_co_ci_u32_e32 v1, vcc_lo, s11, v1, vcc_lo
	global_store_b64 v[0:1], v[3:4], off
                                        ; implicit-def: $vgpr0
                                        ; implicit-def: $vgpr3
.LBB400_48:
	s_and_not1_saveexec_b32 s0, s0
	s_cbranch_execz .LBB400_44
; %bb.49:
	v_mad_u64_u32 v[1:2], null, s8, 17, v[0:1]
	v_mov_b32_e32 v2, 0
	s_delay_alu instid0(VALU_DEP_1) | instskip(NEXT) | instid1(VALU_DEP_1)
	v_lshlrev_b64 v[0:1], 3, v[1:2]
	v_add_co_u32 v0, vcc_lo, s10, v0
	s_delay_alu instid0(VALU_DEP_2) | instskip(SKIP_4) | instid1(VALU_DEP_2)
	v_add_co_ci_u32_e32 v1, vcc_lo, s11, v1, vcc_lo
	global_load_b64 v[5:6], v[0:1], off
	s_waitcnt vmcnt(0)
	v_fmac_f32_e32 v3, v8, v5
	v_fmac_f32_e32 v4, v9, v5
	v_fma_f32 v3, -v9, v6, v3
	s_delay_alu instid0(VALU_DEP_2)
	v_fmac_f32_e32 v4, v8, v6
	global_store_b64 v[0:1], v[3:4], off
	s_nop 0
	s_sendmsg sendmsg(MSG_DEALLOC_VGPRS)
	s_endpgm
	.section	.rodata,"a",@progbits
	.p2align	6, 0x0
	.amdhsa_kernel _ZN9rocsparseL20bsrxmvn_17_32_kernelILj17E21rocsparse_complex_numIfElifS2_S2_EEvT2_20rocsparse_direction_NS_24const_host_device_scalarIT0_EES3_PKS3_PKT1_SC_S9_PKT3_PKT4_S7_PT5_21rocsparse_index_base_b
		.amdhsa_group_segment_fixed_size 2312
		.amdhsa_private_segment_fixed_size 0
		.amdhsa_kernarg_size 96
		.amdhsa_user_sgpr_count 15
		.amdhsa_user_sgpr_dispatch_ptr 0
		.amdhsa_user_sgpr_queue_ptr 0
		.amdhsa_user_sgpr_kernarg_segment_ptr 1
		.amdhsa_user_sgpr_dispatch_id 0
		.amdhsa_user_sgpr_private_segment_size 0
		.amdhsa_wavefront_size32 1
		.amdhsa_uses_dynamic_stack 0
		.amdhsa_enable_private_segment 0
		.amdhsa_system_sgpr_workgroup_id_x 1
		.amdhsa_system_sgpr_workgroup_id_y 0
		.amdhsa_system_sgpr_workgroup_id_z 0
		.amdhsa_system_sgpr_workgroup_info 0
		.amdhsa_system_vgpr_workitem_id 0
		.amdhsa_next_free_vgpr 17
		.amdhsa_next_free_sgpr 21
		.amdhsa_reserve_vcc 1
		.amdhsa_float_round_mode_32 0
		.amdhsa_float_round_mode_16_64 0
		.amdhsa_float_denorm_mode_32 3
		.amdhsa_float_denorm_mode_16_64 3
		.amdhsa_dx10_clamp 1
		.amdhsa_ieee_mode 1
		.amdhsa_fp16_overflow 0
		.amdhsa_workgroup_processor_mode 1
		.amdhsa_memory_ordered 1
		.amdhsa_forward_progress 0
		.amdhsa_shared_vgpr_count 0
		.amdhsa_exception_fp_ieee_invalid_op 0
		.amdhsa_exception_fp_denorm_src 0
		.amdhsa_exception_fp_ieee_div_zero 0
		.amdhsa_exception_fp_ieee_overflow 0
		.amdhsa_exception_fp_ieee_underflow 0
		.amdhsa_exception_fp_ieee_inexact 0
		.amdhsa_exception_int_div_zero 0
	.end_amdhsa_kernel
	.section	.text._ZN9rocsparseL20bsrxmvn_17_32_kernelILj17E21rocsparse_complex_numIfElifS2_S2_EEvT2_20rocsparse_direction_NS_24const_host_device_scalarIT0_EES3_PKS3_PKT1_SC_S9_PKT3_PKT4_S7_PT5_21rocsparse_index_base_b,"axG",@progbits,_ZN9rocsparseL20bsrxmvn_17_32_kernelILj17E21rocsparse_complex_numIfElifS2_S2_EEvT2_20rocsparse_direction_NS_24const_host_device_scalarIT0_EES3_PKS3_PKT1_SC_S9_PKT3_PKT4_S7_PT5_21rocsparse_index_base_b,comdat
.Lfunc_end400:
	.size	_ZN9rocsparseL20bsrxmvn_17_32_kernelILj17E21rocsparse_complex_numIfElifS2_S2_EEvT2_20rocsparse_direction_NS_24const_host_device_scalarIT0_EES3_PKS3_PKT1_SC_S9_PKT3_PKT4_S7_PT5_21rocsparse_index_base_b, .Lfunc_end400-_ZN9rocsparseL20bsrxmvn_17_32_kernelILj17E21rocsparse_complex_numIfElifS2_S2_EEvT2_20rocsparse_direction_NS_24const_host_device_scalarIT0_EES3_PKS3_PKT1_SC_S9_PKT3_PKT4_S7_PT5_21rocsparse_index_base_b
                                        ; -- End function
	.section	.AMDGPU.csdata,"",@progbits
; Kernel info:
; codeLenInByte = 1944
; NumSgprs: 23
; NumVgprs: 17
; ScratchSize: 0
; MemoryBound: 0
; FloatMode: 240
; IeeeMode: 1
; LDSByteSize: 2312 bytes/workgroup (compile time only)
; SGPRBlocks: 2
; VGPRBlocks: 2
; NumSGPRsForWavesPerEU: 23
; NumVGPRsForWavesPerEU: 17
; Occupancy: 15
; WaveLimiterHint : 1
; COMPUTE_PGM_RSRC2:SCRATCH_EN: 0
; COMPUTE_PGM_RSRC2:USER_SGPR: 15
; COMPUTE_PGM_RSRC2:TRAP_HANDLER: 0
; COMPUTE_PGM_RSRC2:TGID_X_EN: 1
; COMPUTE_PGM_RSRC2:TGID_Y_EN: 0
; COMPUTE_PGM_RSRC2:TGID_Z_EN: 0
; COMPUTE_PGM_RSRC2:TIDIG_COMP_CNT: 0
	.section	.text._ZN9rocsparseL20bsrxmvn_17_32_kernelILj18E21rocsparse_complex_numIfElifS2_S2_EEvT2_20rocsparse_direction_NS_24const_host_device_scalarIT0_EES3_PKS3_PKT1_SC_S9_PKT3_PKT4_S7_PT5_21rocsparse_index_base_b,"axG",@progbits,_ZN9rocsparseL20bsrxmvn_17_32_kernelILj18E21rocsparse_complex_numIfElifS2_S2_EEvT2_20rocsparse_direction_NS_24const_host_device_scalarIT0_EES3_PKS3_PKT1_SC_S9_PKT3_PKT4_S7_PT5_21rocsparse_index_base_b,comdat
	.globl	_ZN9rocsparseL20bsrxmvn_17_32_kernelILj18E21rocsparse_complex_numIfElifS2_S2_EEvT2_20rocsparse_direction_NS_24const_host_device_scalarIT0_EES3_PKS3_PKT1_SC_S9_PKT3_PKT4_S7_PT5_21rocsparse_index_base_b ; -- Begin function _ZN9rocsparseL20bsrxmvn_17_32_kernelILj18E21rocsparse_complex_numIfElifS2_S2_EEvT2_20rocsparse_direction_NS_24const_host_device_scalarIT0_EES3_PKS3_PKT1_SC_S9_PKT3_PKT4_S7_PT5_21rocsparse_index_base_b
	.p2align	8
	.type	_ZN9rocsparseL20bsrxmvn_17_32_kernelILj18E21rocsparse_complex_numIfElifS2_S2_EEvT2_20rocsparse_direction_NS_24const_host_device_scalarIT0_EES3_PKS3_PKT1_SC_S9_PKT3_PKT4_S7_PT5_21rocsparse_index_base_b,@function
_ZN9rocsparseL20bsrxmvn_17_32_kernelILj18E21rocsparse_complex_numIfElifS2_S2_EEvT2_20rocsparse_direction_NS_24const_host_device_scalarIT0_EES3_PKS3_PKT1_SC_S9_PKT3_PKT4_S7_PT5_21rocsparse_index_base_b: ; @_ZN9rocsparseL20bsrxmvn_17_32_kernelILj18E21rocsparse_complex_numIfElifS2_S2_EEvT2_20rocsparse_direction_NS_24const_host_device_scalarIT0_EES3_PKS3_PKT1_SC_S9_PKT3_PKT4_S7_PT5_21rocsparse_index_base_b
; %bb.0:
	s_clause 0x2
	s_load_b64 s[12:13], s[0:1], 0x58
	s_load_b64 s[4:5], s[0:1], 0x8
	;; [unrolled: 1-line block ×3, first 2 shown]
	s_mov_b32 s8, s15
	s_waitcnt lgkmcnt(0)
	s_bitcmp1_b32 s13, 0
	v_mov_b32_e32 v10, s4
	s_cselect_b32 s6, -1, 0
	s_delay_alu instid0(SALU_CYCLE_1)
	s_and_b32 vcc_lo, exec_lo, s6
	s_xor_b32 s6, s6, -1
	s_cbranch_vccz .LBB401_15
; %bb.1:
	v_cndmask_b32_e64 v1, 0, 1, s6
	v_mov_b32_e32 v11, s5
	s_and_not1_b32 vcc_lo, exec_lo, s6
	s_cbranch_vccz .LBB401_16
.LBB401_2:
	s_delay_alu instid0(VALU_DEP_2)
	v_cmp_ne_u32_e32 vcc_lo, 1, v1
	v_mov_b32_e32 v8, s2
	s_cbranch_vccz .LBB401_17
.LBB401_3:
	v_cmp_ne_u32_e32 vcc_lo, 1, v1
	v_mov_b32_e32 v9, s3
	s_cbranch_vccnz .LBB401_5
.LBB401_4:
	v_dual_mov_b32 v1, s2 :: v_dual_mov_b32 v2, s3
	flat_load_b32 v9, v[1:2] offset:4
.LBB401_5:
	s_waitcnt vmcnt(0) lgkmcnt(0)
	v_cmp_eq_f32_e32 vcc_lo, 0, v10
	v_cmp_eq_f32_e64 s2, 0, v11
	s_delay_alu instid0(VALU_DEP_1)
	s_and_b32 s4, vcc_lo, s2
	s_mov_b32 s2, -1
	s_and_saveexec_b32 s3, s4
; %bb.6:
	v_cmp_neq_f32_e32 vcc_lo, 1.0, v8
	v_cmp_neq_f32_e64 s2, 0, v9
	s_delay_alu instid0(VALU_DEP_1) | instskip(NEXT) | instid1(SALU_CYCLE_1)
	s_or_b32 s2, vcc_lo, s2
	s_or_not1_b32 s2, s2, exec_lo
; %bb.7:
	s_or_b32 exec_lo, exec_lo, s3
	s_and_saveexec_b32 s3, s2
	s_cbranch_execz .LBB401_44
; %bb.8:
	s_clause 0x1
	s_load_b128 s[4:7], s[0:1], 0x18
	s_load_b64 s[10:11], s[0:1], 0x28
	s_waitcnt lgkmcnt(0)
	s_cmp_eq_u64 s[4:5], 0
	s_cbranch_scc1 .LBB401_10
; %bb.9:
	s_ashr_i32 s9, s8, 31
	s_delay_alu instid0(SALU_CYCLE_1) | instskip(NEXT) | instid1(SALU_CYCLE_1)
	s_lshl_b64 s[2:3], s[8:9], 2
	s_add_u32 s2, s4, s2
	s_addc_u32 s3, s5, s3
	s_load_b32 s2, s[2:3], 0x0
	s_waitcnt lgkmcnt(0)
	s_sub_i32 s8, s2, s12
.LBB401_10:
	s_load_b32 s3, s[0:1], 0x4
	v_mul_u32_u24_e32 v1, 0xe39, v0
	v_mov_b32_e32 v2, 0
	s_delay_alu instid0(VALU_DEP_2) | instskip(NEXT) | instid1(VALU_DEP_1)
	v_lshrrev_b32_e32 v3, 16, v1
	v_mul_lo_u16 v1, v3, 18
	s_delay_alu instid0(VALU_DEP_1)
	v_sub_nc_u16 v12, v0, v1
	v_mov_b32_e32 v1, 0
	s_waitcnt lgkmcnt(0)
	s_cmp_eq_u32 s3, 1
	s_cselect_b32 s2, -1, 0
	s_cmp_lg_u32 s3, 1
	s_cselect_b32 s3, -1, 0
	s_ashr_i32 s9, s8, 31
	s_delay_alu instid0(SALU_CYCLE_1) | instskip(NEXT) | instid1(SALU_CYCLE_1)
	s_lshl_b64 s[4:5], s[8:9], 3
	s_add_u32 s6, s6, s4
	s_addc_u32 s7, s7, s5
	s_add_u32 s9, s6, 8
	s_addc_u32 s13, s7, 0
	;; [unrolled: 2-line block ×3, first 2 shown]
	s_cmp_eq_u64 s[10:11], 0
	s_load_b64 s[10:11], s[0:1], 0x50
	s_cselect_b32 s5, s13, s5
	s_cselect_b32 s4, s9, s4
	s_load_b64 s[18:19], s[6:7], 0x0
	s_load_b64 s[14:15], s[4:5], 0x0
	s_waitcnt lgkmcnt(0)
	v_cmp_ge_i64_e64 s4, s[18:19], s[14:15]
	s_delay_alu instid0(VALU_DEP_1)
	s_and_b32 vcc_lo, exec_lo, s4
	s_cbranch_vccnz .LBB401_18
; %bb.11:
	v_mul_lo_u16 v1, v3, 15
	v_and_b32_e32 v2, 0xffff, v0
	s_sub_u32 s14, s14, s12
	s_subb_u32 s15, s15, 0
	s_sub_u32 s16, s18, s12
	v_lshrrev_b16 v1, 8, v1
	v_mul_u32_u24_e32 v2, 0x195, v2
	s_subb_u32 s17, s19, 0
	s_clause 0x1
	s_load_b128 s[4:7], s[0:1], 0x30
	s_load_b64 s[0:1], s[0:1], 0x40
	s_mul_hi_u32 s9, s16, 0x510
	v_mul_lo_u16 v1, v1, 18
	v_lshrrev_b32_e32 v13, 17, v2
	s_mul_i32 s13, s17, 0x510
	v_and_b32_e32 v4, 0xffff, v12
	s_add_i32 s9, s9, s13
	v_sub_nc_u16 v1, v3, v1
	v_add_co_u32 v2, s13, s18, v13
	s_delay_alu instid0(VALU_DEP_1) | instskip(NEXT) | instid1(VALU_DEP_3)
	v_add_co_ci_u32_e64 v5, null, s19, 0, s13
	v_and_b32_e32 v1, 0xff, v1
	s_mul_i32 s20, s16, 0x510
	s_delay_alu instid0(VALU_DEP_1)
	v_cndmask_b32_e64 v3, v4, v1, s2
	v_sub_co_u32 v4, vcc_lo, v2, s12
	v_mov_b32_e32 v2, 0
	v_subrev_co_ci_u32_e32 v5, vcc_lo, 0, v5, vcc_lo
	v_lshlrev_b32_e32 v1, 2, v0
	s_waitcnt lgkmcnt(0)
	s_add_u32 s2, s6, s20
	s_addc_u32 s6, s7, s9
	v_lshlrev_b64 v[6:7], 2, v[4:5]
	v_add_co_u32 v4, s2, s2, v1
	s_delay_alu instid0(VALU_DEP_1) | instskip(NEXT) | instid1(VALU_DEP_3)
	v_add_co_ci_u32_e64 v5, null, s6, 0, s2
	v_add_co_u32 v6, vcc_lo, s4, v6
	s_delay_alu instid0(VALU_DEP_4)
	v_add_co_ci_u32_e32 v7, vcc_lo, s5, v7, vcc_lo
	v_mov_b32_e32 v1, v2
	s_set_inst_prefetch_distance 0x1
	s_branch .LBB401_13
	.p2align	6
.LBB401_12:                             ;   in Loop: Header=BB401_13 Depth=1
	s_or_b32 exec_lo, exec_lo, s2
	s_add_u32 s16, s16, 1
	s_addc_u32 s17, s17, 0
	v_add_co_u32 v6, vcc_lo, v6, 4
	v_cmp_lt_i64_e64 s2, s[16:17], s[14:15]
	v_add_co_ci_u32_e32 v7, vcc_lo, 0, v7, vcc_lo
	s_delay_alu instid0(VALU_DEP_2)
	s_and_b32 vcc_lo, exec_lo, s2
	s_cbranch_vccz .LBB401_18
.LBB401_13:                             ; =>This Inner Loop Header: Depth=1
	v_add_co_u32 v14, s2, v13, s16
	s_delay_alu instid0(VALU_DEP_1) | instskip(SKIP_1) | instid1(VALU_DEP_1)
	v_add_co_ci_u32_e64 v15, null, 0, s17, s2
	s_mov_b32 s2, exec_lo
	v_cmpx_gt_i64_e64 s[14:15], v[14:15]
	s_cbranch_execz .LBB401_12
; %bb.14:                               ;   in Loop: Header=BB401_13 Depth=1
	global_load_b32 v14, v[6:7], off
	s_waitcnt vmcnt(0)
	v_subrev_nc_u32_e32 v16, s12, v14
	s_delay_alu instid0(VALU_DEP_1) | instskip(NEXT) | instid1(VALU_DEP_1)
	v_mad_u64_u32 v[14:15], null, v16, 18, v[3:4]
	v_ashrrev_i32_e32 v15, 31, v14
	s_delay_alu instid0(VALU_DEP_1) | instskip(NEXT) | instid1(VALU_DEP_1)
	v_lshlrev_b64 v[14:15], 3, v[14:15]
	v_add_co_u32 v14, vcc_lo, s0, v14
	s_delay_alu instid0(VALU_DEP_2)
	v_add_co_ci_u32_e32 v15, vcc_lo, s1, v15, vcc_lo
	global_load_b32 v16, v[4:5], off
	global_load_b64 v[14:15], v[14:15], off
	v_add_co_u32 v4, vcc_lo, 0x510, v4
	v_add_co_ci_u32_e32 v5, vcc_lo, 0, v5, vcc_lo
	s_waitcnt vmcnt(0)
	v_fmac_f32_e32 v1, v16, v14
	s_delay_alu instid0(VALU_DEP_1) | instskip(NEXT) | instid1(VALU_DEP_1)
	v_dual_fmac_f32 v2, 0, v14 :: v_dual_fmac_f32 v1, 0x80000000, v15
	v_fmac_f32_e32 v2, v16, v15
	s_branch .LBB401_12
.LBB401_15:
	v_dual_mov_b32 v1, s4 :: v_dual_mov_b32 v2, s5
	flat_load_b32 v10, v[1:2]
	v_cndmask_b32_e64 v1, 0, 1, s6
	v_mov_b32_e32 v11, s5
	s_and_not1_b32 vcc_lo, exec_lo, s6
	s_cbranch_vccnz .LBB401_2
.LBB401_16:
	v_dual_mov_b32 v2, s4 :: v_dual_mov_b32 v3, s5
	flat_load_b32 v11, v[2:3] offset:4
	v_cmp_ne_u32_e32 vcc_lo, 1, v1
	v_mov_b32_e32 v8, s2
	s_cbranch_vccnz .LBB401_3
.LBB401_17:
	v_dual_mov_b32 v2, s2 :: v_dual_mov_b32 v3, s3
	flat_load_b32 v8, v[2:3]
	v_cmp_ne_u32_e32 vcc_lo, 1, v1
	v_mov_b32_e32 v9, s3
	s_cbranch_vccz .LBB401_4
	s_branch .LBB401_5
.LBB401_18:
	s_set_inst_prefetch_distance 0x2
	v_lshlrev_b32_e32 v3, 3, v0
	s_and_b32 vcc_lo, exec_lo, s3
	ds_store_b64 v3, v[1:2]
	s_waitcnt lgkmcnt(0)
	s_barrier
	buffer_gl0_inv
	s_cbranch_vccz .LBB401_30
; %bb.19:
	v_cmp_gt_u16_e32 vcc_lo, 2, v12
	s_and_saveexec_b32 s0, vcc_lo
	s_cbranch_execz .LBB401_21
; %bb.20:
	ds_load_2addr_b64 v[4:7], v3 offset1:16
	s_waitcnt lgkmcnt(0)
	v_dual_add_f32 v4, v6, v4 :: v_dual_add_f32 v5, v7, v5
	ds_store_b64 v3, v[4:5]
.LBB401_21:
	s_or_b32 exec_lo, exec_lo, s0
	s_delay_alu instid0(SALU_CYCLE_1)
	s_mov_b32 s1, exec_lo
	s_waitcnt lgkmcnt(0)
	s_barrier
	buffer_gl0_inv
	v_cmpx_gt_u16_e32 8, v12
	s_cbranch_execz .LBB401_23
; %bb.22:
	ds_load_2addr_b64 v[4:7], v3 offset1:8
	s_waitcnt lgkmcnt(0)
	v_dual_add_f32 v4, v6, v4 :: v_dual_add_f32 v5, v7, v5
	ds_store_b64 v3, v[4:5]
.LBB401_23:
	s_or_b32 exec_lo, exec_lo, s1
	s_delay_alu instid0(SALU_CYCLE_1)
	s_mov_b32 s1, exec_lo
	s_waitcnt lgkmcnt(0)
	s_barrier
	buffer_gl0_inv
	v_cmpx_gt_u16_e32 4, v12
	s_cbranch_execz .LBB401_25
; %bb.24:
	ds_load_2addr_b64 v[4:7], v3 offset1:4
	s_waitcnt lgkmcnt(0)
	v_dual_add_f32 v4, v6, v4 :: v_dual_add_f32 v5, v7, v5
	ds_store_b64 v3, v[4:5]
.LBB401_25:
	s_or_b32 exec_lo, exec_lo, s1
	s_waitcnt lgkmcnt(0)
	s_barrier
	buffer_gl0_inv
	s_and_saveexec_b32 s0, vcc_lo
	s_cbranch_execz .LBB401_27
; %bb.26:
	ds_load_2addr_b64 v[4:7], v3 offset1:2
	s_waitcnt lgkmcnt(0)
	v_dual_add_f32 v4, v6, v4 :: v_dual_add_f32 v5, v7, v5
	ds_store_b64 v3, v[4:5]
.LBB401_27:
	s_or_b32 exec_lo, exec_lo, s0
	s_mov_b32 s0, 0
	s_mov_b32 s1, 0
	s_mov_b32 s2, exec_lo
	s_waitcnt lgkmcnt(0)
	s_barrier
	buffer_gl0_inv
                                        ; implicit-def: $vgpr5
                                        ; implicit-def: $vgpr4
	v_cmpx_gt_u32_e32 18, v0
	s_xor_b32 s2, exec_lo, s2
; %bb.28:
	v_mul_u32_u24_e32 v4, 18, v0
	s_mov_b32 s1, exec_lo
	s_delay_alu instid0(VALU_DEP_1)
	v_lshlrev_b32_e32 v5, 3, v4
	v_or_b32_e32 v4, 1, v4
; %bb.29:
	s_or_b32 exec_lo, exec_lo, s2
	s_delay_alu instid0(SALU_CYCLE_1)
	s_and_b32 vcc_lo, exec_lo, s0
	s_cbranch_vccnz .LBB401_31
	s_branch .LBB401_42
.LBB401_30:
	s_mov_b32 s1, 0
                                        ; implicit-def: $vgpr5
                                        ; implicit-def: $vgpr4
	s_cbranch_execz .LBB401_42
.LBB401_31:
	v_cmp_gt_u32_e32 vcc_lo, 36, v0
	s_and_saveexec_b32 s0, vcc_lo
	s_cbranch_execz .LBB401_33
; %bb.32:
	ds_load_b64 v[4:5], v3 offset:2304
	ds_load_b64 v[6:7], v3
	s_waitcnt lgkmcnt(0)
	v_dual_add_f32 v4, v4, v6 :: v_dual_add_f32 v5, v5, v7
	ds_store_b64 v3, v[4:5]
.LBB401_33:
	s_or_b32 exec_lo, exec_lo, s0
	s_delay_alu instid0(SALU_CYCLE_1)
	s_mov_b32 s2, exec_lo
	s_waitcnt lgkmcnt(0)
	s_barrier
	buffer_gl0_inv
	v_cmpx_gt_u32_e32 0x90, v0
	s_cbranch_execz .LBB401_35
; %bb.34:
	ds_load_2addr_b64 v[4:7], v3 offset1:144
	s_waitcnt lgkmcnt(0)
	v_dual_add_f32 v4, v6, v4 :: v_dual_add_f32 v5, v7, v5
	ds_store_b64 v3, v[4:5]
.LBB401_35:
	s_or_b32 exec_lo, exec_lo, s2
	s_delay_alu instid0(SALU_CYCLE_1)
	s_mov_b32 s2, exec_lo
	s_waitcnt lgkmcnt(0)
	s_barrier
	buffer_gl0_inv
	v_cmpx_gt_u32_e32 0x48, v0
	s_cbranch_execz .LBB401_37
; %bb.36:
	ds_load_2addr_b64 v[4:7], v3 offset1:72
	s_waitcnt lgkmcnt(0)
	v_dual_add_f32 v4, v6, v4 :: v_dual_add_f32 v5, v7, v5
	ds_store_b64 v3, v[4:5]
.LBB401_37:
	s_or_b32 exec_lo, exec_lo, s2
	s_waitcnt lgkmcnt(0)
	s_barrier
	buffer_gl0_inv
	s_and_saveexec_b32 s0, vcc_lo
	s_cbranch_execz .LBB401_39
; %bb.38:
	ds_load_2addr_b64 v[4:7], v3 offset1:36
	s_waitcnt lgkmcnt(0)
	v_dual_add_f32 v4, v6, v4 :: v_dual_add_f32 v5, v7, v5
	ds_store_b64 v3, v[4:5]
.LBB401_39:
	s_or_b32 exec_lo, exec_lo, s0
	s_delay_alu instid0(SALU_CYCLE_1)
	s_mov_b32 s0, exec_lo
	s_waitcnt lgkmcnt(0)
	buffer_gl0_inv
                                        ; implicit-def: $vgpr4
	v_cmpx_gt_u32_e32 18, v0
; %bb.40:
	v_add_nc_u32_e32 v4, 18, v0
	s_or_b32 s1, s1, exec_lo
                                        ; implicit-def: $vgpr2
; %bb.41:
	s_or_b32 exec_lo, exec_lo, s0
	v_mov_b32_e32 v5, v3
.LBB401_42:
	s_and_saveexec_b32 s0, s1
	s_cbranch_execnz .LBB401_45
; %bb.43:
	s_or_b32 exec_lo, exec_lo, s0
	v_cmp_gt_u32_e32 vcc_lo, 18, v0
	s_and_b32 exec_lo, exec_lo, vcc_lo
	s_cbranch_execnz .LBB401_46
.LBB401_44:
	s_nop 0
	s_sendmsg sendmsg(MSG_DEALLOC_VGPRS)
	s_endpgm
.LBB401_45:
	v_lshlrev_b32_e32 v3, 3, v4
	ds_load_2addr_b32 v[1:2], v5 offset1:1
	ds_load_b64 v[3:4], v3
	s_waitcnt lgkmcnt(0)
	v_dual_add_f32 v2, v4, v2 :: v_dual_add_f32 v1, v3, v1
	s_or_b32 exec_lo, exec_lo, s0
	v_cmp_gt_u32_e32 vcc_lo, 18, v0
	s_and_b32 exec_lo, exec_lo, vcc_lo
	s_cbranch_execz .LBB401_44
.LBB401_46:
	v_mul_f32_e64 v3, v2, -v11
	v_mul_f32_e32 v4, v2, v10
	v_cmp_eq_f32_e32 vcc_lo, 0, v8
	v_cmp_eq_f32_e64 s0, 0, v9
	s_delay_alu instid0(VALU_DEP_4) | instskip(NEXT) | instid1(VALU_DEP_4)
	v_fmac_f32_e32 v3, v10, v1
	v_fmac_f32_e32 v4, v11, v1
	s_delay_alu instid0(VALU_DEP_3) | instskip(NEXT) | instid1(SALU_CYCLE_1)
	s_and_b32 s0, vcc_lo, s0
	s_and_saveexec_b32 s1, s0
	s_delay_alu instid0(SALU_CYCLE_1)
	s_xor_b32 s0, exec_lo, s1
	s_cbranch_execz .LBB401_48
; %bb.47:
	v_mad_u64_u32 v[1:2], null, s8, 18, v[0:1]
	v_mov_b32_e32 v2, 0
                                        ; implicit-def: $vgpr8
                                        ; implicit-def: $vgpr9
	s_delay_alu instid0(VALU_DEP_1) | instskip(NEXT) | instid1(VALU_DEP_1)
	v_lshlrev_b64 v[0:1], 3, v[1:2]
	v_add_co_u32 v0, vcc_lo, s10, v0
	s_delay_alu instid0(VALU_DEP_2)
	v_add_co_ci_u32_e32 v1, vcc_lo, s11, v1, vcc_lo
	global_store_b64 v[0:1], v[3:4], off
                                        ; implicit-def: $vgpr0
                                        ; implicit-def: $vgpr3
.LBB401_48:
	s_and_not1_saveexec_b32 s0, s0
	s_cbranch_execz .LBB401_44
; %bb.49:
	v_mad_u64_u32 v[1:2], null, s8, 18, v[0:1]
	v_mov_b32_e32 v2, 0
	s_delay_alu instid0(VALU_DEP_1) | instskip(NEXT) | instid1(VALU_DEP_1)
	v_lshlrev_b64 v[0:1], 3, v[1:2]
	v_add_co_u32 v0, vcc_lo, s10, v0
	s_delay_alu instid0(VALU_DEP_2) | instskip(SKIP_4) | instid1(VALU_DEP_2)
	v_add_co_ci_u32_e32 v1, vcc_lo, s11, v1, vcc_lo
	global_load_b64 v[5:6], v[0:1], off
	s_waitcnt vmcnt(0)
	v_fmac_f32_e32 v3, v8, v5
	v_fmac_f32_e32 v4, v9, v5
	v_fma_f32 v3, -v9, v6, v3
	s_delay_alu instid0(VALU_DEP_2)
	v_fmac_f32_e32 v4, v8, v6
	global_store_b64 v[0:1], v[3:4], off
	s_nop 0
	s_sendmsg sendmsg(MSG_DEALLOC_VGPRS)
	s_endpgm
	.section	.rodata,"a",@progbits
	.p2align	6, 0x0
	.amdhsa_kernel _ZN9rocsparseL20bsrxmvn_17_32_kernelILj18E21rocsparse_complex_numIfElifS2_S2_EEvT2_20rocsparse_direction_NS_24const_host_device_scalarIT0_EES3_PKS3_PKT1_SC_S9_PKT3_PKT4_S7_PT5_21rocsparse_index_base_b
		.amdhsa_group_segment_fixed_size 2592
		.amdhsa_private_segment_fixed_size 0
		.amdhsa_kernarg_size 96
		.amdhsa_user_sgpr_count 15
		.amdhsa_user_sgpr_dispatch_ptr 0
		.amdhsa_user_sgpr_queue_ptr 0
		.amdhsa_user_sgpr_kernarg_segment_ptr 1
		.amdhsa_user_sgpr_dispatch_id 0
		.amdhsa_user_sgpr_private_segment_size 0
		.amdhsa_wavefront_size32 1
		.amdhsa_uses_dynamic_stack 0
		.amdhsa_enable_private_segment 0
		.amdhsa_system_sgpr_workgroup_id_x 1
		.amdhsa_system_sgpr_workgroup_id_y 0
		.amdhsa_system_sgpr_workgroup_id_z 0
		.amdhsa_system_sgpr_workgroup_info 0
		.amdhsa_system_vgpr_workitem_id 0
		.amdhsa_next_free_vgpr 17
		.amdhsa_next_free_sgpr 21
		.amdhsa_reserve_vcc 1
		.amdhsa_float_round_mode_32 0
		.amdhsa_float_round_mode_16_64 0
		.amdhsa_float_denorm_mode_32 3
		.amdhsa_float_denorm_mode_16_64 3
		.amdhsa_dx10_clamp 1
		.amdhsa_ieee_mode 1
		.amdhsa_fp16_overflow 0
		.amdhsa_workgroup_processor_mode 1
		.amdhsa_memory_ordered 1
		.amdhsa_forward_progress 0
		.amdhsa_shared_vgpr_count 0
		.amdhsa_exception_fp_ieee_invalid_op 0
		.amdhsa_exception_fp_denorm_src 0
		.amdhsa_exception_fp_ieee_div_zero 0
		.amdhsa_exception_fp_ieee_overflow 0
		.amdhsa_exception_fp_ieee_underflow 0
		.amdhsa_exception_fp_ieee_inexact 0
		.amdhsa_exception_int_div_zero 0
	.end_amdhsa_kernel
	.section	.text._ZN9rocsparseL20bsrxmvn_17_32_kernelILj18E21rocsparse_complex_numIfElifS2_S2_EEvT2_20rocsparse_direction_NS_24const_host_device_scalarIT0_EES3_PKS3_PKT1_SC_S9_PKT3_PKT4_S7_PT5_21rocsparse_index_base_b,"axG",@progbits,_ZN9rocsparseL20bsrxmvn_17_32_kernelILj18E21rocsparse_complex_numIfElifS2_S2_EEvT2_20rocsparse_direction_NS_24const_host_device_scalarIT0_EES3_PKS3_PKT1_SC_S9_PKT3_PKT4_S7_PT5_21rocsparse_index_base_b,comdat
.Lfunc_end401:
	.size	_ZN9rocsparseL20bsrxmvn_17_32_kernelILj18E21rocsparse_complex_numIfElifS2_S2_EEvT2_20rocsparse_direction_NS_24const_host_device_scalarIT0_EES3_PKS3_PKT1_SC_S9_PKT3_PKT4_S7_PT5_21rocsparse_index_base_b, .Lfunc_end401-_ZN9rocsparseL20bsrxmvn_17_32_kernelILj18E21rocsparse_complex_numIfElifS2_S2_EEvT2_20rocsparse_direction_NS_24const_host_device_scalarIT0_EES3_PKS3_PKT1_SC_S9_PKT3_PKT4_S7_PT5_21rocsparse_index_base_b
                                        ; -- End function
	.section	.AMDGPU.csdata,"",@progbits
; Kernel info:
; codeLenInByte = 1916
; NumSgprs: 23
; NumVgprs: 17
; ScratchSize: 0
; MemoryBound: 0
; FloatMode: 240
; IeeeMode: 1
; LDSByteSize: 2592 bytes/workgroup (compile time only)
; SGPRBlocks: 2
; VGPRBlocks: 2
; NumSGPRsForWavesPerEU: 23
; NumVGPRsForWavesPerEU: 17
; Occupancy: 14
; WaveLimiterHint : 1
; COMPUTE_PGM_RSRC2:SCRATCH_EN: 0
; COMPUTE_PGM_RSRC2:USER_SGPR: 15
; COMPUTE_PGM_RSRC2:TRAP_HANDLER: 0
; COMPUTE_PGM_RSRC2:TGID_X_EN: 1
; COMPUTE_PGM_RSRC2:TGID_Y_EN: 0
; COMPUTE_PGM_RSRC2:TGID_Z_EN: 0
; COMPUTE_PGM_RSRC2:TIDIG_COMP_CNT: 0
	.section	.text._ZN9rocsparseL20bsrxmvn_17_32_kernelILj19E21rocsparse_complex_numIfElifS2_S2_EEvT2_20rocsparse_direction_NS_24const_host_device_scalarIT0_EES3_PKS3_PKT1_SC_S9_PKT3_PKT4_S7_PT5_21rocsparse_index_base_b,"axG",@progbits,_ZN9rocsparseL20bsrxmvn_17_32_kernelILj19E21rocsparse_complex_numIfElifS2_S2_EEvT2_20rocsparse_direction_NS_24const_host_device_scalarIT0_EES3_PKS3_PKT1_SC_S9_PKT3_PKT4_S7_PT5_21rocsparse_index_base_b,comdat
	.globl	_ZN9rocsparseL20bsrxmvn_17_32_kernelILj19E21rocsparse_complex_numIfElifS2_S2_EEvT2_20rocsparse_direction_NS_24const_host_device_scalarIT0_EES3_PKS3_PKT1_SC_S9_PKT3_PKT4_S7_PT5_21rocsparse_index_base_b ; -- Begin function _ZN9rocsparseL20bsrxmvn_17_32_kernelILj19E21rocsparse_complex_numIfElifS2_S2_EEvT2_20rocsparse_direction_NS_24const_host_device_scalarIT0_EES3_PKS3_PKT1_SC_S9_PKT3_PKT4_S7_PT5_21rocsparse_index_base_b
	.p2align	8
	.type	_ZN9rocsparseL20bsrxmvn_17_32_kernelILj19E21rocsparse_complex_numIfElifS2_S2_EEvT2_20rocsparse_direction_NS_24const_host_device_scalarIT0_EES3_PKS3_PKT1_SC_S9_PKT3_PKT4_S7_PT5_21rocsparse_index_base_b,@function
_ZN9rocsparseL20bsrxmvn_17_32_kernelILj19E21rocsparse_complex_numIfElifS2_S2_EEvT2_20rocsparse_direction_NS_24const_host_device_scalarIT0_EES3_PKS3_PKT1_SC_S9_PKT3_PKT4_S7_PT5_21rocsparse_index_base_b: ; @_ZN9rocsparseL20bsrxmvn_17_32_kernelILj19E21rocsparse_complex_numIfElifS2_S2_EEvT2_20rocsparse_direction_NS_24const_host_device_scalarIT0_EES3_PKS3_PKT1_SC_S9_PKT3_PKT4_S7_PT5_21rocsparse_index_base_b
; %bb.0:
	s_clause 0x2
	s_load_b64 s[12:13], s[0:1], 0x58
	s_load_b64 s[4:5], s[0:1], 0x8
	;; [unrolled: 1-line block ×3, first 2 shown]
	s_mov_b32 s8, s15
	s_waitcnt lgkmcnt(0)
	s_bitcmp1_b32 s13, 0
	v_mov_b32_e32 v10, s4
	s_cselect_b32 s6, -1, 0
	s_delay_alu instid0(SALU_CYCLE_1)
	s_and_b32 vcc_lo, exec_lo, s6
	s_xor_b32 s6, s6, -1
	s_cbranch_vccz .LBB402_15
; %bb.1:
	v_cndmask_b32_e64 v1, 0, 1, s6
	v_mov_b32_e32 v11, s5
	s_and_not1_b32 vcc_lo, exec_lo, s6
	s_cbranch_vccz .LBB402_16
.LBB402_2:
	s_delay_alu instid0(VALU_DEP_2)
	v_cmp_ne_u32_e32 vcc_lo, 1, v1
	v_mov_b32_e32 v8, s2
	s_cbranch_vccz .LBB402_17
.LBB402_3:
	v_cmp_ne_u32_e32 vcc_lo, 1, v1
	v_mov_b32_e32 v9, s3
	s_cbranch_vccnz .LBB402_5
.LBB402_4:
	v_dual_mov_b32 v1, s2 :: v_dual_mov_b32 v2, s3
	flat_load_b32 v9, v[1:2] offset:4
.LBB402_5:
	s_waitcnt vmcnt(0) lgkmcnt(0)
	v_cmp_eq_f32_e32 vcc_lo, 0, v10
	v_cmp_eq_f32_e64 s2, 0, v11
	s_delay_alu instid0(VALU_DEP_1)
	s_and_b32 s4, vcc_lo, s2
	s_mov_b32 s2, -1
	s_and_saveexec_b32 s3, s4
; %bb.6:
	v_cmp_neq_f32_e32 vcc_lo, 1.0, v8
	v_cmp_neq_f32_e64 s2, 0, v9
	s_delay_alu instid0(VALU_DEP_1) | instskip(NEXT) | instid1(SALU_CYCLE_1)
	s_or_b32 s2, vcc_lo, s2
	s_or_not1_b32 s2, s2, exec_lo
; %bb.7:
	s_or_b32 exec_lo, exec_lo, s3
	s_and_saveexec_b32 s3, s2
	s_cbranch_execz .LBB402_44
; %bb.8:
	s_clause 0x1
	s_load_b128 s[4:7], s[0:1], 0x18
	s_load_b64 s[10:11], s[0:1], 0x28
	s_waitcnt lgkmcnt(0)
	s_cmp_eq_u64 s[4:5], 0
	s_cbranch_scc1 .LBB402_10
; %bb.9:
	s_ashr_i32 s9, s8, 31
	s_delay_alu instid0(SALU_CYCLE_1) | instskip(NEXT) | instid1(SALU_CYCLE_1)
	s_lshl_b64 s[2:3], s[8:9], 2
	s_add_u32 s2, s4, s2
	s_addc_u32 s3, s5, s3
	s_load_b32 s2, s[2:3], 0x0
	s_waitcnt lgkmcnt(0)
	s_sub_i32 s8, s2, s12
.LBB402_10:
	s_load_b32 s3, s[0:1], 0x4
	v_mul_u32_u24_e32 v1, 0xd7a, v0
	v_mov_b32_e32 v2, 0
	s_delay_alu instid0(VALU_DEP_2) | instskip(NEXT) | instid1(VALU_DEP_1)
	v_lshrrev_b32_e32 v3, 16, v1
	v_mul_lo_u16 v1, v3, 19
	s_delay_alu instid0(VALU_DEP_1)
	v_sub_nc_u16 v12, v0, v1
	v_mov_b32_e32 v1, 0
	s_waitcnt lgkmcnt(0)
	s_cmp_eq_u32 s3, 1
	s_cselect_b32 s2, -1, 0
	s_cmp_lg_u32 s3, 1
	s_cselect_b32 s3, -1, 0
	s_ashr_i32 s9, s8, 31
	s_delay_alu instid0(SALU_CYCLE_1) | instskip(NEXT) | instid1(SALU_CYCLE_1)
	s_lshl_b64 s[4:5], s[8:9], 3
	s_add_u32 s6, s6, s4
	s_addc_u32 s7, s7, s5
	s_add_u32 s9, s6, 8
	s_addc_u32 s13, s7, 0
	;; [unrolled: 2-line block ×3, first 2 shown]
	s_cmp_eq_u64 s[10:11], 0
	s_load_b64 s[10:11], s[0:1], 0x50
	s_cselect_b32 s5, s13, s5
	s_cselect_b32 s4, s9, s4
	s_load_b64 s[18:19], s[6:7], 0x0
	s_load_b64 s[14:15], s[4:5], 0x0
	s_waitcnt lgkmcnt(0)
	v_cmp_ge_i64_e64 s4, s[18:19], s[14:15]
	s_delay_alu instid0(VALU_DEP_1)
	s_and_b32 vcc_lo, exec_lo, s4
	s_cbranch_vccnz .LBB402_18
; %bb.11:
	v_mul_lo_u16 v1, v3, 14
	v_and_b32_e32 v2, 0xffff, v0
	s_sub_u32 s14, s14, s12
	s_subb_u32 s15, s15, 0
	s_sub_u32 s16, s18, s12
	v_lshrrev_b16 v1, 8, v1
	v_mul_u32_u24_e32 v2, 0xb6, v2
	s_subb_u32 s17, s19, 0
	s_clause 0x1
	s_load_b128 s[4:7], s[0:1], 0x30
	s_load_b64 s[0:1], s[0:1], 0x40
	s_mul_hi_u32 s9, s16, 0x5a4
	v_mul_lo_u16 v1, v1, 19
	v_lshrrev_b32_e32 v13, 16, v2
	s_mul_i32 s13, s17, 0x5a4
	v_and_b32_e32 v4, 0xffff, v12
	s_add_i32 s9, s9, s13
	v_sub_nc_u16 v1, v3, v1
	v_add_co_u32 v2, s13, s18, v13
	s_delay_alu instid0(VALU_DEP_1) | instskip(NEXT) | instid1(VALU_DEP_3)
	v_add_co_ci_u32_e64 v5, null, s19, 0, s13
	v_and_b32_e32 v1, 0xff, v1
	s_mul_i32 s20, s16, 0x5a4
	s_delay_alu instid0(VALU_DEP_1)
	v_cndmask_b32_e64 v3, v4, v1, s2
	v_sub_co_u32 v4, vcc_lo, v2, s12
	v_mov_b32_e32 v2, 0
	v_subrev_co_ci_u32_e32 v5, vcc_lo, 0, v5, vcc_lo
	v_lshlrev_b32_e32 v1, 2, v0
	s_waitcnt lgkmcnt(0)
	s_add_u32 s2, s6, s20
	s_addc_u32 s6, s7, s9
	v_lshlrev_b64 v[6:7], 2, v[4:5]
	v_add_co_u32 v4, s2, s2, v1
	s_delay_alu instid0(VALU_DEP_1) | instskip(NEXT) | instid1(VALU_DEP_3)
	v_add_co_ci_u32_e64 v5, null, s6, 0, s2
	v_add_co_u32 v6, vcc_lo, s4, v6
	s_delay_alu instid0(VALU_DEP_4)
	v_add_co_ci_u32_e32 v7, vcc_lo, s5, v7, vcc_lo
	v_mov_b32_e32 v1, v2
	s_set_inst_prefetch_distance 0x1
	s_branch .LBB402_13
	.p2align	6
.LBB402_12:                             ;   in Loop: Header=BB402_13 Depth=1
	s_or_b32 exec_lo, exec_lo, s2
	s_add_u32 s16, s16, 1
	s_addc_u32 s17, s17, 0
	v_add_co_u32 v6, vcc_lo, v6, 4
	v_cmp_lt_i64_e64 s2, s[16:17], s[14:15]
	v_add_co_ci_u32_e32 v7, vcc_lo, 0, v7, vcc_lo
	s_delay_alu instid0(VALU_DEP_2)
	s_and_b32 vcc_lo, exec_lo, s2
	s_cbranch_vccz .LBB402_18
.LBB402_13:                             ; =>This Inner Loop Header: Depth=1
	v_add_co_u32 v14, s2, v13, s16
	s_delay_alu instid0(VALU_DEP_1) | instskip(SKIP_1) | instid1(VALU_DEP_1)
	v_add_co_ci_u32_e64 v15, null, 0, s17, s2
	s_mov_b32 s2, exec_lo
	v_cmpx_gt_i64_e64 s[14:15], v[14:15]
	s_cbranch_execz .LBB402_12
; %bb.14:                               ;   in Loop: Header=BB402_13 Depth=1
	global_load_b32 v14, v[6:7], off
	s_waitcnt vmcnt(0)
	v_subrev_nc_u32_e32 v16, s12, v14
	s_delay_alu instid0(VALU_DEP_1) | instskip(NEXT) | instid1(VALU_DEP_1)
	v_mad_u64_u32 v[14:15], null, v16, 19, v[3:4]
	v_ashrrev_i32_e32 v15, 31, v14
	s_delay_alu instid0(VALU_DEP_1) | instskip(NEXT) | instid1(VALU_DEP_1)
	v_lshlrev_b64 v[14:15], 3, v[14:15]
	v_add_co_u32 v14, vcc_lo, s0, v14
	s_delay_alu instid0(VALU_DEP_2)
	v_add_co_ci_u32_e32 v15, vcc_lo, s1, v15, vcc_lo
	global_load_b32 v16, v[4:5], off
	global_load_b64 v[14:15], v[14:15], off
	v_add_co_u32 v4, vcc_lo, 0x5a4, v4
	v_add_co_ci_u32_e32 v5, vcc_lo, 0, v5, vcc_lo
	s_waitcnt vmcnt(0)
	v_fmac_f32_e32 v1, v16, v14
	s_delay_alu instid0(VALU_DEP_1) | instskip(NEXT) | instid1(VALU_DEP_1)
	v_dual_fmac_f32 v2, 0, v14 :: v_dual_fmac_f32 v1, 0x80000000, v15
	v_fmac_f32_e32 v2, v16, v15
	s_branch .LBB402_12
.LBB402_15:
	v_dual_mov_b32 v1, s4 :: v_dual_mov_b32 v2, s5
	flat_load_b32 v10, v[1:2]
	v_cndmask_b32_e64 v1, 0, 1, s6
	v_mov_b32_e32 v11, s5
	s_and_not1_b32 vcc_lo, exec_lo, s6
	s_cbranch_vccnz .LBB402_2
.LBB402_16:
	v_dual_mov_b32 v2, s4 :: v_dual_mov_b32 v3, s5
	flat_load_b32 v11, v[2:3] offset:4
	v_cmp_ne_u32_e32 vcc_lo, 1, v1
	v_mov_b32_e32 v8, s2
	s_cbranch_vccnz .LBB402_3
.LBB402_17:
	v_dual_mov_b32 v2, s2 :: v_dual_mov_b32 v3, s3
	flat_load_b32 v8, v[2:3]
	v_cmp_ne_u32_e32 vcc_lo, 1, v1
	v_mov_b32_e32 v9, s3
	s_cbranch_vccz .LBB402_4
	s_branch .LBB402_5
.LBB402_18:
	s_set_inst_prefetch_distance 0x2
	v_lshlrev_b32_e32 v3, 3, v0
	s_and_b32 vcc_lo, exec_lo, s3
	ds_store_b64 v3, v[1:2]
	s_waitcnt lgkmcnt(0)
	s_barrier
	buffer_gl0_inv
	s_cbranch_vccz .LBB402_30
; %bb.19:
	s_mov_b32 s0, exec_lo
	v_cmpx_gt_u16_e32 3, v12
	s_cbranch_execz .LBB402_21
; %bb.20:
	ds_load_2addr_b64 v[4:7], v3 offset1:16
	s_waitcnt lgkmcnt(0)
	v_dual_add_f32 v4, v6, v4 :: v_dual_add_f32 v5, v7, v5
	ds_store_b64 v3, v[4:5]
.LBB402_21:
	s_or_b32 exec_lo, exec_lo, s0
	s_delay_alu instid0(SALU_CYCLE_1)
	s_mov_b32 s0, exec_lo
	s_waitcnt lgkmcnt(0)
	s_barrier
	buffer_gl0_inv
	v_cmpx_gt_u16_e32 8, v12
	s_cbranch_execz .LBB402_23
; %bb.22:
	ds_load_2addr_b64 v[4:7], v3 offset1:8
	s_waitcnt lgkmcnt(0)
	v_dual_add_f32 v4, v6, v4 :: v_dual_add_f32 v5, v7, v5
	ds_store_b64 v3, v[4:5]
.LBB402_23:
	s_or_b32 exec_lo, exec_lo, s0
	s_delay_alu instid0(SALU_CYCLE_1)
	s_mov_b32 s0, exec_lo
	s_waitcnt lgkmcnt(0)
	s_barrier
	buffer_gl0_inv
	;; [unrolled: 14-line block ×3, first 2 shown]
	v_cmpx_gt_u16_e32 2, v12
	s_cbranch_execz .LBB402_27
; %bb.26:
	ds_load_2addr_b64 v[4:7], v3 offset1:2
	s_waitcnt lgkmcnt(0)
	v_dual_add_f32 v4, v6, v4 :: v_dual_add_f32 v5, v7, v5
	ds_store_b64 v3, v[4:5]
.LBB402_27:
	s_or_b32 exec_lo, exec_lo, s0
	s_mov_b32 s1, 0
	s_mov_b32 s0, 0
	s_mov_b32 s2, exec_lo
	s_waitcnt lgkmcnt(0)
	s_barrier
	buffer_gl0_inv
                                        ; implicit-def: $vgpr5
                                        ; implicit-def: $vgpr4
	v_cmpx_gt_u32_e32 19, v0
	s_xor_b32 s2, exec_lo, s2
; %bb.28:
	v_mul_u32_u24_e32 v4, 19, v0
	s_mov_b32 s0, exec_lo
	s_delay_alu instid0(VALU_DEP_1)
	v_lshlrev_b32_e32 v5, 3, v4
	v_mad_u32_u24 v4, v0, 19, 1
; %bb.29:
	s_or_b32 exec_lo, exec_lo, s2
	s_delay_alu instid0(SALU_CYCLE_1)
	s_and_b32 vcc_lo, exec_lo, s1
	s_cbranch_vccnz .LBB402_31
	s_branch .LBB402_42
.LBB402_30:
	s_mov_b32 s0, 0
                                        ; implicit-def: $vgpr5
                                        ; implicit-def: $vgpr4
	s_cbranch_execz .LBB402_42
.LBB402_31:
	s_mov_b32 s1, exec_lo
	v_cmpx_gt_u32_e32 57, v0
	s_cbranch_execz .LBB402_33
; %bb.32:
	ds_load_b64 v[4:5], v3 offset:2432
	ds_load_b64 v[6:7], v3
	s_waitcnt lgkmcnt(0)
	v_dual_add_f32 v4, v4, v6 :: v_dual_add_f32 v5, v5, v7
	ds_store_b64 v3, v[4:5]
.LBB402_33:
	s_or_b32 exec_lo, exec_lo, s1
	s_delay_alu instid0(SALU_CYCLE_1)
	s_mov_b32 s1, exec_lo
	s_waitcnt lgkmcnt(0)
	s_barrier
	buffer_gl0_inv
	v_cmpx_gt_u32_e32 0x98, v0
	s_cbranch_execz .LBB402_35
; %bb.34:
	ds_load_2addr_b64 v[4:7], v3 offset1:152
	s_waitcnt lgkmcnt(0)
	v_dual_add_f32 v4, v6, v4 :: v_dual_add_f32 v5, v7, v5
	ds_store_b64 v3, v[4:5]
.LBB402_35:
	s_or_b32 exec_lo, exec_lo, s1
	s_delay_alu instid0(SALU_CYCLE_1)
	s_mov_b32 s1, exec_lo
	s_waitcnt lgkmcnt(0)
	s_barrier
	buffer_gl0_inv
	v_cmpx_gt_u32_e32 0x4c, v0
	s_cbranch_execz .LBB402_37
; %bb.36:
	ds_load_2addr_b64 v[4:7], v3 offset1:76
	s_waitcnt lgkmcnt(0)
	v_dual_add_f32 v4, v6, v4 :: v_dual_add_f32 v5, v7, v5
	ds_store_b64 v3, v[4:5]
.LBB402_37:
	;; [unrolled: 14-line block ×3, first 2 shown]
	s_or_b32 exec_lo, exec_lo, s1
	s_delay_alu instid0(SALU_CYCLE_1)
	s_mov_b32 s1, exec_lo
	s_waitcnt lgkmcnt(0)
	buffer_gl0_inv
                                        ; implicit-def: $vgpr4
	v_cmpx_gt_u32_e32 19, v0
; %bb.40:
	v_add_nc_u32_e32 v4, 19, v0
	s_or_b32 s0, s0, exec_lo
                                        ; implicit-def: $vgpr2
; %bb.41:
	s_or_b32 exec_lo, exec_lo, s1
	v_mov_b32_e32 v5, v3
.LBB402_42:
	s_and_saveexec_b32 s1, s0
	s_cbranch_execnz .LBB402_45
; %bb.43:
	s_or_b32 exec_lo, exec_lo, s1
	v_cmp_gt_u32_e32 vcc_lo, 19, v0
	s_and_b32 exec_lo, exec_lo, vcc_lo
	s_cbranch_execnz .LBB402_46
.LBB402_44:
	s_nop 0
	s_sendmsg sendmsg(MSG_DEALLOC_VGPRS)
	s_endpgm
.LBB402_45:
	v_lshlrev_b32_e32 v3, 3, v4
	ds_load_2addr_b32 v[1:2], v5 offset1:1
	ds_load_b64 v[3:4], v3
	s_waitcnt lgkmcnt(0)
	v_dual_add_f32 v2, v4, v2 :: v_dual_add_f32 v1, v3, v1
	s_or_b32 exec_lo, exec_lo, s1
	v_cmp_gt_u32_e32 vcc_lo, 19, v0
	s_and_b32 exec_lo, exec_lo, vcc_lo
	s_cbranch_execz .LBB402_44
.LBB402_46:
	v_mul_f32_e64 v3, v2, -v11
	v_mul_f32_e32 v4, v2, v10
	v_cmp_eq_f32_e32 vcc_lo, 0, v8
	v_cmp_eq_f32_e64 s0, 0, v9
	s_delay_alu instid0(VALU_DEP_4) | instskip(NEXT) | instid1(VALU_DEP_4)
	v_fmac_f32_e32 v3, v10, v1
	v_fmac_f32_e32 v4, v11, v1
	s_delay_alu instid0(VALU_DEP_3) | instskip(NEXT) | instid1(SALU_CYCLE_1)
	s_and_b32 s0, vcc_lo, s0
	s_and_saveexec_b32 s1, s0
	s_delay_alu instid0(SALU_CYCLE_1)
	s_xor_b32 s0, exec_lo, s1
	s_cbranch_execz .LBB402_48
; %bb.47:
	v_mad_u64_u32 v[1:2], null, s8, 19, v[0:1]
	v_mov_b32_e32 v2, 0
                                        ; implicit-def: $vgpr8
                                        ; implicit-def: $vgpr9
	s_delay_alu instid0(VALU_DEP_1) | instskip(NEXT) | instid1(VALU_DEP_1)
	v_lshlrev_b64 v[0:1], 3, v[1:2]
	v_add_co_u32 v0, vcc_lo, s10, v0
	s_delay_alu instid0(VALU_DEP_2)
	v_add_co_ci_u32_e32 v1, vcc_lo, s11, v1, vcc_lo
	global_store_b64 v[0:1], v[3:4], off
                                        ; implicit-def: $vgpr0
                                        ; implicit-def: $vgpr3
.LBB402_48:
	s_and_not1_saveexec_b32 s0, s0
	s_cbranch_execz .LBB402_44
; %bb.49:
	v_mad_u64_u32 v[1:2], null, s8, 19, v[0:1]
	v_mov_b32_e32 v2, 0
	s_delay_alu instid0(VALU_DEP_1) | instskip(NEXT) | instid1(VALU_DEP_1)
	v_lshlrev_b64 v[0:1], 3, v[1:2]
	v_add_co_u32 v0, vcc_lo, s10, v0
	s_delay_alu instid0(VALU_DEP_2) | instskip(SKIP_4) | instid1(VALU_DEP_2)
	v_add_co_ci_u32_e32 v1, vcc_lo, s11, v1, vcc_lo
	global_load_b64 v[5:6], v[0:1], off
	s_waitcnt vmcnt(0)
	v_fmac_f32_e32 v3, v8, v5
	v_fmac_f32_e32 v4, v9, v5
	v_fma_f32 v3, -v9, v6, v3
	s_delay_alu instid0(VALU_DEP_2)
	v_fmac_f32_e32 v4, v8, v6
	global_store_b64 v[0:1], v[3:4], off
	s_nop 0
	s_sendmsg sendmsg(MSG_DEALLOC_VGPRS)
	s_endpgm
	.section	.rodata,"a",@progbits
	.p2align	6, 0x0
	.amdhsa_kernel _ZN9rocsparseL20bsrxmvn_17_32_kernelILj19E21rocsparse_complex_numIfElifS2_S2_EEvT2_20rocsparse_direction_NS_24const_host_device_scalarIT0_EES3_PKS3_PKT1_SC_S9_PKT3_PKT4_S7_PT5_21rocsparse_index_base_b
		.amdhsa_group_segment_fixed_size 2888
		.amdhsa_private_segment_fixed_size 0
		.amdhsa_kernarg_size 96
		.amdhsa_user_sgpr_count 15
		.amdhsa_user_sgpr_dispatch_ptr 0
		.amdhsa_user_sgpr_queue_ptr 0
		.amdhsa_user_sgpr_kernarg_segment_ptr 1
		.amdhsa_user_sgpr_dispatch_id 0
		.amdhsa_user_sgpr_private_segment_size 0
		.amdhsa_wavefront_size32 1
		.amdhsa_uses_dynamic_stack 0
		.amdhsa_enable_private_segment 0
		.amdhsa_system_sgpr_workgroup_id_x 1
		.amdhsa_system_sgpr_workgroup_id_y 0
		.amdhsa_system_sgpr_workgroup_id_z 0
		.amdhsa_system_sgpr_workgroup_info 0
		.amdhsa_system_vgpr_workitem_id 0
		.amdhsa_next_free_vgpr 17
		.amdhsa_next_free_sgpr 21
		.amdhsa_reserve_vcc 1
		.amdhsa_float_round_mode_32 0
		.amdhsa_float_round_mode_16_64 0
		.amdhsa_float_denorm_mode_32 3
		.amdhsa_float_denorm_mode_16_64 3
		.amdhsa_dx10_clamp 1
		.amdhsa_ieee_mode 1
		.amdhsa_fp16_overflow 0
		.amdhsa_workgroup_processor_mode 1
		.amdhsa_memory_ordered 1
		.amdhsa_forward_progress 0
		.amdhsa_shared_vgpr_count 0
		.amdhsa_exception_fp_ieee_invalid_op 0
		.amdhsa_exception_fp_denorm_src 0
		.amdhsa_exception_fp_ieee_div_zero 0
		.amdhsa_exception_fp_ieee_overflow 0
		.amdhsa_exception_fp_ieee_underflow 0
		.amdhsa_exception_fp_ieee_inexact 0
		.amdhsa_exception_int_div_zero 0
	.end_amdhsa_kernel
	.section	.text._ZN9rocsparseL20bsrxmvn_17_32_kernelILj19E21rocsparse_complex_numIfElifS2_S2_EEvT2_20rocsparse_direction_NS_24const_host_device_scalarIT0_EES3_PKS3_PKT1_SC_S9_PKT3_PKT4_S7_PT5_21rocsparse_index_base_b,"axG",@progbits,_ZN9rocsparseL20bsrxmvn_17_32_kernelILj19E21rocsparse_complex_numIfElifS2_S2_EEvT2_20rocsparse_direction_NS_24const_host_device_scalarIT0_EES3_PKS3_PKT1_SC_S9_PKT3_PKT4_S7_PT5_21rocsparse_index_base_b,comdat
.Lfunc_end402:
	.size	_ZN9rocsparseL20bsrxmvn_17_32_kernelILj19E21rocsparse_complex_numIfElifS2_S2_EEvT2_20rocsparse_direction_NS_24const_host_device_scalarIT0_EES3_PKS3_PKT1_SC_S9_PKT3_PKT4_S7_PT5_21rocsparse_index_base_b, .Lfunc_end402-_ZN9rocsparseL20bsrxmvn_17_32_kernelILj19E21rocsparse_complex_numIfElifS2_S2_EEvT2_20rocsparse_direction_NS_24const_host_device_scalarIT0_EES3_PKS3_PKT1_SC_S9_PKT3_PKT4_S7_PT5_21rocsparse_index_base_b
                                        ; -- End function
	.section	.AMDGPU.csdata,"",@progbits
; Kernel info:
; codeLenInByte = 1936
; NumSgprs: 23
; NumVgprs: 17
; ScratchSize: 0
; MemoryBound: 0
; FloatMode: 240
; IeeeMode: 1
; LDSByteSize: 2888 bytes/workgroup (compile time only)
; SGPRBlocks: 2
; VGPRBlocks: 2
; NumSGPRsForWavesPerEU: 23
; NumVGPRsForWavesPerEU: 17
; Occupancy: 15
; WaveLimiterHint : 1
; COMPUTE_PGM_RSRC2:SCRATCH_EN: 0
; COMPUTE_PGM_RSRC2:USER_SGPR: 15
; COMPUTE_PGM_RSRC2:TRAP_HANDLER: 0
; COMPUTE_PGM_RSRC2:TGID_X_EN: 1
; COMPUTE_PGM_RSRC2:TGID_Y_EN: 0
; COMPUTE_PGM_RSRC2:TGID_Z_EN: 0
; COMPUTE_PGM_RSRC2:TIDIG_COMP_CNT: 0
	.section	.text._ZN9rocsparseL20bsrxmvn_17_32_kernelILj20E21rocsparse_complex_numIfElifS2_S2_EEvT2_20rocsparse_direction_NS_24const_host_device_scalarIT0_EES3_PKS3_PKT1_SC_S9_PKT3_PKT4_S7_PT5_21rocsparse_index_base_b,"axG",@progbits,_ZN9rocsparseL20bsrxmvn_17_32_kernelILj20E21rocsparse_complex_numIfElifS2_S2_EEvT2_20rocsparse_direction_NS_24const_host_device_scalarIT0_EES3_PKS3_PKT1_SC_S9_PKT3_PKT4_S7_PT5_21rocsparse_index_base_b,comdat
	.globl	_ZN9rocsparseL20bsrxmvn_17_32_kernelILj20E21rocsparse_complex_numIfElifS2_S2_EEvT2_20rocsparse_direction_NS_24const_host_device_scalarIT0_EES3_PKS3_PKT1_SC_S9_PKT3_PKT4_S7_PT5_21rocsparse_index_base_b ; -- Begin function _ZN9rocsparseL20bsrxmvn_17_32_kernelILj20E21rocsparse_complex_numIfElifS2_S2_EEvT2_20rocsparse_direction_NS_24const_host_device_scalarIT0_EES3_PKS3_PKT1_SC_S9_PKT3_PKT4_S7_PT5_21rocsparse_index_base_b
	.p2align	8
	.type	_ZN9rocsparseL20bsrxmvn_17_32_kernelILj20E21rocsparse_complex_numIfElifS2_S2_EEvT2_20rocsparse_direction_NS_24const_host_device_scalarIT0_EES3_PKS3_PKT1_SC_S9_PKT3_PKT4_S7_PT5_21rocsparse_index_base_b,@function
_ZN9rocsparseL20bsrxmvn_17_32_kernelILj20E21rocsparse_complex_numIfElifS2_S2_EEvT2_20rocsparse_direction_NS_24const_host_device_scalarIT0_EES3_PKS3_PKT1_SC_S9_PKT3_PKT4_S7_PT5_21rocsparse_index_base_b: ; @_ZN9rocsparseL20bsrxmvn_17_32_kernelILj20E21rocsparse_complex_numIfElifS2_S2_EEvT2_20rocsparse_direction_NS_24const_host_device_scalarIT0_EES3_PKS3_PKT1_SC_S9_PKT3_PKT4_S7_PT5_21rocsparse_index_base_b
; %bb.0:
	s_clause 0x2
	s_load_b64 s[12:13], s[0:1], 0x58
	s_load_b64 s[4:5], s[0:1], 0x8
	;; [unrolled: 1-line block ×3, first 2 shown]
	s_mov_b32 s8, s15
	s_waitcnt lgkmcnt(0)
	s_bitcmp1_b32 s13, 0
	v_mov_b32_e32 v10, s4
	s_cselect_b32 s6, -1, 0
	s_delay_alu instid0(SALU_CYCLE_1)
	s_and_b32 vcc_lo, exec_lo, s6
	s_xor_b32 s6, s6, -1
	s_cbranch_vccz .LBB403_15
; %bb.1:
	v_cndmask_b32_e64 v1, 0, 1, s6
	v_mov_b32_e32 v11, s5
	s_and_not1_b32 vcc_lo, exec_lo, s6
	s_cbranch_vccz .LBB403_16
.LBB403_2:
	s_delay_alu instid0(VALU_DEP_2)
	v_cmp_ne_u32_e32 vcc_lo, 1, v1
	v_mov_b32_e32 v8, s2
	s_cbranch_vccz .LBB403_17
.LBB403_3:
	v_cmp_ne_u32_e32 vcc_lo, 1, v1
	v_mov_b32_e32 v9, s3
	s_cbranch_vccnz .LBB403_5
.LBB403_4:
	v_dual_mov_b32 v1, s2 :: v_dual_mov_b32 v2, s3
	flat_load_b32 v9, v[1:2] offset:4
.LBB403_5:
	s_waitcnt vmcnt(0) lgkmcnt(0)
	v_cmp_eq_f32_e32 vcc_lo, 0, v10
	v_cmp_eq_f32_e64 s2, 0, v11
	s_delay_alu instid0(VALU_DEP_1)
	s_and_b32 s4, vcc_lo, s2
	s_mov_b32 s2, -1
	s_and_saveexec_b32 s3, s4
; %bb.6:
	v_cmp_neq_f32_e32 vcc_lo, 1.0, v8
	v_cmp_neq_f32_e64 s2, 0, v9
	s_delay_alu instid0(VALU_DEP_1) | instskip(NEXT) | instid1(SALU_CYCLE_1)
	s_or_b32 s2, vcc_lo, s2
	s_or_not1_b32 s2, s2, exec_lo
; %bb.7:
	s_or_b32 exec_lo, exec_lo, s3
	s_and_saveexec_b32 s3, s2
	s_cbranch_execz .LBB403_44
; %bb.8:
	s_clause 0x1
	s_load_b128 s[4:7], s[0:1], 0x18
	s_load_b64 s[10:11], s[0:1], 0x28
	s_waitcnt lgkmcnt(0)
	s_cmp_eq_u64 s[4:5], 0
	s_cbranch_scc1 .LBB403_10
; %bb.9:
	s_ashr_i32 s9, s8, 31
	s_delay_alu instid0(SALU_CYCLE_1) | instskip(NEXT) | instid1(SALU_CYCLE_1)
	s_lshl_b64 s[2:3], s[8:9], 2
	s_add_u32 s2, s4, s2
	s_addc_u32 s3, s5, s3
	s_load_b32 s2, s[2:3], 0x0
	s_waitcnt lgkmcnt(0)
	s_sub_i32 s8, s2, s12
.LBB403_10:
	s_load_b32 s3, s[0:1], 0x4
	v_mul_u32_u24_e32 v1, 0xccd, v0
	v_mov_b32_e32 v2, 0
	s_delay_alu instid0(VALU_DEP_2) | instskip(NEXT) | instid1(VALU_DEP_1)
	v_lshrrev_b32_e32 v3, 16, v1
	v_mul_lo_u16 v1, v3, 20
	s_delay_alu instid0(VALU_DEP_1)
	v_sub_nc_u16 v12, v0, v1
	v_mov_b32_e32 v1, 0
	s_waitcnt lgkmcnt(0)
	s_cmp_eq_u32 s3, 1
	s_cselect_b32 s2, -1, 0
	s_cmp_lg_u32 s3, 1
	s_cselect_b32 s3, -1, 0
	s_ashr_i32 s9, s8, 31
	s_delay_alu instid0(SALU_CYCLE_1) | instskip(NEXT) | instid1(SALU_CYCLE_1)
	s_lshl_b64 s[4:5], s[8:9], 3
	s_add_u32 s6, s6, s4
	s_addc_u32 s7, s7, s5
	s_add_u32 s9, s6, 8
	s_addc_u32 s13, s7, 0
	;; [unrolled: 2-line block ×3, first 2 shown]
	s_cmp_eq_u64 s[10:11], 0
	s_load_b64 s[10:11], s[0:1], 0x50
	s_cselect_b32 s5, s13, s5
	s_cselect_b32 s4, s9, s4
	s_load_b64 s[18:19], s[6:7], 0x0
	s_load_b64 s[14:15], s[4:5], 0x0
	s_waitcnt lgkmcnt(0)
	v_cmp_ge_i64_e64 s4, s[18:19], s[14:15]
	s_delay_alu instid0(VALU_DEP_1)
	s_and_b32 vcc_lo, exec_lo, s4
	s_cbranch_vccnz .LBB403_18
; %bb.11:
	v_mul_lo_u16 v1, v3, 13
	v_and_b32_e32 v2, 0xffff, v0
	s_sub_u32 s14, s14, s12
	s_subb_u32 s15, s15, 0
	s_sub_u32 s16, s18, s12
	v_lshrrev_b16 v1, 8, v1
	v_mul_u32_u24_e32 v2, 0xa4, v2
	s_subb_u32 s17, s19, 0
	s_clause 0x1
	s_load_b128 s[4:7], s[0:1], 0x30
	s_load_b64 s[0:1], s[0:1], 0x40
	s_mul_hi_u32 s9, s16, 0x640
	v_mul_lo_u16 v1, v1, 20
	v_lshrrev_b32_e32 v13, 16, v2
	s_mul_i32 s13, s17, 0x640
	v_and_b32_e32 v4, 0xffff, v12
	s_add_i32 s9, s9, s13
	v_sub_nc_u16 v1, v3, v1
	v_add_co_u32 v2, s13, s18, v13
	s_delay_alu instid0(VALU_DEP_1) | instskip(NEXT) | instid1(VALU_DEP_3)
	v_add_co_ci_u32_e64 v5, null, s19, 0, s13
	v_and_b32_e32 v1, 0xff, v1
	s_mul_i32 s20, s16, 0x640
	s_delay_alu instid0(VALU_DEP_1)
	v_cndmask_b32_e64 v3, v4, v1, s2
	v_sub_co_u32 v4, vcc_lo, v2, s12
	v_mov_b32_e32 v2, 0
	v_subrev_co_ci_u32_e32 v5, vcc_lo, 0, v5, vcc_lo
	v_lshlrev_b32_e32 v1, 2, v0
	s_waitcnt lgkmcnt(0)
	s_add_u32 s2, s6, s20
	s_addc_u32 s6, s7, s9
	v_lshlrev_b64 v[6:7], 2, v[4:5]
	v_add_co_u32 v4, s2, s2, v1
	s_delay_alu instid0(VALU_DEP_1) | instskip(NEXT) | instid1(VALU_DEP_3)
	v_add_co_ci_u32_e64 v5, null, s6, 0, s2
	v_add_co_u32 v6, vcc_lo, s4, v6
	s_delay_alu instid0(VALU_DEP_4)
	v_add_co_ci_u32_e32 v7, vcc_lo, s5, v7, vcc_lo
	v_mov_b32_e32 v1, v2
	s_set_inst_prefetch_distance 0x1
	s_branch .LBB403_13
	.p2align	6
.LBB403_12:                             ;   in Loop: Header=BB403_13 Depth=1
	s_or_b32 exec_lo, exec_lo, s2
	s_add_u32 s16, s16, 1
	s_addc_u32 s17, s17, 0
	v_add_co_u32 v6, vcc_lo, v6, 4
	v_cmp_lt_i64_e64 s2, s[16:17], s[14:15]
	v_add_co_ci_u32_e32 v7, vcc_lo, 0, v7, vcc_lo
	s_delay_alu instid0(VALU_DEP_2)
	s_and_b32 vcc_lo, exec_lo, s2
	s_cbranch_vccz .LBB403_18
.LBB403_13:                             ; =>This Inner Loop Header: Depth=1
	v_add_co_u32 v14, s2, v13, s16
	s_delay_alu instid0(VALU_DEP_1) | instskip(SKIP_1) | instid1(VALU_DEP_1)
	v_add_co_ci_u32_e64 v15, null, 0, s17, s2
	s_mov_b32 s2, exec_lo
	v_cmpx_gt_i64_e64 s[14:15], v[14:15]
	s_cbranch_execz .LBB403_12
; %bb.14:                               ;   in Loop: Header=BB403_13 Depth=1
	global_load_b32 v14, v[6:7], off
	s_waitcnt vmcnt(0)
	v_subrev_nc_u32_e32 v16, s12, v14
	s_delay_alu instid0(VALU_DEP_1) | instskip(NEXT) | instid1(VALU_DEP_1)
	v_mad_u64_u32 v[14:15], null, v16, 20, v[3:4]
	v_ashrrev_i32_e32 v15, 31, v14
	s_delay_alu instid0(VALU_DEP_1) | instskip(NEXT) | instid1(VALU_DEP_1)
	v_lshlrev_b64 v[14:15], 3, v[14:15]
	v_add_co_u32 v14, vcc_lo, s0, v14
	s_delay_alu instid0(VALU_DEP_2)
	v_add_co_ci_u32_e32 v15, vcc_lo, s1, v15, vcc_lo
	global_load_b32 v16, v[4:5], off
	global_load_b64 v[14:15], v[14:15], off
	v_add_co_u32 v4, vcc_lo, 0x640, v4
	v_add_co_ci_u32_e32 v5, vcc_lo, 0, v5, vcc_lo
	s_waitcnt vmcnt(0)
	v_fmac_f32_e32 v1, v16, v14
	s_delay_alu instid0(VALU_DEP_1) | instskip(NEXT) | instid1(VALU_DEP_1)
	v_dual_fmac_f32 v2, 0, v14 :: v_dual_fmac_f32 v1, 0x80000000, v15
	v_fmac_f32_e32 v2, v16, v15
	s_branch .LBB403_12
.LBB403_15:
	v_dual_mov_b32 v1, s4 :: v_dual_mov_b32 v2, s5
	flat_load_b32 v10, v[1:2]
	v_cndmask_b32_e64 v1, 0, 1, s6
	v_mov_b32_e32 v11, s5
	s_and_not1_b32 vcc_lo, exec_lo, s6
	s_cbranch_vccnz .LBB403_2
.LBB403_16:
	v_dual_mov_b32 v2, s4 :: v_dual_mov_b32 v3, s5
	flat_load_b32 v11, v[2:3] offset:4
	v_cmp_ne_u32_e32 vcc_lo, 1, v1
	v_mov_b32_e32 v8, s2
	s_cbranch_vccnz .LBB403_3
.LBB403_17:
	v_dual_mov_b32 v2, s2 :: v_dual_mov_b32 v3, s3
	flat_load_b32 v8, v[2:3]
	v_cmp_ne_u32_e32 vcc_lo, 1, v1
	v_mov_b32_e32 v9, s3
	s_cbranch_vccz .LBB403_4
	s_branch .LBB403_5
.LBB403_18:
	s_set_inst_prefetch_distance 0x2
	v_lshlrev_b32_e32 v3, 3, v0
	s_and_b32 vcc_lo, exec_lo, s3
	ds_store_b64 v3, v[1:2]
	s_waitcnt lgkmcnt(0)
	s_barrier
	buffer_gl0_inv
	s_cbranch_vccz .LBB403_30
; %bb.19:
	v_cmp_gt_u16_e32 vcc_lo, 4, v12
	s_and_saveexec_b32 s0, vcc_lo
	s_cbranch_execz .LBB403_21
; %bb.20:
	ds_load_2addr_b64 v[4:7], v3 offset1:16
	s_waitcnt lgkmcnt(0)
	v_dual_add_f32 v4, v6, v4 :: v_dual_add_f32 v5, v7, v5
	ds_store_b64 v3, v[4:5]
.LBB403_21:
	s_or_b32 exec_lo, exec_lo, s0
	s_delay_alu instid0(SALU_CYCLE_1)
	s_mov_b32 s1, exec_lo
	s_waitcnt lgkmcnt(0)
	s_barrier
	buffer_gl0_inv
	v_cmpx_gt_u16_e32 8, v12
	s_cbranch_execz .LBB403_23
; %bb.22:
	ds_load_2addr_b64 v[4:7], v3 offset1:8
	s_waitcnt lgkmcnt(0)
	v_dual_add_f32 v4, v6, v4 :: v_dual_add_f32 v5, v7, v5
	ds_store_b64 v3, v[4:5]
.LBB403_23:
	s_or_b32 exec_lo, exec_lo, s1
	s_waitcnt lgkmcnt(0)
	s_barrier
	buffer_gl0_inv
	s_and_saveexec_b32 s0, vcc_lo
	s_cbranch_execz .LBB403_25
; %bb.24:
	ds_load_2addr_b64 v[4:7], v3 offset1:4
	s_waitcnt lgkmcnt(0)
	v_dual_add_f32 v4, v6, v4 :: v_dual_add_f32 v5, v7, v5
	ds_store_b64 v3, v[4:5]
.LBB403_25:
	s_or_b32 exec_lo, exec_lo, s0
	s_delay_alu instid0(SALU_CYCLE_1)
	s_mov_b32 s0, exec_lo
	s_waitcnt lgkmcnt(0)
	s_barrier
	buffer_gl0_inv
	v_cmpx_gt_u16_e32 2, v12
	s_cbranch_execz .LBB403_27
; %bb.26:
	ds_load_2addr_b64 v[4:7], v3 offset1:2
	s_waitcnt lgkmcnt(0)
	v_dual_add_f32 v4, v6, v4 :: v_dual_add_f32 v5, v7, v5
	ds_store_b64 v3, v[4:5]
.LBB403_27:
	s_or_b32 exec_lo, exec_lo, s0
	s_mov_b32 s0, 0
	s_mov_b32 s1, 0
	s_mov_b32 s2, exec_lo
	s_waitcnt lgkmcnt(0)
	s_barrier
	buffer_gl0_inv
                                        ; implicit-def: $vgpr5
                                        ; implicit-def: $vgpr4
	v_cmpx_gt_u32_e32 20, v0
	s_xor_b32 s2, exec_lo, s2
; %bb.28:
	v_mul_u32_u24_e32 v4, 20, v0
	s_mov_b32 s1, exec_lo
	s_delay_alu instid0(VALU_DEP_1)
	v_lshlrev_b32_e32 v5, 3, v4
	v_or_b32_e32 v4, 1, v4
; %bb.29:
	s_or_b32 exec_lo, exec_lo, s2
	s_delay_alu instid0(SALU_CYCLE_1)
	s_and_b32 vcc_lo, exec_lo, s0
	s_cbranch_vccnz .LBB403_31
	s_branch .LBB403_42
.LBB403_30:
	s_mov_b32 s1, 0
                                        ; implicit-def: $vgpr5
                                        ; implicit-def: $vgpr4
	s_cbranch_execz .LBB403_42
.LBB403_31:
	v_cmp_gt_u32_e32 vcc_lo, 0x50, v0
	s_and_saveexec_b32 s0, vcc_lo
	s_cbranch_execz .LBB403_33
; %bb.32:
	ds_load_2addr_stride64_b64 v[4:7], v3 offset1:5
	s_waitcnt lgkmcnt(0)
	v_dual_add_f32 v4, v6, v4 :: v_dual_add_f32 v5, v7, v5
	ds_store_b64 v3, v[4:5]
.LBB403_33:
	s_or_b32 exec_lo, exec_lo, s0
	s_delay_alu instid0(SALU_CYCLE_1)
	s_mov_b32 s2, exec_lo
	s_waitcnt lgkmcnt(0)
	s_barrier
	buffer_gl0_inv
	v_cmpx_gt_u32_e32 0xa0, v0
	s_cbranch_execz .LBB403_35
; %bb.34:
	ds_load_2addr_b64 v[4:7], v3 offset1:160
	s_waitcnt lgkmcnt(0)
	v_dual_add_f32 v4, v6, v4 :: v_dual_add_f32 v5, v7, v5
	ds_store_b64 v3, v[4:5]
.LBB403_35:
	s_or_b32 exec_lo, exec_lo, s2
	s_waitcnt lgkmcnt(0)
	s_barrier
	buffer_gl0_inv
	s_and_saveexec_b32 s0, vcc_lo
	s_cbranch_execz .LBB403_37
; %bb.36:
	ds_load_2addr_b64 v[4:7], v3 offset1:80
	s_waitcnt lgkmcnt(0)
	v_dual_add_f32 v4, v6, v4 :: v_dual_add_f32 v5, v7, v5
	ds_store_b64 v3, v[4:5]
.LBB403_37:
	s_or_b32 exec_lo, exec_lo, s0
	s_delay_alu instid0(SALU_CYCLE_1)
	s_mov_b32 s0, exec_lo
	s_waitcnt lgkmcnt(0)
	s_barrier
	buffer_gl0_inv
	v_cmpx_gt_u32_e32 40, v0
	s_cbranch_execz .LBB403_39
; %bb.38:
	ds_load_2addr_b64 v[4:7], v3 offset1:40
	s_waitcnt lgkmcnt(0)
	v_dual_add_f32 v4, v6, v4 :: v_dual_add_f32 v5, v7, v5
	ds_store_b64 v3, v[4:5]
.LBB403_39:
	s_or_b32 exec_lo, exec_lo, s0
	s_delay_alu instid0(SALU_CYCLE_1)
	s_mov_b32 s0, exec_lo
	s_waitcnt lgkmcnt(0)
	buffer_gl0_inv
                                        ; implicit-def: $vgpr4
	v_cmpx_gt_u32_e32 20, v0
; %bb.40:
	v_add_nc_u32_e32 v4, 20, v0
	s_or_b32 s1, s1, exec_lo
                                        ; implicit-def: $vgpr2
; %bb.41:
	s_or_b32 exec_lo, exec_lo, s0
	v_mov_b32_e32 v5, v3
.LBB403_42:
	s_and_saveexec_b32 s0, s1
	s_cbranch_execnz .LBB403_45
; %bb.43:
	s_or_b32 exec_lo, exec_lo, s0
	v_cmp_gt_u32_e32 vcc_lo, 20, v0
	s_and_b32 exec_lo, exec_lo, vcc_lo
	s_cbranch_execnz .LBB403_46
.LBB403_44:
	s_nop 0
	s_sendmsg sendmsg(MSG_DEALLOC_VGPRS)
	s_endpgm
.LBB403_45:
	v_lshlrev_b32_e32 v3, 3, v4
	ds_load_2addr_b32 v[1:2], v5 offset1:1
	ds_load_b64 v[3:4], v3
	s_waitcnt lgkmcnt(0)
	v_dual_add_f32 v2, v4, v2 :: v_dual_add_f32 v1, v3, v1
	s_or_b32 exec_lo, exec_lo, s0
	v_cmp_gt_u32_e32 vcc_lo, 20, v0
	s_and_b32 exec_lo, exec_lo, vcc_lo
	s_cbranch_execz .LBB403_44
.LBB403_46:
	v_mul_f32_e64 v3, v2, -v11
	v_mul_f32_e32 v4, v2, v10
	v_cmp_eq_f32_e32 vcc_lo, 0, v8
	v_cmp_eq_f32_e64 s0, 0, v9
	s_delay_alu instid0(VALU_DEP_4) | instskip(NEXT) | instid1(VALU_DEP_4)
	v_fmac_f32_e32 v3, v10, v1
	v_fmac_f32_e32 v4, v11, v1
	s_delay_alu instid0(VALU_DEP_3) | instskip(NEXT) | instid1(SALU_CYCLE_1)
	s_and_b32 s0, vcc_lo, s0
	s_and_saveexec_b32 s1, s0
	s_delay_alu instid0(SALU_CYCLE_1)
	s_xor_b32 s0, exec_lo, s1
	s_cbranch_execz .LBB403_48
; %bb.47:
	v_mad_u64_u32 v[1:2], null, s8, 20, v[0:1]
	v_mov_b32_e32 v2, 0
                                        ; implicit-def: $vgpr8
                                        ; implicit-def: $vgpr9
	s_delay_alu instid0(VALU_DEP_1) | instskip(NEXT) | instid1(VALU_DEP_1)
	v_lshlrev_b64 v[0:1], 3, v[1:2]
	v_add_co_u32 v0, vcc_lo, s10, v0
	s_delay_alu instid0(VALU_DEP_2)
	v_add_co_ci_u32_e32 v1, vcc_lo, s11, v1, vcc_lo
	global_store_b64 v[0:1], v[3:4], off
                                        ; implicit-def: $vgpr0
                                        ; implicit-def: $vgpr3
.LBB403_48:
	s_and_not1_saveexec_b32 s0, s0
	s_cbranch_execz .LBB403_44
; %bb.49:
	v_mad_u64_u32 v[1:2], null, s8, 20, v[0:1]
	v_mov_b32_e32 v2, 0
	s_delay_alu instid0(VALU_DEP_1) | instskip(NEXT) | instid1(VALU_DEP_1)
	v_lshlrev_b64 v[0:1], 3, v[1:2]
	v_add_co_u32 v0, vcc_lo, s10, v0
	s_delay_alu instid0(VALU_DEP_2) | instskip(SKIP_4) | instid1(VALU_DEP_2)
	v_add_co_ci_u32_e32 v1, vcc_lo, s11, v1, vcc_lo
	global_load_b64 v[5:6], v[0:1], off
	s_waitcnt vmcnt(0)
	v_fmac_f32_e32 v3, v8, v5
	v_fmac_f32_e32 v4, v9, v5
	v_fma_f32 v3, -v9, v6, v3
	s_delay_alu instid0(VALU_DEP_2)
	v_fmac_f32_e32 v4, v8, v6
	global_store_b64 v[0:1], v[3:4], off
	s_nop 0
	s_sendmsg sendmsg(MSG_DEALLOC_VGPRS)
	s_endpgm
	.section	.rodata,"a",@progbits
	.p2align	6, 0x0
	.amdhsa_kernel _ZN9rocsparseL20bsrxmvn_17_32_kernelILj20E21rocsparse_complex_numIfElifS2_S2_EEvT2_20rocsparse_direction_NS_24const_host_device_scalarIT0_EES3_PKS3_PKT1_SC_S9_PKT3_PKT4_S7_PT5_21rocsparse_index_base_b
		.amdhsa_group_segment_fixed_size 3200
		.amdhsa_private_segment_fixed_size 0
		.amdhsa_kernarg_size 96
		.amdhsa_user_sgpr_count 15
		.amdhsa_user_sgpr_dispatch_ptr 0
		.amdhsa_user_sgpr_queue_ptr 0
		.amdhsa_user_sgpr_kernarg_segment_ptr 1
		.amdhsa_user_sgpr_dispatch_id 0
		.amdhsa_user_sgpr_private_segment_size 0
		.amdhsa_wavefront_size32 1
		.amdhsa_uses_dynamic_stack 0
		.amdhsa_enable_private_segment 0
		.amdhsa_system_sgpr_workgroup_id_x 1
		.amdhsa_system_sgpr_workgroup_id_y 0
		.amdhsa_system_sgpr_workgroup_id_z 0
		.amdhsa_system_sgpr_workgroup_info 0
		.amdhsa_system_vgpr_workitem_id 0
		.amdhsa_next_free_vgpr 17
		.amdhsa_next_free_sgpr 21
		.amdhsa_reserve_vcc 1
		.amdhsa_float_round_mode_32 0
		.amdhsa_float_round_mode_16_64 0
		.amdhsa_float_denorm_mode_32 3
		.amdhsa_float_denorm_mode_16_64 3
		.amdhsa_dx10_clamp 1
		.amdhsa_ieee_mode 1
		.amdhsa_fp16_overflow 0
		.amdhsa_workgroup_processor_mode 1
		.amdhsa_memory_ordered 1
		.amdhsa_forward_progress 0
		.amdhsa_shared_vgpr_count 0
		.amdhsa_exception_fp_ieee_invalid_op 0
		.amdhsa_exception_fp_denorm_src 0
		.amdhsa_exception_fp_ieee_div_zero 0
		.amdhsa_exception_fp_ieee_overflow 0
		.amdhsa_exception_fp_ieee_underflow 0
		.amdhsa_exception_fp_ieee_inexact 0
		.amdhsa_exception_int_div_zero 0
	.end_amdhsa_kernel
	.section	.text._ZN9rocsparseL20bsrxmvn_17_32_kernelILj20E21rocsparse_complex_numIfElifS2_S2_EEvT2_20rocsparse_direction_NS_24const_host_device_scalarIT0_EES3_PKS3_PKT1_SC_S9_PKT3_PKT4_S7_PT5_21rocsparse_index_base_b,"axG",@progbits,_ZN9rocsparseL20bsrxmvn_17_32_kernelILj20E21rocsparse_complex_numIfElifS2_S2_EEvT2_20rocsparse_direction_NS_24const_host_device_scalarIT0_EES3_PKS3_PKT1_SC_S9_PKT3_PKT4_S7_PT5_21rocsparse_index_base_b,comdat
.Lfunc_end403:
	.size	_ZN9rocsparseL20bsrxmvn_17_32_kernelILj20E21rocsparse_complex_numIfElifS2_S2_EEvT2_20rocsparse_direction_NS_24const_host_device_scalarIT0_EES3_PKS3_PKT1_SC_S9_PKT3_PKT4_S7_PT5_21rocsparse_index_base_b, .Lfunc_end403-_ZN9rocsparseL20bsrxmvn_17_32_kernelILj20E21rocsparse_complex_numIfElifS2_S2_EEvT2_20rocsparse_direction_NS_24const_host_device_scalarIT0_EES3_PKS3_PKT1_SC_S9_PKT3_PKT4_S7_PT5_21rocsparse_index_base_b
                                        ; -- End function
	.section	.AMDGPU.csdata,"",@progbits
; Kernel info:
; codeLenInByte = 1908
; NumSgprs: 23
; NumVgprs: 17
; ScratchSize: 0
; MemoryBound: 0
; FloatMode: 240
; IeeeMode: 1
; LDSByteSize: 3200 bytes/workgroup (compile time only)
; SGPRBlocks: 2
; VGPRBlocks: 2
; NumSGPRsForWavesPerEU: 23
; NumVGPRsForWavesPerEU: 17
; Occupancy: 13
; WaveLimiterHint : 1
; COMPUTE_PGM_RSRC2:SCRATCH_EN: 0
; COMPUTE_PGM_RSRC2:USER_SGPR: 15
; COMPUTE_PGM_RSRC2:TRAP_HANDLER: 0
; COMPUTE_PGM_RSRC2:TGID_X_EN: 1
; COMPUTE_PGM_RSRC2:TGID_Y_EN: 0
; COMPUTE_PGM_RSRC2:TGID_Z_EN: 0
; COMPUTE_PGM_RSRC2:TIDIG_COMP_CNT: 0
	.section	.text._ZN9rocsparseL20bsrxmvn_17_32_kernelILj21E21rocsparse_complex_numIfElifS2_S2_EEvT2_20rocsparse_direction_NS_24const_host_device_scalarIT0_EES3_PKS3_PKT1_SC_S9_PKT3_PKT4_S7_PT5_21rocsparse_index_base_b,"axG",@progbits,_ZN9rocsparseL20bsrxmvn_17_32_kernelILj21E21rocsparse_complex_numIfElifS2_S2_EEvT2_20rocsparse_direction_NS_24const_host_device_scalarIT0_EES3_PKS3_PKT1_SC_S9_PKT3_PKT4_S7_PT5_21rocsparse_index_base_b,comdat
	.globl	_ZN9rocsparseL20bsrxmvn_17_32_kernelILj21E21rocsparse_complex_numIfElifS2_S2_EEvT2_20rocsparse_direction_NS_24const_host_device_scalarIT0_EES3_PKS3_PKT1_SC_S9_PKT3_PKT4_S7_PT5_21rocsparse_index_base_b ; -- Begin function _ZN9rocsparseL20bsrxmvn_17_32_kernelILj21E21rocsparse_complex_numIfElifS2_S2_EEvT2_20rocsparse_direction_NS_24const_host_device_scalarIT0_EES3_PKS3_PKT1_SC_S9_PKT3_PKT4_S7_PT5_21rocsparse_index_base_b
	.p2align	8
	.type	_ZN9rocsparseL20bsrxmvn_17_32_kernelILj21E21rocsparse_complex_numIfElifS2_S2_EEvT2_20rocsparse_direction_NS_24const_host_device_scalarIT0_EES3_PKS3_PKT1_SC_S9_PKT3_PKT4_S7_PT5_21rocsparse_index_base_b,@function
_ZN9rocsparseL20bsrxmvn_17_32_kernelILj21E21rocsparse_complex_numIfElifS2_S2_EEvT2_20rocsparse_direction_NS_24const_host_device_scalarIT0_EES3_PKS3_PKT1_SC_S9_PKT3_PKT4_S7_PT5_21rocsparse_index_base_b: ; @_ZN9rocsparseL20bsrxmvn_17_32_kernelILj21E21rocsparse_complex_numIfElifS2_S2_EEvT2_20rocsparse_direction_NS_24const_host_device_scalarIT0_EES3_PKS3_PKT1_SC_S9_PKT3_PKT4_S7_PT5_21rocsparse_index_base_b
; %bb.0:
	s_clause 0x2
	s_load_b64 s[12:13], s[0:1], 0x58
	s_load_b64 s[4:5], s[0:1], 0x8
	;; [unrolled: 1-line block ×3, first 2 shown]
	s_mov_b32 s8, s15
	s_waitcnt lgkmcnt(0)
	s_bitcmp1_b32 s13, 0
	v_mov_b32_e32 v10, s4
	s_cselect_b32 s6, -1, 0
	s_delay_alu instid0(SALU_CYCLE_1)
	s_and_b32 vcc_lo, exec_lo, s6
	s_xor_b32 s6, s6, -1
	s_cbranch_vccz .LBB404_15
; %bb.1:
	v_cndmask_b32_e64 v1, 0, 1, s6
	v_mov_b32_e32 v11, s5
	s_and_not1_b32 vcc_lo, exec_lo, s6
	s_cbranch_vccz .LBB404_16
.LBB404_2:
	s_delay_alu instid0(VALU_DEP_2)
	v_cmp_ne_u32_e32 vcc_lo, 1, v1
	v_mov_b32_e32 v8, s2
	s_cbranch_vccz .LBB404_17
.LBB404_3:
	v_cmp_ne_u32_e32 vcc_lo, 1, v1
	v_mov_b32_e32 v9, s3
	s_cbranch_vccnz .LBB404_5
.LBB404_4:
	v_dual_mov_b32 v1, s2 :: v_dual_mov_b32 v2, s3
	flat_load_b32 v9, v[1:2] offset:4
.LBB404_5:
	s_waitcnt vmcnt(0) lgkmcnt(0)
	v_cmp_eq_f32_e32 vcc_lo, 0, v10
	v_cmp_eq_f32_e64 s2, 0, v11
	s_delay_alu instid0(VALU_DEP_1)
	s_and_b32 s4, vcc_lo, s2
	s_mov_b32 s2, -1
	s_and_saveexec_b32 s3, s4
; %bb.6:
	v_cmp_neq_f32_e32 vcc_lo, 1.0, v8
	v_cmp_neq_f32_e64 s2, 0, v9
	s_delay_alu instid0(VALU_DEP_1) | instskip(NEXT) | instid1(SALU_CYCLE_1)
	s_or_b32 s2, vcc_lo, s2
	s_or_not1_b32 s2, s2, exec_lo
; %bb.7:
	s_or_b32 exec_lo, exec_lo, s3
	s_and_saveexec_b32 s3, s2
	s_cbranch_execz .LBB404_44
; %bb.8:
	s_clause 0x1
	s_load_b128 s[4:7], s[0:1], 0x18
	s_load_b64 s[10:11], s[0:1], 0x28
	s_waitcnt lgkmcnt(0)
	s_cmp_eq_u64 s[4:5], 0
	s_cbranch_scc1 .LBB404_10
; %bb.9:
	s_ashr_i32 s9, s8, 31
	s_delay_alu instid0(SALU_CYCLE_1) | instskip(NEXT) | instid1(SALU_CYCLE_1)
	s_lshl_b64 s[2:3], s[8:9], 2
	s_add_u32 s2, s4, s2
	s_addc_u32 s3, s5, s3
	s_load_b32 s2, s[2:3], 0x0
	s_waitcnt lgkmcnt(0)
	s_sub_i32 s8, s2, s12
.LBB404_10:
	s_load_b32 s3, s[0:1], 0x4
	v_mul_u32_u24_e32 v1, 0xc31, v0
	v_mov_b32_e32 v2, 0
	s_delay_alu instid0(VALU_DEP_2) | instskip(NEXT) | instid1(VALU_DEP_1)
	v_lshrrev_b32_e32 v3, 16, v1
	v_mul_lo_u16 v1, v3, 21
	s_delay_alu instid0(VALU_DEP_1)
	v_sub_nc_u16 v12, v0, v1
	v_mov_b32_e32 v1, 0
	s_waitcnt lgkmcnt(0)
	s_cmp_eq_u32 s3, 1
	s_cselect_b32 s2, -1, 0
	s_cmp_lg_u32 s3, 1
	s_cselect_b32 s3, -1, 0
	s_ashr_i32 s9, s8, 31
	s_delay_alu instid0(SALU_CYCLE_1) | instskip(NEXT) | instid1(SALU_CYCLE_1)
	s_lshl_b64 s[4:5], s[8:9], 3
	s_add_u32 s6, s6, s4
	s_addc_u32 s7, s7, s5
	s_add_u32 s9, s6, 8
	s_addc_u32 s13, s7, 0
	;; [unrolled: 2-line block ×3, first 2 shown]
	s_cmp_eq_u64 s[10:11], 0
	s_load_b64 s[10:11], s[0:1], 0x50
	s_cselect_b32 s5, s13, s5
	s_cselect_b32 s4, s9, s4
	s_load_b64 s[18:19], s[6:7], 0x0
	s_load_b64 s[14:15], s[4:5], 0x0
	s_waitcnt lgkmcnt(0)
	v_cmp_ge_i64_e64 s4, s[18:19], s[14:15]
	s_delay_alu instid0(VALU_DEP_1)
	s_and_b32 vcc_lo, exec_lo, s4
	s_cbranch_vccnz .LBB404_18
; %bb.11:
	v_mul_lo_u16 v1, v3, 25
	v_and_b32_e32 v2, 0xffff, v0
	s_sub_u32 s14, s14, s12
	s_subb_u32 s15, s15, 0
	s_sub_u32 s16, s18, s12
	v_lshrrev_b16 v1, 9, v1
	v_mul_u32_u24_e32 v2, 0x253, v2
	s_subb_u32 s17, s19, 0
	s_clause 0x1
	s_load_b128 s[4:7], s[0:1], 0x30
	s_load_b64 s[0:1], s[0:1], 0x40
	s_mul_hi_u32 s9, s16, 0x6e4
	v_mul_lo_u16 v1, v1, 21
	v_lshrrev_b32_e32 v13, 18, v2
	s_mul_i32 s13, s17, 0x6e4
	v_and_b32_e32 v4, 0xffff, v12
	s_add_i32 s9, s9, s13
	v_sub_nc_u16 v1, v3, v1
	v_add_co_u32 v2, s13, s18, v13
	s_delay_alu instid0(VALU_DEP_1) | instskip(NEXT) | instid1(VALU_DEP_3)
	v_add_co_ci_u32_e64 v5, null, s19, 0, s13
	v_and_b32_e32 v1, 0xff, v1
	s_mul_i32 s20, s16, 0x6e4
	s_delay_alu instid0(VALU_DEP_1)
	v_cndmask_b32_e64 v3, v4, v1, s2
	v_sub_co_u32 v4, vcc_lo, v2, s12
	v_mov_b32_e32 v2, 0
	v_subrev_co_ci_u32_e32 v5, vcc_lo, 0, v5, vcc_lo
	v_lshlrev_b32_e32 v1, 2, v0
	s_waitcnt lgkmcnt(0)
	s_add_u32 s2, s6, s20
	s_addc_u32 s6, s7, s9
	v_lshlrev_b64 v[6:7], 2, v[4:5]
	v_add_co_u32 v4, s2, s2, v1
	s_delay_alu instid0(VALU_DEP_1) | instskip(NEXT) | instid1(VALU_DEP_3)
	v_add_co_ci_u32_e64 v5, null, s6, 0, s2
	v_add_co_u32 v6, vcc_lo, s4, v6
	s_delay_alu instid0(VALU_DEP_4)
	v_add_co_ci_u32_e32 v7, vcc_lo, s5, v7, vcc_lo
	v_mov_b32_e32 v1, v2
	s_set_inst_prefetch_distance 0x1
	s_branch .LBB404_13
	.p2align	6
.LBB404_12:                             ;   in Loop: Header=BB404_13 Depth=1
	s_or_b32 exec_lo, exec_lo, s2
	s_add_u32 s16, s16, 1
	s_addc_u32 s17, s17, 0
	v_add_co_u32 v6, vcc_lo, v6, 4
	v_cmp_lt_i64_e64 s2, s[16:17], s[14:15]
	v_add_co_ci_u32_e32 v7, vcc_lo, 0, v7, vcc_lo
	s_delay_alu instid0(VALU_DEP_2)
	s_and_b32 vcc_lo, exec_lo, s2
	s_cbranch_vccz .LBB404_18
.LBB404_13:                             ; =>This Inner Loop Header: Depth=1
	v_add_co_u32 v14, s2, v13, s16
	s_delay_alu instid0(VALU_DEP_1) | instskip(SKIP_1) | instid1(VALU_DEP_1)
	v_add_co_ci_u32_e64 v15, null, 0, s17, s2
	s_mov_b32 s2, exec_lo
	v_cmpx_gt_i64_e64 s[14:15], v[14:15]
	s_cbranch_execz .LBB404_12
; %bb.14:                               ;   in Loop: Header=BB404_13 Depth=1
	global_load_b32 v14, v[6:7], off
	s_waitcnt vmcnt(0)
	v_subrev_nc_u32_e32 v16, s12, v14
	s_delay_alu instid0(VALU_DEP_1) | instskip(NEXT) | instid1(VALU_DEP_1)
	v_mad_u64_u32 v[14:15], null, v16, 21, v[3:4]
	v_ashrrev_i32_e32 v15, 31, v14
	s_delay_alu instid0(VALU_DEP_1) | instskip(NEXT) | instid1(VALU_DEP_1)
	v_lshlrev_b64 v[14:15], 3, v[14:15]
	v_add_co_u32 v14, vcc_lo, s0, v14
	s_delay_alu instid0(VALU_DEP_2)
	v_add_co_ci_u32_e32 v15, vcc_lo, s1, v15, vcc_lo
	global_load_b32 v16, v[4:5], off
	global_load_b64 v[14:15], v[14:15], off
	v_add_co_u32 v4, vcc_lo, 0x6e4, v4
	v_add_co_ci_u32_e32 v5, vcc_lo, 0, v5, vcc_lo
	s_waitcnt vmcnt(0)
	v_fmac_f32_e32 v1, v16, v14
	s_delay_alu instid0(VALU_DEP_1) | instskip(NEXT) | instid1(VALU_DEP_1)
	v_dual_fmac_f32 v2, 0, v14 :: v_dual_fmac_f32 v1, 0x80000000, v15
	v_fmac_f32_e32 v2, v16, v15
	s_branch .LBB404_12
.LBB404_15:
	v_dual_mov_b32 v1, s4 :: v_dual_mov_b32 v2, s5
	flat_load_b32 v10, v[1:2]
	v_cndmask_b32_e64 v1, 0, 1, s6
	v_mov_b32_e32 v11, s5
	s_and_not1_b32 vcc_lo, exec_lo, s6
	s_cbranch_vccnz .LBB404_2
.LBB404_16:
	v_dual_mov_b32 v2, s4 :: v_dual_mov_b32 v3, s5
	flat_load_b32 v11, v[2:3] offset:4
	v_cmp_ne_u32_e32 vcc_lo, 1, v1
	v_mov_b32_e32 v8, s2
	s_cbranch_vccnz .LBB404_3
.LBB404_17:
	v_dual_mov_b32 v2, s2 :: v_dual_mov_b32 v3, s3
	flat_load_b32 v8, v[2:3]
	v_cmp_ne_u32_e32 vcc_lo, 1, v1
	v_mov_b32_e32 v9, s3
	s_cbranch_vccz .LBB404_4
	s_branch .LBB404_5
.LBB404_18:
	s_set_inst_prefetch_distance 0x2
	v_lshlrev_b32_e32 v3, 3, v0
	s_and_b32 vcc_lo, exec_lo, s3
	ds_store_b64 v3, v[1:2]
	s_waitcnt lgkmcnt(0)
	s_barrier
	buffer_gl0_inv
	s_cbranch_vccz .LBB404_30
; %bb.19:
	s_mov_b32 s0, exec_lo
	v_cmpx_gt_u16_e32 5, v12
	s_cbranch_execz .LBB404_21
; %bb.20:
	ds_load_2addr_b64 v[4:7], v3 offset1:16
	s_waitcnt lgkmcnt(0)
	v_dual_add_f32 v4, v6, v4 :: v_dual_add_f32 v5, v7, v5
	ds_store_b64 v3, v[4:5]
.LBB404_21:
	s_or_b32 exec_lo, exec_lo, s0
	s_delay_alu instid0(SALU_CYCLE_1)
	s_mov_b32 s0, exec_lo
	s_waitcnt lgkmcnt(0)
	s_barrier
	buffer_gl0_inv
	v_cmpx_gt_u16_e32 8, v12
	s_cbranch_execz .LBB404_23
; %bb.22:
	ds_load_2addr_b64 v[4:7], v3 offset1:8
	s_waitcnt lgkmcnt(0)
	v_dual_add_f32 v4, v6, v4 :: v_dual_add_f32 v5, v7, v5
	ds_store_b64 v3, v[4:5]
.LBB404_23:
	s_or_b32 exec_lo, exec_lo, s0
	s_delay_alu instid0(SALU_CYCLE_1)
	s_mov_b32 s0, exec_lo
	s_waitcnt lgkmcnt(0)
	s_barrier
	buffer_gl0_inv
	;; [unrolled: 14-line block ×3, first 2 shown]
	v_cmpx_gt_u16_e32 2, v12
	s_cbranch_execz .LBB404_27
; %bb.26:
	ds_load_2addr_b64 v[4:7], v3 offset1:2
	s_waitcnt lgkmcnt(0)
	v_dual_add_f32 v4, v6, v4 :: v_dual_add_f32 v5, v7, v5
	ds_store_b64 v3, v[4:5]
.LBB404_27:
	s_or_b32 exec_lo, exec_lo, s0
	s_mov_b32 s1, 0
	s_mov_b32 s0, 0
	s_mov_b32 s2, exec_lo
	s_waitcnt lgkmcnt(0)
	s_barrier
	buffer_gl0_inv
                                        ; implicit-def: $vgpr5
                                        ; implicit-def: $vgpr4
	v_cmpx_gt_u32_e32 21, v0
	s_xor_b32 s2, exec_lo, s2
; %bb.28:
	v_mul_u32_u24_e32 v4, 21, v0
	s_mov_b32 s0, exec_lo
	s_delay_alu instid0(VALU_DEP_1)
	v_lshlrev_b32_e32 v5, 3, v4
	v_mad_u32_u24 v4, v0, 21, 1
; %bb.29:
	s_or_b32 exec_lo, exec_lo, s2
	s_delay_alu instid0(SALU_CYCLE_1)
	s_and_b32 vcc_lo, exec_lo, s1
	s_cbranch_vccnz .LBB404_31
	s_branch .LBB404_42
.LBB404_30:
	s_mov_b32 s0, 0
                                        ; implicit-def: $vgpr5
                                        ; implicit-def: $vgpr4
	s_cbranch_execz .LBB404_42
.LBB404_31:
	s_mov_b32 s1, exec_lo
	v_cmpx_gt_u32_e32 0x69, v0
	s_cbranch_execz .LBB404_33
; %bb.32:
	ds_load_b64 v[4:5], v3 offset:2688
	ds_load_b64 v[6:7], v3
	s_waitcnt lgkmcnt(0)
	v_dual_add_f32 v4, v4, v6 :: v_dual_add_f32 v5, v5, v7
	ds_store_b64 v3, v[4:5]
.LBB404_33:
	s_or_b32 exec_lo, exec_lo, s1
	s_delay_alu instid0(SALU_CYCLE_1)
	s_mov_b32 s1, exec_lo
	s_waitcnt lgkmcnt(0)
	s_barrier
	buffer_gl0_inv
	v_cmpx_gt_u32_e32 0xa8, v0
	s_cbranch_execz .LBB404_35
; %bb.34:
	ds_load_2addr_b64 v[4:7], v3 offset1:168
	s_waitcnt lgkmcnt(0)
	v_dual_add_f32 v4, v6, v4 :: v_dual_add_f32 v5, v7, v5
	ds_store_b64 v3, v[4:5]
.LBB404_35:
	s_or_b32 exec_lo, exec_lo, s1
	s_delay_alu instid0(SALU_CYCLE_1)
	s_mov_b32 s1, exec_lo
	s_waitcnt lgkmcnt(0)
	s_barrier
	buffer_gl0_inv
	v_cmpx_gt_u32_e32 0x54, v0
	s_cbranch_execz .LBB404_37
; %bb.36:
	ds_load_2addr_b64 v[4:7], v3 offset1:84
	s_waitcnt lgkmcnt(0)
	v_dual_add_f32 v4, v6, v4 :: v_dual_add_f32 v5, v7, v5
	ds_store_b64 v3, v[4:5]
.LBB404_37:
	;; [unrolled: 14-line block ×3, first 2 shown]
	s_or_b32 exec_lo, exec_lo, s1
	s_delay_alu instid0(SALU_CYCLE_1)
	s_mov_b32 s1, exec_lo
	s_waitcnt lgkmcnt(0)
	buffer_gl0_inv
                                        ; implicit-def: $vgpr4
	v_cmpx_gt_u32_e32 21, v0
; %bb.40:
	v_add_nc_u32_e32 v4, 21, v0
	s_or_b32 s0, s0, exec_lo
                                        ; implicit-def: $vgpr2
; %bb.41:
	s_or_b32 exec_lo, exec_lo, s1
	v_mov_b32_e32 v5, v3
.LBB404_42:
	s_and_saveexec_b32 s1, s0
	s_cbranch_execnz .LBB404_45
; %bb.43:
	s_or_b32 exec_lo, exec_lo, s1
	v_cmp_gt_u32_e32 vcc_lo, 21, v0
	s_and_b32 exec_lo, exec_lo, vcc_lo
	s_cbranch_execnz .LBB404_46
.LBB404_44:
	s_nop 0
	s_sendmsg sendmsg(MSG_DEALLOC_VGPRS)
	s_endpgm
.LBB404_45:
	v_lshlrev_b32_e32 v3, 3, v4
	ds_load_2addr_b32 v[1:2], v5 offset1:1
	ds_load_b64 v[3:4], v3
	s_waitcnt lgkmcnt(0)
	v_dual_add_f32 v2, v4, v2 :: v_dual_add_f32 v1, v3, v1
	s_or_b32 exec_lo, exec_lo, s1
	v_cmp_gt_u32_e32 vcc_lo, 21, v0
	s_and_b32 exec_lo, exec_lo, vcc_lo
	s_cbranch_execz .LBB404_44
.LBB404_46:
	v_mul_f32_e64 v3, v2, -v11
	v_mul_f32_e32 v4, v2, v10
	v_cmp_eq_f32_e32 vcc_lo, 0, v8
	v_cmp_eq_f32_e64 s0, 0, v9
	s_delay_alu instid0(VALU_DEP_4) | instskip(NEXT) | instid1(VALU_DEP_4)
	v_fmac_f32_e32 v3, v10, v1
	v_fmac_f32_e32 v4, v11, v1
	s_delay_alu instid0(VALU_DEP_3) | instskip(NEXT) | instid1(SALU_CYCLE_1)
	s_and_b32 s0, vcc_lo, s0
	s_and_saveexec_b32 s1, s0
	s_delay_alu instid0(SALU_CYCLE_1)
	s_xor_b32 s0, exec_lo, s1
	s_cbranch_execz .LBB404_48
; %bb.47:
	v_mad_u64_u32 v[1:2], null, s8, 21, v[0:1]
	v_mov_b32_e32 v2, 0
                                        ; implicit-def: $vgpr8
                                        ; implicit-def: $vgpr9
	s_delay_alu instid0(VALU_DEP_1) | instskip(NEXT) | instid1(VALU_DEP_1)
	v_lshlrev_b64 v[0:1], 3, v[1:2]
	v_add_co_u32 v0, vcc_lo, s10, v0
	s_delay_alu instid0(VALU_DEP_2)
	v_add_co_ci_u32_e32 v1, vcc_lo, s11, v1, vcc_lo
	global_store_b64 v[0:1], v[3:4], off
                                        ; implicit-def: $vgpr0
                                        ; implicit-def: $vgpr3
.LBB404_48:
	s_and_not1_saveexec_b32 s0, s0
	s_cbranch_execz .LBB404_44
; %bb.49:
	v_mad_u64_u32 v[1:2], null, s8, 21, v[0:1]
	v_mov_b32_e32 v2, 0
	s_delay_alu instid0(VALU_DEP_1) | instskip(NEXT) | instid1(VALU_DEP_1)
	v_lshlrev_b64 v[0:1], 3, v[1:2]
	v_add_co_u32 v0, vcc_lo, s10, v0
	s_delay_alu instid0(VALU_DEP_2) | instskip(SKIP_4) | instid1(VALU_DEP_2)
	v_add_co_ci_u32_e32 v1, vcc_lo, s11, v1, vcc_lo
	global_load_b64 v[5:6], v[0:1], off
	s_waitcnt vmcnt(0)
	v_fmac_f32_e32 v3, v8, v5
	v_fmac_f32_e32 v4, v9, v5
	v_fma_f32 v3, -v9, v6, v3
	s_delay_alu instid0(VALU_DEP_2)
	v_fmac_f32_e32 v4, v8, v6
	global_store_b64 v[0:1], v[3:4], off
	s_nop 0
	s_sendmsg sendmsg(MSG_DEALLOC_VGPRS)
	s_endpgm
	.section	.rodata,"a",@progbits
	.p2align	6, 0x0
	.amdhsa_kernel _ZN9rocsparseL20bsrxmvn_17_32_kernelILj21E21rocsparse_complex_numIfElifS2_S2_EEvT2_20rocsparse_direction_NS_24const_host_device_scalarIT0_EES3_PKS3_PKT1_SC_S9_PKT3_PKT4_S7_PT5_21rocsparse_index_base_b
		.amdhsa_group_segment_fixed_size 3528
		.amdhsa_private_segment_fixed_size 0
		.amdhsa_kernarg_size 96
		.amdhsa_user_sgpr_count 15
		.amdhsa_user_sgpr_dispatch_ptr 0
		.amdhsa_user_sgpr_queue_ptr 0
		.amdhsa_user_sgpr_kernarg_segment_ptr 1
		.amdhsa_user_sgpr_dispatch_id 0
		.amdhsa_user_sgpr_private_segment_size 0
		.amdhsa_wavefront_size32 1
		.amdhsa_uses_dynamic_stack 0
		.amdhsa_enable_private_segment 0
		.amdhsa_system_sgpr_workgroup_id_x 1
		.amdhsa_system_sgpr_workgroup_id_y 0
		.amdhsa_system_sgpr_workgroup_id_z 0
		.amdhsa_system_sgpr_workgroup_info 0
		.amdhsa_system_vgpr_workitem_id 0
		.amdhsa_next_free_vgpr 17
		.amdhsa_next_free_sgpr 21
		.amdhsa_reserve_vcc 1
		.amdhsa_float_round_mode_32 0
		.amdhsa_float_round_mode_16_64 0
		.amdhsa_float_denorm_mode_32 3
		.amdhsa_float_denorm_mode_16_64 3
		.amdhsa_dx10_clamp 1
		.amdhsa_ieee_mode 1
		.amdhsa_fp16_overflow 0
		.amdhsa_workgroup_processor_mode 1
		.amdhsa_memory_ordered 1
		.amdhsa_forward_progress 0
		.amdhsa_shared_vgpr_count 0
		.amdhsa_exception_fp_ieee_invalid_op 0
		.amdhsa_exception_fp_denorm_src 0
		.amdhsa_exception_fp_ieee_div_zero 0
		.amdhsa_exception_fp_ieee_overflow 0
		.amdhsa_exception_fp_ieee_underflow 0
		.amdhsa_exception_fp_ieee_inexact 0
		.amdhsa_exception_int_div_zero 0
	.end_amdhsa_kernel
	.section	.text._ZN9rocsparseL20bsrxmvn_17_32_kernelILj21E21rocsparse_complex_numIfElifS2_S2_EEvT2_20rocsparse_direction_NS_24const_host_device_scalarIT0_EES3_PKS3_PKT1_SC_S9_PKT3_PKT4_S7_PT5_21rocsparse_index_base_b,"axG",@progbits,_ZN9rocsparseL20bsrxmvn_17_32_kernelILj21E21rocsparse_complex_numIfElifS2_S2_EEvT2_20rocsparse_direction_NS_24const_host_device_scalarIT0_EES3_PKS3_PKT1_SC_S9_PKT3_PKT4_S7_PT5_21rocsparse_index_base_b,comdat
.Lfunc_end404:
	.size	_ZN9rocsparseL20bsrxmvn_17_32_kernelILj21E21rocsparse_complex_numIfElifS2_S2_EEvT2_20rocsparse_direction_NS_24const_host_device_scalarIT0_EES3_PKS3_PKT1_SC_S9_PKT3_PKT4_S7_PT5_21rocsparse_index_base_b, .Lfunc_end404-_ZN9rocsparseL20bsrxmvn_17_32_kernelILj21E21rocsparse_complex_numIfElifS2_S2_EEvT2_20rocsparse_direction_NS_24const_host_device_scalarIT0_EES3_PKS3_PKT1_SC_S9_PKT3_PKT4_S7_PT5_21rocsparse_index_base_b
                                        ; -- End function
	.section	.AMDGPU.csdata,"",@progbits
; Kernel info:
; codeLenInByte = 1940
; NumSgprs: 23
; NumVgprs: 17
; ScratchSize: 0
; MemoryBound: 0
; FloatMode: 240
; IeeeMode: 1
; LDSByteSize: 3528 bytes/workgroup (compile time only)
; SGPRBlocks: 2
; VGPRBlocks: 2
; NumSGPRsForWavesPerEU: 23
; NumVGPRsForWavesPerEU: 17
; Occupancy: 14
; WaveLimiterHint : 1
; COMPUTE_PGM_RSRC2:SCRATCH_EN: 0
; COMPUTE_PGM_RSRC2:USER_SGPR: 15
; COMPUTE_PGM_RSRC2:TRAP_HANDLER: 0
; COMPUTE_PGM_RSRC2:TGID_X_EN: 1
; COMPUTE_PGM_RSRC2:TGID_Y_EN: 0
; COMPUTE_PGM_RSRC2:TGID_Z_EN: 0
; COMPUTE_PGM_RSRC2:TIDIG_COMP_CNT: 0
	.section	.text._ZN9rocsparseL20bsrxmvn_17_32_kernelILj22E21rocsparse_complex_numIfElifS2_S2_EEvT2_20rocsparse_direction_NS_24const_host_device_scalarIT0_EES3_PKS3_PKT1_SC_S9_PKT3_PKT4_S7_PT5_21rocsparse_index_base_b,"axG",@progbits,_ZN9rocsparseL20bsrxmvn_17_32_kernelILj22E21rocsparse_complex_numIfElifS2_S2_EEvT2_20rocsparse_direction_NS_24const_host_device_scalarIT0_EES3_PKS3_PKT1_SC_S9_PKT3_PKT4_S7_PT5_21rocsparse_index_base_b,comdat
	.globl	_ZN9rocsparseL20bsrxmvn_17_32_kernelILj22E21rocsparse_complex_numIfElifS2_S2_EEvT2_20rocsparse_direction_NS_24const_host_device_scalarIT0_EES3_PKS3_PKT1_SC_S9_PKT3_PKT4_S7_PT5_21rocsparse_index_base_b ; -- Begin function _ZN9rocsparseL20bsrxmvn_17_32_kernelILj22E21rocsparse_complex_numIfElifS2_S2_EEvT2_20rocsparse_direction_NS_24const_host_device_scalarIT0_EES3_PKS3_PKT1_SC_S9_PKT3_PKT4_S7_PT5_21rocsparse_index_base_b
	.p2align	8
	.type	_ZN9rocsparseL20bsrxmvn_17_32_kernelILj22E21rocsparse_complex_numIfElifS2_S2_EEvT2_20rocsparse_direction_NS_24const_host_device_scalarIT0_EES3_PKS3_PKT1_SC_S9_PKT3_PKT4_S7_PT5_21rocsparse_index_base_b,@function
_ZN9rocsparseL20bsrxmvn_17_32_kernelILj22E21rocsparse_complex_numIfElifS2_S2_EEvT2_20rocsparse_direction_NS_24const_host_device_scalarIT0_EES3_PKS3_PKT1_SC_S9_PKT3_PKT4_S7_PT5_21rocsparse_index_base_b: ; @_ZN9rocsparseL20bsrxmvn_17_32_kernelILj22E21rocsparse_complex_numIfElifS2_S2_EEvT2_20rocsparse_direction_NS_24const_host_device_scalarIT0_EES3_PKS3_PKT1_SC_S9_PKT3_PKT4_S7_PT5_21rocsparse_index_base_b
; %bb.0:
	s_clause 0x2
	s_load_b64 s[12:13], s[0:1], 0x58
	s_load_b64 s[4:5], s[0:1], 0x8
	;; [unrolled: 1-line block ×3, first 2 shown]
	s_mov_b32 s8, s15
	s_waitcnt lgkmcnt(0)
	s_bitcmp1_b32 s13, 0
	v_mov_b32_e32 v10, s4
	s_cselect_b32 s6, -1, 0
	s_delay_alu instid0(SALU_CYCLE_1)
	s_and_b32 vcc_lo, exec_lo, s6
	s_xor_b32 s6, s6, -1
	s_cbranch_vccz .LBB405_15
; %bb.1:
	v_cndmask_b32_e64 v1, 0, 1, s6
	v_mov_b32_e32 v11, s5
	s_and_not1_b32 vcc_lo, exec_lo, s6
	s_cbranch_vccz .LBB405_16
.LBB405_2:
	s_delay_alu instid0(VALU_DEP_2)
	v_cmp_ne_u32_e32 vcc_lo, 1, v1
	v_mov_b32_e32 v8, s2
	s_cbranch_vccz .LBB405_17
.LBB405_3:
	v_cmp_ne_u32_e32 vcc_lo, 1, v1
	v_mov_b32_e32 v9, s3
	s_cbranch_vccnz .LBB405_5
.LBB405_4:
	v_dual_mov_b32 v1, s2 :: v_dual_mov_b32 v2, s3
	flat_load_b32 v9, v[1:2] offset:4
.LBB405_5:
	s_waitcnt vmcnt(0) lgkmcnt(0)
	v_cmp_eq_f32_e32 vcc_lo, 0, v10
	v_cmp_eq_f32_e64 s2, 0, v11
	s_delay_alu instid0(VALU_DEP_1)
	s_and_b32 s4, vcc_lo, s2
	s_mov_b32 s2, -1
	s_and_saveexec_b32 s3, s4
; %bb.6:
	v_cmp_neq_f32_e32 vcc_lo, 1.0, v8
	v_cmp_neq_f32_e64 s2, 0, v9
	s_delay_alu instid0(VALU_DEP_1) | instskip(NEXT) | instid1(SALU_CYCLE_1)
	s_or_b32 s2, vcc_lo, s2
	s_or_not1_b32 s2, s2, exec_lo
; %bb.7:
	s_or_b32 exec_lo, exec_lo, s3
	s_and_saveexec_b32 s3, s2
	s_cbranch_execz .LBB405_44
; %bb.8:
	s_clause 0x1
	s_load_b128 s[4:7], s[0:1], 0x18
	s_load_b64 s[10:11], s[0:1], 0x28
	s_waitcnt lgkmcnt(0)
	s_cmp_eq_u64 s[4:5], 0
	s_cbranch_scc1 .LBB405_10
; %bb.9:
	s_ashr_i32 s9, s8, 31
	s_delay_alu instid0(SALU_CYCLE_1) | instskip(NEXT) | instid1(SALU_CYCLE_1)
	s_lshl_b64 s[2:3], s[8:9], 2
	s_add_u32 s2, s4, s2
	s_addc_u32 s3, s5, s3
	s_load_b32 s2, s[2:3], 0x0
	s_waitcnt lgkmcnt(0)
	s_sub_i32 s8, s2, s12
.LBB405_10:
	s_load_b32 s3, s[0:1], 0x4
	v_mul_u32_u24_e32 v1, 0xba3, v0
	v_mov_b32_e32 v2, 0
	s_delay_alu instid0(VALU_DEP_2) | instskip(NEXT) | instid1(VALU_DEP_1)
	v_lshrrev_b32_e32 v3, 16, v1
	v_mul_lo_u16 v1, v3, 22
	s_delay_alu instid0(VALU_DEP_1)
	v_sub_nc_u16 v12, v0, v1
	v_mov_b32_e32 v1, 0
	s_waitcnt lgkmcnt(0)
	s_cmp_eq_u32 s3, 1
	s_cselect_b32 s2, -1, 0
	s_cmp_lg_u32 s3, 1
	s_cselect_b32 s3, -1, 0
	s_ashr_i32 s9, s8, 31
	s_delay_alu instid0(SALU_CYCLE_1) | instskip(NEXT) | instid1(SALU_CYCLE_1)
	s_lshl_b64 s[4:5], s[8:9], 3
	s_add_u32 s6, s6, s4
	s_addc_u32 s7, s7, s5
	s_add_u32 s9, s6, 8
	s_addc_u32 s13, s7, 0
	;; [unrolled: 2-line block ×3, first 2 shown]
	s_cmp_eq_u64 s[10:11], 0
	s_load_b64 s[10:11], s[0:1], 0x50
	s_cselect_b32 s5, s13, s5
	s_cselect_b32 s4, s9, s4
	s_load_b64 s[18:19], s[6:7], 0x0
	s_load_b64 s[14:15], s[4:5], 0x0
	s_waitcnt lgkmcnt(0)
	v_cmp_ge_i64_e64 s4, s[18:19], s[14:15]
	s_delay_alu instid0(VALU_DEP_1)
	s_and_b32 vcc_lo, exec_lo, s4
	s_cbranch_vccnz .LBB405_18
; %bb.11:
	v_mul_lo_u16 v1, v3, 12
	v_and_b32_e32 v2, 0xffff, v0
	s_sub_u32 s14, s14, s12
	s_subb_u32 s15, s15, 0
	s_sub_u32 s16, s18, s12
	v_lshrrev_b16 v1, 8, v1
	v_mul_u32_u24_e32 v2, 0x10f, v2
	s_subb_u32 s17, s19, 0
	s_clause 0x1
	s_load_b128 s[4:7], s[0:1], 0x30
	s_load_b64 s[0:1], s[0:1], 0x40
	s_mul_hi_u32 s9, s16, 0x790
	v_mul_lo_u16 v1, v1, 22
	v_lshrrev_b32_e32 v13, 17, v2
	s_mul_i32 s13, s17, 0x790
	v_and_b32_e32 v4, 0xffff, v12
	s_add_i32 s9, s9, s13
	v_sub_nc_u16 v1, v3, v1
	v_add_co_u32 v2, s13, s18, v13
	s_delay_alu instid0(VALU_DEP_1) | instskip(NEXT) | instid1(VALU_DEP_3)
	v_add_co_ci_u32_e64 v5, null, s19, 0, s13
	v_and_b32_e32 v1, 0xff, v1
	s_mul_i32 s20, s16, 0x790
	s_delay_alu instid0(VALU_DEP_1)
	v_cndmask_b32_e64 v3, v4, v1, s2
	v_sub_co_u32 v4, vcc_lo, v2, s12
	v_mov_b32_e32 v2, 0
	v_subrev_co_ci_u32_e32 v5, vcc_lo, 0, v5, vcc_lo
	v_lshlrev_b32_e32 v1, 2, v0
	s_waitcnt lgkmcnt(0)
	s_add_u32 s2, s6, s20
	s_addc_u32 s6, s7, s9
	v_lshlrev_b64 v[6:7], 2, v[4:5]
	v_add_co_u32 v4, s2, s2, v1
	s_delay_alu instid0(VALU_DEP_1) | instskip(NEXT) | instid1(VALU_DEP_3)
	v_add_co_ci_u32_e64 v5, null, s6, 0, s2
	v_add_co_u32 v6, vcc_lo, s4, v6
	s_delay_alu instid0(VALU_DEP_4)
	v_add_co_ci_u32_e32 v7, vcc_lo, s5, v7, vcc_lo
	v_mov_b32_e32 v1, v2
	s_set_inst_prefetch_distance 0x1
	s_branch .LBB405_13
	.p2align	6
.LBB405_12:                             ;   in Loop: Header=BB405_13 Depth=1
	s_or_b32 exec_lo, exec_lo, s2
	s_add_u32 s16, s16, 1
	s_addc_u32 s17, s17, 0
	v_add_co_u32 v6, vcc_lo, v6, 4
	v_cmp_lt_i64_e64 s2, s[16:17], s[14:15]
	v_add_co_ci_u32_e32 v7, vcc_lo, 0, v7, vcc_lo
	s_delay_alu instid0(VALU_DEP_2)
	s_and_b32 vcc_lo, exec_lo, s2
	s_cbranch_vccz .LBB405_18
.LBB405_13:                             ; =>This Inner Loop Header: Depth=1
	v_add_co_u32 v14, s2, v13, s16
	s_delay_alu instid0(VALU_DEP_1) | instskip(SKIP_1) | instid1(VALU_DEP_1)
	v_add_co_ci_u32_e64 v15, null, 0, s17, s2
	s_mov_b32 s2, exec_lo
	v_cmpx_gt_i64_e64 s[14:15], v[14:15]
	s_cbranch_execz .LBB405_12
; %bb.14:                               ;   in Loop: Header=BB405_13 Depth=1
	global_load_b32 v14, v[6:7], off
	s_waitcnt vmcnt(0)
	v_subrev_nc_u32_e32 v16, s12, v14
	s_delay_alu instid0(VALU_DEP_1) | instskip(NEXT) | instid1(VALU_DEP_1)
	v_mad_u64_u32 v[14:15], null, v16, 22, v[3:4]
	v_ashrrev_i32_e32 v15, 31, v14
	s_delay_alu instid0(VALU_DEP_1) | instskip(NEXT) | instid1(VALU_DEP_1)
	v_lshlrev_b64 v[14:15], 3, v[14:15]
	v_add_co_u32 v14, vcc_lo, s0, v14
	s_delay_alu instid0(VALU_DEP_2)
	v_add_co_ci_u32_e32 v15, vcc_lo, s1, v15, vcc_lo
	global_load_b32 v16, v[4:5], off
	global_load_b64 v[14:15], v[14:15], off
	v_add_co_u32 v4, vcc_lo, 0x790, v4
	v_add_co_ci_u32_e32 v5, vcc_lo, 0, v5, vcc_lo
	s_waitcnt vmcnt(0)
	v_fmac_f32_e32 v1, v16, v14
	s_delay_alu instid0(VALU_DEP_1) | instskip(NEXT) | instid1(VALU_DEP_1)
	v_dual_fmac_f32 v2, 0, v14 :: v_dual_fmac_f32 v1, 0x80000000, v15
	v_fmac_f32_e32 v2, v16, v15
	s_branch .LBB405_12
.LBB405_15:
	v_dual_mov_b32 v1, s4 :: v_dual_mov_b32 v2, s5
	flat_load_b32 v10, v[1:2]
	v_cndmask_b32_e64 v1, 0, 1, s6
	v_mov_b32_e32 v11, s5
	s_and_not1_b32 vcc_lo, exec_lo, s6
	s_cbranch_vccnz .LBB405_2
.LBB405_16:
	v_dual_mov_b32 v2, s4 :: v_dual_mov_b32 v3, s5
	flat_load_b32 v11, v[2:3] offset:4
	v_cmp_ne_u32_e32 vcc_lo, 1, v1
	v_mov_b32_e32 v8, s2
	s_cbranch_vccnz .LBB405_3
.LBB405_17:
	v_dual_mov_b32 v2, s2 :: v_dual_mov_b32 v3, s3
	flat_load_b32 v8, v[2:3]
	v_cmp_ne_u32_e32 vcc_lo, 1, v1
	v_mov_b32_e32 v9, s3
	s_cbranch_vccz .LBB405_4
	s_branch .LBB405_5
.LBB405_18:
	s_set_inst_prefetch_distance 0x2
	v_lshlrev_b32_e32 v3, 3, v0
	s_and_b32 vcc_lo, exec_lo, s3
	ds_store_b64 v3, v[1:2]
	s_waitcnt lgkmcnt(0)
	s_barrier
	buffer_gl0_inv
	s_cbranch_vccz .LBB405_30
; %bb.19:
	s_mov_b32 s0, exec_lo
	v_cmpx_gt_u16_e32 6, v12
	s_cbranch_execz .LBB405_21
; %bb.20:
	ds_load_2addr_b64 v[4:7], v3 offset1:16
	s_waitcnt lgkmcnt(0)
	v_dual_add_f32 v4, v6, v4 :: v_dual_add_f32 v5, v7, v5
	ds_store_b64 v3, v[4:5]
.LBB405_21:
	s_or_b32 exec_lo, exec_lo, s0
	s_delay_alu instid0(SALU_CYCLE_1)
	s_mov_b32 s0, exec_lo
	s_waitcnt lgkmcnt(0)
	s_barrier
	buffer_gl0_inv
	v_cmpx_gt_u16_e32 8, v12
	s_cbranch_execz .LBB405_23
; %bb.22:
	ds_load_2addr_b64 v[4:7], v3 offset1:8
	s_waitcnt lgkmcnt(0)
	v_dual_add_f32 v4, v6, v4 :: v_dual_add_f32 v5, v7, v5
	ds_store_b64 v3, v[4:5]
.LBB405_23:
	s_or_b32 exec_lo, exec_lo, s0
	s_delay_alu instid0(SALU_CYCLE_1)
	s_mov_b32 s0, exec_lo
	s_waitcnt lgkmcnt(0)
	s_barrier
	buffer_gl0_inv
	;; [unrolled: 14-line block ×3, first 2 shown]
	v_cmpx_gt_u16_e32 2, v12
	s_cbranch_execz .LBB405_27
; %bb.26:
	ds_load_2addr_b64 v[4:7], v3 offset1:2
	s_waitcnt lgkmcnt(0)
	v_dual_add_f32 v4, v6, v4 :: v_dual_add_f32 v5, v7, v5
	ds_store_b64 v3, v[4:5]
.LBB405_27:
	s_or_b32 exec_lo, exec_lo, s0
	s_mov_b32 s1, 0
	s_mov_b32 s0, 0
	s_mov_b32 s2, exec_lo
	s_waitcnt lgkmcnt(0)
	s_barrier
	buffer_gl0_inv
                                        ; implicit-def: $vgpr5
                                        ; implicit-def: $vgpr4
	v_cmpx_gt_u32_e32 22, v0
	s_xor_b32 s2, exec_lo, s2
; %bb.28:
	v_mul_u32_u24_e32 v4, 22, v0
	s_mov_b32 s0, exec_lo
	s_delay_alu instid0(VALU_DEP_1)
	v_lshlrev_b32_e32 v5, 3, v4
	v_or_b32_e32 v4, 1, v4
; %bb.29:
	s_or_b32 exec_lo, exec_lo, s2
	s_delay_alu instid0(SALU_CYCLE_1)
	s_and_b32 vcc_lo, exec_lo, s1
	s_cbranch_vccnz .LBB405_31
	s_branch .LBB405_42
.LBB405_30:
	s_mov_b32 s0, 0
                                        ; implicit-def: $vgpr5
                                        ; implicit-def: $vgpr4
	s_cbranch_execz .LBB405_42
.LBB405_31:
	s_mov_b32 s1, exec_lo
	v_cmpx_gt_u32_e32 0x84, v0
	s_cbranch_execz .LBB405_33
; %bb.32:
	ds_load_b64 v[4:5], v3 offset:2816
	ds_load_b64 v[6:7], v3
	s_waitcnt lgkmcnt(0)
	v_dual_add_f32 v4, v4, v6 :: v_dual_add_f32 v5, v5, v7
	ds_store_b64 v3, v[4:5]
.LBB405_33:
	s_or_b32 exec_lo, exec_lo, s1
	s_delay_alu instid0(SALU_CYCLE_1)
	s_mov_b32 s1, exec_lo
	s_waitcnt lgkmcnt(0)
	s_barrier
	buffer_gl0_inv
	v_cmpx_gt_u32_e32 0xb0, v0
	s_cbranch_execz .LBB405_35
; %bb.34:
	ds_load_2addr_b64 v[4:7], v3 offset1:176
	s_waitcnt lgkmcnt(0)
	v_dual_add_f32 v4, v6, v4 :: v_dual_add_f32 v5, v7, v5
	ds_store_b64 v3, v[4:5]
.LBB405_35:
	s_or_b32 exec_lo, exec_lo, s1
	s_delay_alu instid0(SALU_CYCLE_1)
	s_mov_b32 s1, exec_lo
	s_waitcnt lgkmcnt(0)
	s_barrier
	buffer_gl0_inv
	v_cmpx_gt_u32_e32 0x58, v0
	s_cbranch_execz .LBB405_37
; %bb.36:
	ds_load_2addr_b64 v[4:7], v3 offset1:88
	s_waitcnt lgkmcnt(0)
	v_dual_add_f32 v4, v6, v4 :: v_dual_add_f32 v5, v7, v5
	ds_store_b64 v3, v[4:5]
.LBB405_37:
	;; [unrolled: 14-line block ×3, first 2 shown]
	s_or_b32 exec_lo, exec_lo, s1
	s_delay_alu instid0(SALU_CYCLE_1)
	s_mov_b32 s1, exec_lo
	s_waitcnt lgkmcnt(0)
	buffer_gl0_inv
                                        ; implicit-def: $vgpr4
	v_cmpx_gt_u32_e32 22, v0
; %bb.40:
	v_add_nc_u32_e32 v4, 22, v0
	s_or_b32 s0, s0, exec_lo
                                        ; implicit-def: $vgpr2
; %bb.41:
	s_or_b32 exec_lo, exec_lo, s1
	v_mov_b32_e32 v5, v3
.LBB405_42:
	s_and_saveexec_b32 s1, s0
	s_cbranch_execnz .LBB405_45
; %bb.43:
	s_or_b32 exec_lo, exec_lo, s1
	v_cmp_gt_u32_e32 vcc_lo, 22, v0
	s_and_b32 exec_lo, exec_lo, vcc_lo
	s_cbranch_execnz .LBB405_46
.LBB405_44:
	s_nop 0
	s_sendmsg sendmsg(MSG_DEALLOC_VGPRS)
	s_endpgm
.LBB405_45:
	v_lshlrev_b32_e32 v3, 3, v4
	ds_load_2addr_b32 v[1:2], v5 offset1:1
	ds_load_b64 v[3:4], v3
	s_waitcnt lgkmcnt(0)
	v_dual_add_f32 v2, v4, v2 :: v_dual_add_f32 v1, v3, v1
	s_or_b32 exec_lo, exec_lo, s1
	v_cmp_gt_u32_e32 vcc_lo, 22, v0
	s_and_b32 exec_lo, exec_lo, vcc_lo
	s_cbranch_execz .LBB405_44
.LBB405_46:
	v_mul_f32_e64 v3, v2, -v11
	v_mul_f32_e32 v4, v2, v10
	v_cmp_eq_f32_e32 vcc_lo, 0, v8
	v_cmp_eq_f32_e64 s0, 0, v9
	s_delay_alu instid0(VALU_DEP_4) | instskip(NEXT) | instid1(VALU_DEP_4)
	v_fmac_f32_e32 v3, v10, v1
	v_fmac_f32_e32 v4, v11, v1
	s_delay_alu instid0(VALU_DEP_3) | instskip(NEXT) | instid1(SALU_CYCLE_1)
	s_and_b32 s0, vcc_lo, s0
	s_and_saveexec_b32 s1, s0
	s_delay_alu instid0(SALU_CYCLE_1)
	s_xor_b32 s0, exec_lo, s1
	s_cbranch_execz .LBB405_48
; %bb.47:
	v_mad_u64_u32 v[1:2], null, s8, 22, v[0:1]
	v_mov_b32_e32 v2, 0
                                        ; implicit-def: $vgpr8
                                        ; implicit-def: $vgpr9
	s_delay_alu instid0(VALU_DEP_1) | instskip(NEXT) | instid1(VALU_DEP_1)
	v_lshlrev_b64 v[0:1], 3, v[1:2]
	v_add_co_u32 v0, vcc_lo, s10, v0
	s_delay_alu instid0(VALU_DEP_2)
	v_add_co_ci_u32_e32 v1, vcc_lo, s11, v1, vcc_lo
	global_store_b64 v[0:1], v[3:4], off
                                        ; implicit-def: $vgpr0
                                        ; implicit-def: $vgpr3
.LBB405_48:
	s_and_not1_saveexec_b32 s0, s0
	s_cbranch_execz .LBB405_44
; %bb.49:
	v_mad_u64_u32 v[1:2], null, s8, 22, v[0:1]
	v_mov_b32_e32 v2, 0
	s_delay_alu instid0(VALU_DEP_1) | instskip(NEXT) | instid1(VALU_DEP_1)
	v_lshlrev_b64 v[0:1], 3, v[1:2]
	v_add_co_u32 v0, vcc_lo, s10, v0
	s_delay_alu instid0(VALU_DEP_2) | instskip(SKIP_4) | instid1(VALU_DEP_2)
	v_add_co_ci_u32_e32 v1, vcc_lo, s11, v1, vcc_lo
	global_load_b64 v[5:6], v[0:1], off
	s_waitcnt vmcnt(0)
	v_fmac_f32_e32 v3, v8, v5
	v_fmac_f32_e32 v4, v9, v5
	v_fma_f32 v3, -v9, v6, v3
	s_delay_alu instid0(VALU_DEP_2)
	v_fmac_f32_e32 v4, v8, v6
	global_store_b64 v[0:1], v[3:4], off
	s_nop 0
	s_sendmsg sendmsg(MSG_DEALLOC_VGPRS)
	s_endpgm
	.section	.rodata,"a",@progbits
	.p2align	6, 0x0
	.amdhsa_kernel _ZN9rocsparseL20bsrxmvn_17_32_kernelILj22E21rocsparse_complex_numIfElifS2_S2_EEvT2_20rocsparse_direction_NS_24const_host_device_scalarIT0_EES3_PKS3_PKT1_SC_S9_PKT3_PKT4_S7_PT5_21rocsparse_index_base_b
		.amdhsa_group_segment_fixed_size 3872
		.amdhsa_private_segment_fixed_size 0
		.amdhsa_kernarg_size 96
		.amdhsa_user_sgpr_count 15
		.amdhsa_user_sgpr_dispatch_ptr 0
		.amdhsa_user_sgpr_queue_ptr 0
		.amdhsa_user_sgpr_kernarg_segment_ptr 1
		.amdhsa_user_sgpr_dispatch_id 0
		.amdhsa_user_sgpr_private_segment_size 0
		.amdhsa_wavefront_size32 1
		.amdhsa_uses_dynamic_stack 0
		.amdhsa_enable_private_segment 0
		.amdhsa_system_sgpr_workgroup_id_x 1
		.amdhsa_system_sgpr_workgroup_id_y 0
		.amdhsa_system_sgpr_workgroup_id_z 0
		.amdhsa_system_sgpr_workgroup_info 0
		.amdhsa_system_vgpr_workitem_id 0
		.amdhsa_next_free_vgpr 17
		.amdhsa_next_free_sgpr 21
		.amdhsa_reserve_vcc 1
		.amdhsa_float_round_mode_32 0
		.amdhsa_float_round_mode_16_64 0
		.amdhsa_float_denorm_mode_32 3
		.amdhsa_float_denorm_mode_16_64 3
		.amdhsa_dx10_clamp 1
		.amdhsa_ieee_mode 1
		.amdhsa_fp16_overflow 0
		.amdhsa_workgroup_processor_mode 1
		.amdhsa_memory_ordered 1
		.amdhsa_forward_progress 0
		.amdhsa_shared_vgpr_count 0
		.amdhsa_exception_fp_ieee_invalid_op 0
		.amdhsa_exception_fp_denorm_src 0
		.amdhsa_exception_fp_ieee_div_zero 0
		.amdhsa_exception_fp_ieee_overflow 0
		.amdhsa_exception_fp_ieee_underflow 0
		.amdhsa_exception_fp_ieee_inexact 0
		.amdhsa_exception_int_div_zero 0
	.end_amdhsa_kernel
	.section	.text._ZN9rocsparseL20bsrxmvn_17_32_kernelILj22E21rocsparse_complex_numIfElifS2_S2_EEvT2_20rocsparse_direction_NS_24const_host_device_scalarIT0_EES3_PKS3_PKT1_SC_S9_PKT3_PKT4_S7_PT5_21rocsparse_index_base_b,"axG",@progbits,_ZN9rocsparseL20bsrxmvn_17_32_kernelILj22E21rocsparse_complex_numIfElifS2_S2_EEvT2_20rocsparse_direction_NS_24const_host_device_scalarIT0_EES3_PKS3_PKT1_SC_S9_PKT3_PKT4_S7_PT5_21rocsparse_index_base_b,comdat
.Lfunc_end405:
	.size	_ZN9rocsparseL20bsrxmvn_17_32_kernelILj22E21rocsparse_complex_numIfElifS2_S2_EEvT2_20rocsparse_direction_NS_24const_host_device_scalarIT0_EES3_PKS3_PKT1_SC_S9_PKT3_PKT4_S7_PT5_21rocsparse_index_base_b, .Lfunc_end405-_ZN9rocsparseL20bsrxmvn_17_32_kernelILj22E21rocsparse_complex_numIfElifS2_S2_EEvT2_20rocsparse_direction_NS_24const_host_device_scalarIT0_EES3_PKS3_PKT1_SC_S9_PKT3_PKT4_S7_PT5_21rocsparse_index_base_b
                                        ; -- End function
	.section	.AMDGPU.csdata,"",@progbits
; Kernel info:
; codeLenInByte = 1936
; NumSgprs: 23
; NumVgprs: 17
; ScratchSize: 0
; MemoryBound: 0
; FloatMode: 240
; IeeeMode: 1
; LDSByteSize: 3872 bytes/workgroup (compile time only)
; SGPRBlocks: 2
; VGPRBlocks: 2
; NumSGPRsForWavesPerEU: 23
; NumVGPRsForWavesPerEU: 17
; Occupancy: 16
; WaveLimiterHint : 1
; COMPUTE_PGM_RSRC2:SCRATCH_EN: 0
; COMPUTE_PGM_RSRC2:USER_SGPR: 15
; COMPUTE_PGM_RSRC2:TRAP_HANDLER: 0
; COMPUTE_PGM_RSRC2:TGID_X_EN: 1
; COMPUTE_PGM_RSRC2:TGID_Y_EN: 0
; COMPUTE_PGM_RSRC2:TGID_Z_EN: 0
; COMPUTE_PGM_RSRC2:TIDIG_COMP_CNT: 0
	.section	.text._ZN9rocsparseL20bsrxmvn_17_32_kernelILj23E21rocsparse_complex_numIfElifS2_S2_EEvT2_20rocsparse_direction_NS_24const_host_device_scalarIT0_EES3_PKS3_PKT1_SC_S9_PKT3_PKT4_S7_PT5_21rocsparse_index_base_b,"axG",@progbits,_ZN9rocsparseL20bsrxmvn_17_32_kernelILj23E21rocsparse_complex_numIfElifS2_S2_EEvT2_20rocsparse_direction_NS_24const_host_device_scalarIT0_EES3_PKS3_PKT1_SC_S9_PKT3_PKT4_S7_PT5_21rocsparse_index_base_b,comdat
	.globl	_ZN9rocsparseL20bsrxmvn_17_32_kernelILj23E21rocsparse_complex_numIfElifS2_S2_EEvT2_20rocsparse_direction_NS_24const_host_device_scalarIT0_EES3_PKS3_PKT1_SC_S9_PKT3_PKT4_S7_PT5_21rocsparse_index_base_b ; -- Begin function _ZN9rocsparseL20bsrxmvn_17_32_kernelILj23E21rocsparse_complex_numIfElifS2_S2_EEvT2_20rocsparse_direction_NS_24const_host_device_scalarIT0_EES3_PKS3_PKT1_SC_S9_PKT3_PKT4_S7_PT5_21rocsparse_index_base_b
	.p2align	8
	.type	_ZN9rocsparseL20bsrxmvn_17_32_kernelILj23E21rocsparse_complex_numIfElifS2_S2_EEvT2_20rocsparse_direction_NS_24const_host_device_scalarIT0_EES3_PKS3_PKT1_SC_S9_PKT3_PKT4_S7_PT5_21rocsparse_index_base_b,@function
_ZN9rocsparseL20bsrxmvn_17_32_kernelILj23E21rocsparse_complex_numIfElifS2_S2_EEvT2_20rocsparse_direction_NS_24const_host_device_scalarIT0_EES3_PKS3_PKT1_SC_S9_PKT3_PKT4_S7_PT5_21rocsparse_index_base_b: ; @_ZN9rocsparseL20bsrxmvn_17_32_kernelILj23E21rocsparse_complex_numIfElifS2_S2_EEvT2_20rocsparse_direction_NS_24const_host_device_scalarIT0_EES3_PKS3_PKT1_SC_S9_PKT3_PKT4_S7_PT5_21rocsparse_index_base_b
; %bb.0:
	s_clause 0x2
	s_load_b64 s[12:13], s[0:1], 0x58
	s_load_b64 s[4:5], s[0:1], 0x8
	;; [unrolled: 1-line block ×3, first 2 shown]
	s_mov_b32 s8, s15
	s_waitcnt lgkmcnt(0)
	s_bitcmp1_b32 s13, 0
	v_mov_b32_e32 v10, s4
	s_cselect_b32 s6, -1, 0
	s_delay_alu instid0(SALU_CYCLE_1)
	s_and_b32 vcc_lo, exec_lo, s6
	s_xor_b32 s6, s6, -1
	s_cbranch_vccz .LBB406_15
; %bb.1:
	v_cndmask_b32_e64 v1, 0, 1, s6
	v_mov_b32_e32 v11, s5
	s_and_not1_b32 vcc_lo, exec_lo, s6
	s_cbranch_vccz .LBB406_16
.LBB406_2:
	s_delay_alu instid0(VALU_DEP_2)
	v_cmp_ne_u32_e32 vcc_lo, 1, v1
	v_mov_b32_e32 v8, s2
	s_cbranch_vccz .LBB406_17
.LBB406_3:
	v_cmp_ne_u32_e32 vcc_lo, 1, v1
	v_mov_b32_e32 v9, s3
	s_cbranch_vccnz .LBB406_5
.LBB406_4:
	v_dual_mov_b32 v1, s2 :: v_dual_mov_b32 v2, s3
	flat_load_b32 v9, v[1:2] offset:4
.LBB406_5:
	s_waitcnt vmcnt(0) lgkmcnt(0)
	v_cmp_eq_f32_e32 vcc_lo, 0, v10
	v_cmp_eq_f32_e64 s2, 0, v11
	s_delay_alu instid0(VALU_DEP_1)
	s_and_b32 s4, vcc_lo, s2
	s_mov_b32 s2, -1
	s_and_saveexec_b32 s3, s4
; %bb.6:
	v_cmp_neq_f32_e32 vcc_lo, 1.0, v8
	v_cmp_neq_f32_e64 s2, 0, v9
	s_delay_alu instid0(VALU_DEP_1) | instskip(NEXT) | instid1(SALU_CYCLE_1)
	s_or_b32 s2, vcc_lo, s2
	s_or_not1_b32 s2, s2, exec_lo
; %bb.7:
	s_or_b32 exec_lo, exec_lo, s3
	s_and_saveexec_b32 s3, s2
	s_cbranch_execz .LBB406_44
; %bb.8:
	s_clause 0x1
	s_load_b128 s[4:7], s[0:1], 0x18
	s_load_b64 s[10:11], s[0:1], 0x28
	s_waitcnt lgkmcnt(0)
	s_cmp_eq_u64 s[4:5], 0
	s_cbranch_scc1 .LBB406_10
; %bb.9:
	s_ashr_i32 s9, s8, 31
	s_delay_alu instid0(SALU_CYCLE_1) | instskip(NEXT) | instid1(SALU_CYCLE_1)
	s_lshl_b64 s[2:3], s[8:9], 2
	s_add_u32 s2, s4, s2
	s_addc_u32 s3, s5, s3
	s_load_b32 s2, s[2:3], 0x0
	s_waitcnt lgkmcnt(0)
	s_sub_i32 s8, s2, s12
.LBB406_10:
	s_load_b32 s3, s[0:1], 0x4
	v_mul_u32_u24_e32 v1, 0xb22, v0
	v_mov_b32_e32 v2, 0
	s_delay_alu instid0(VALU_DEP_2) | instskip(NEXT) | instid1(VALU_DEP_1)
	v_lshrrev_b32_e32 v3, 16, v1
	v_mul_lo_u16 v1, v3, 23
	s_delay_alu instid0(VALU_DEP_1)
	v_sub_nc_u16 v12, v0, v1
	v_mov_b32_e32 v1, 0
	s_waitcnt lgkmcnt(0)
	s_cmp_eq_u32 s3, 1
	s_cselect_b32 s2, -1, 0
	s_cmp_lg_u32 s3, 1
	s_cselect_b32 s3, -1, 0
	s_ashr_i32 s9, s8, 31
	s_delay_alu instid0(SALU_CYCLE_1) | instskip(NEXT) | instid1(SALU_CYCLE_1)
	s_lshl_b64 s[4:5], s[8:9], 3
	s_add_u32 s6, s6, s4
	s_addc_u32 s7, s7, s5
	s_add_u32 s9, s6, 8
	s_addc_u32 s13, s7, 0
	;; [unrolled: 2-line block ×3, first 2 shown]
	s_cmp_eq_u64 s[10:11], 0
	s_load_b64 s[10:11], s[0:1], 0x50
	s_cselect_b32 s5, s13, s5
	s_cselect_b32 s4, s9, s4
	s_load_b64 s[18:19], s[6:7], 0x0
	s_load_b64 s[14:15], s[4:5], 0x0
	s_waitcnt lgkmcnt(0)
	v_cmp_ge_i64_e64 s4, s[18:19], s[14:15]
	s_delay_alu instid0(VALU_DEP_1)
	s_and_b32 vcc_lo, exec_lo, s4
	s_cbranch_vccnz .LBB406_18
; %bb.11:
	v_and_b32_e32 v1, 0xffff, v3
	v_cmp_lt_u32_e32 vcc_lo, 0x210, v0
	s_clause 0x1
	s_load_b128 s[4:7], s[0:1], 0x30
	s_load_b64 s[0:1], s[0:1], 0x40
	s_sub_u32 s14, s14, s12
	s_subb_u32 s15, s15, 0
	v_subrev_nc_u32_e32 v3, 23, v1
	v_cndmask_b32_e64 v13, 0, 1, vcc_lo
	v_cmp_gt_u32_e32 vcc_lo, 0x211, v0
	v_and_b32_e32 v2, 0xffff, v12
	s_sub_u32 s16, s18, s12
	s_subb_u32 s17, s19, 0
	s_mul_hi_u32 s9, s16, 0x844
	v_cndmask_b32_e32 v1, v3, v1, vcc_lo
	s_mul_i32 s13, s17, 0x844
	s_delay_alu instid0(SALU_CYCLE_1) | instskip(NEXT) | instid1(VALU_DEP_1)
	s_add_i32 s9, s9, s13
	v_cndmask_b32_e64 v3, v2, v1, s2
	v_add_co_u32 v1, s2, s18, v13
	s_delay_alu instid0(VALU_DEP_1) | instskip(SKIP_1) | instid1(VALU_DEP_2)
	v_add_co_ci_u32_e64 v2, null, s19, 0, s2
	s_mul_i32 s2, s16, 0x844
	v_sub_co_u32 v1, vcc_lo, v1, s12
	s_delay_alu instid0(VALU_DEP_2) | instskip(SKIP_3) | instid1(VALU_DEP_1)
	v_subrev_co_ci_u32_e32 v2, vcc_lo, 0, v2, vcc_lo
	s_waitcnt lgkmcnt(0)
	s_add_u32 s2, s6, s2
	s_addc_u32 s6, s7, s9
	v_lshlrev_b64 v[6:7], 2, v[1:2]
	v_mov_b32_e32 v2, 0
	s_delay_alu instid0(VALU_DEP_1) | instskip(NEXT) | instid1(VALU_DEP_1)
	v_dual_mov_b32 v1, v2 :: v_dual_lshlrev_b32 v4, 2, v0
	v_add_co_u32 v4, s2, s2, v4
	s_delay_alu instid0(VALU_DEP_4)
	v_add_co_u32 v6, vcc_lo, s4, v6
	v_add_co_ci_u32_e64 v5, null, s6, 0, s2
	v_add_co_ci_u32_e32 v7, vcc_lo, s5, v7, vcc_lo
	s_set_inst_prefetch_distance 0x1
	s_branch .LBB406_13
	.p2align	6
.LBB406_12:                             ;   in Loop: Header=BB406_13 Depth=1
	s_or_b32 exec_lo, exec_lo, s2
	s_add_u32 s16, s16, 1
	s_addc_u32 s17, s17, 0
	v_add_co_u32 v6, vcc_lo, v6, 4
	v_cmp_lt_i64_e64 s2, s[16:17], s[14:15]
	v_add_co_ci_u32_e32 v7, vcc_lo, 0, v7, vcc_lo
	s_delay_alu instid0(VALU_DEP_2)
	s_and_b32 vcc_lo, exec_lo, s2
	s_cbranch_vccz .LBB406_18
.LBB406_13:                             ; =>This Inner Loop Header: Depth=1
	v_add_co_u32 v14, s2, v13, s16
	s_delay_alu instid0(VALU_DEP_1) | instskip(SKIP_1) | instid1(VALU_DEP_1)
	v_add_co_ci_u32_e64 v15, null, 0, s17, s2
	s_mov_b32 s2, exec_lo
	v_cmpx_gt_i64_e64 s[14:15], v[14:15]
	s_cbranch_execz .LBB406_12
; %bb.14:                               ;   in Loop: Header=BB406_13 Depth=1
	global_load_b32 v14, v[6:7], off
	s_waitcnt vmcnt(0)
	v_subrev_nc_u32_e32 v16, s12, v14
	s_delay_alu instid0(VALU_DEP_1) | instskip(NEXT) | instid1(VALU_DEP_1)
	v_mad_u64_u32 v[14:15], null, v16, 23, v[3:4]
	v_ashrrev_i32_e32 v15, 31, v14
	s_delay_alu instid0(VALU_DEP_1) | instskip(NEXT) | instid1(VALU_DEP_1)
	v_lshlrev_b64 v[14:15], 3, v[14:15]
	v_add_co_u32 v14, vcc_lo, s0, v14
	s_delay_alu instid0(VALU_DEP_2)
	v_add_co_ci_u32_e32 v15, vcc_lo, s1, v15, vcc_lo
	global_load_b32 v16, v[4:5], off
	global_load_b64 v[14:15], v[14:15], off
	v_add_co_u32 v4, vcc_lo, 0x844, v4
	v_add_co_ci_u32_e32 v5, vcc_lo, 0, v5, vcc_lo
	s_waitcnt vmcnt(0)
	v_fmac_f32_e32 v1, v16, v14
	s_delay_alu instid0(VALU_DEP_1) | instskip(NEXT) | instid1(VALU_DEP_1)
	v_dual_fmac_f32 v2, 0, v14 :: v_dual_fmac_f32 v1, 0x80000000, v15
	v_fmac_f32_e32 v2, v16, v15
	s_branch .LBB406_12
.LBB406_15:
	v_dual_mov_b32 v1, s4 :: v_dual_mov_b32 v2, s5
	flat_load_b32 v10, v[1:2]
	v_cndmask_b32_e64 v1, 0, 1, s6
	v_mov_b32_e32 v11, s5
	s_and_not1_b32 vcc_lo, exec_lo, s6
	s_cbranch_vccnz .LBB406_2
.LBB406_16:
	v_dual_mov_b32 v2, s4 :: v_dual_mov_b32 v3, s5
	flat_load_b32 v11, v[2:3] offset:4
	v_cmp_ne_u32_e32 vcc_lo, 1, v1
	v_mov_b32_e32 v8, s2
	s_cbranch_vccnz .LBB406_3
.LBB406_17:
	v_dual_mov_b32 v2, s2 :: v_dual_mov_b32 v3, s3
	flat_load_b32 v8, v[2:3]
	v_cmp_ne_u32_e32 vcc_lo, 1, v1
	v_mov_b32_e32 v9, s3
	s_cbranch_vccz .LBB406_4
	s_branch .LBB406_5
.LBB406_18:
	s_set_inst_prefetch_distance 0x2
	v_lshlrev_b32_e32 v3, 3, v0
	s_and_b32 vcc_lo, exec_lo, s3
	ds_store_b64 v3, v[1:2]
	s_waitcnt lgkmcnt(0)
	s_barrier
	buffer_gl0_inv
	s_cbranch_vccz .LBB406_30
; %bb.19:
	s_mov_b32 s0, exec_lo
	v_cmpx_gt_u16_e32 7, v12
	s_cbranch_execz .LBB406_21
; %bb.20:
	ds_load_2addr_b64 v[4:7], v3 offset1:16
	s_waitcnt lgkmcnt(0)
	v_dual_add_f32 v4, v6, v4 :: v_dual_add_f32 v5, v7, v5
	ds_store_b64 v3, v[4:5]
.LBB406_21:
	s_or_b32 exec_lo, exec_lo, s0
	s_delay_alu instid0(SALU_CYCLE_1)
	s_mov_b32 s0, exec_lo
	s_waitcnt lgkmcnt(0)
	s_barrier
	buffer_gl0_inv
	v_cmpx_gt_u16_e32 8, v12
	s_cbranch_execz .LBB406_23
; %bb.22:
	ds_load_2addr_b64 v[4:7], v3 offset1:8
	s_waitcnt lgkmcnt(0)
	v_dual_add_f32 v4, v6, v4 :: v_dual_add_f32 v5, v7, v5
	ds_store_b64 v3, v[4:5]
.LBB406_23:
	s_or_b32 exec_lo, exec_lo, s0
	s_delay_alu instid0(SALU_CYCLE_1)
	s_mov_b32 s0, exec_lo
	s_waitcnt lgkmcnt(0)
	s_barrier
	buffer_gl0_inv
	;; [unrolled: 14-line block ×3, first 2 shown]
	v_cmpx_gt_u16_e32 2, v12
	s_cbranch_execz .LBB406_27
; %bb.26:
	ds_load_2addr_b64 v[4:7], v3 offset1:2
	s_waitcnt lgkmcnt(0)
	v_dual_add_f32 v4, v6, v4 :: v_dual_add_f32 v5, v7, v5
	ds_store_b64 v3, v[4:5]
.LBB406_27:
	s_or_b32 exec_lo, exec_lo, s0
	s_mov_b32 s1, 0
	s_mov_b32 s0, 0
	s_mov_b32 s2, exec_lo
	s_waitcnt lgkmcnt(0)
	s_barrier
	buffer_gl0_inv
                                        ; implicit-def: $vgpr5
                                        ; implicit-def: $vgpr4
	v_cmpx_gt_u32_e32 23, v0
	s_xor_b32 s2, exec_lo, s2
; %bb.28:
	v_mul_u32_u24_e32 v5, 23, v0
	v_mad_u32_u24 v4, v0, 23, 1
	s_mov_b32 s0, exec_lo
	s_delay_alu instid0(VALU_DEP_2)
	v_lshlrev_b32_e32 v5, 3, v5
; %bb.29:
	s_or_b32 exec_lo, exec_lo, s2
	s_delay_alu instid0(SALU_CYCLE_1)
	s_and_b32 vcc_lo, exec_lo, s1
	s_cbranch_vccnz .LBB406_31
	s_branch .LBB406_42
.LBB406_30:
	s_mov_b32 s0, 0
                                        ; implicit-def: $vgpr5
                                        ; implicit-def: $vgpr4
	s_cbranch_execz .LBB406_42
.LBB406_31:
	s_mov_b32 s1, exec_lo
	v_cmpx_gt_u32_e32 0xa1, v0
	s_cbranch_execz .LBB406_33
; %bb.32:
	ds_load_b64 v[4:5], v3 offset:2944
	ds_load_b64 v[6:7], v3
	s_waitcnt lgkmcnt(0)
	v_dual_add_f32 v4, v4, v6 :: v_dual_add_f32 v5, v5, v7
	ds_store_b64 v3, v[4:5]
.LBB406_33:
	s_or_b32 exec_lo, exec_lo, s1
	s_delay_alu instid0(SALU_CYCLE_1)
	s_mov_b32 s1, exec_lo
	s_waitcnt lgkmcnt(0)
	s_barrier
	buffer_gl0_inv
	v_cmpx_gt_u32_e32 0xb8, v0
	s_cbranch_execz .LBB406_35
; %bb.34:
	ds_load_2addr_b64 v[4:7], v3 offset1:184
	s_waitcnt lgkmcnt(0)
	v_dual_add_f32 v4, v6, v4 :: v_dual_add_f32 v5, v7, v5
	ds_store_b64 v3, v[4:5]
.LBB406_35:
	s_or_b32 exec_lo, exec_lo, s1
	s_delay_alu instid0(SALU_CYCLE_1)
	s_mov_b32 s1, exec_lo
	s_waitcnt lgkmcnt(0)
	s_barrier
	buffer_gl0_inv
	v_cmpx_gt_u32_e32 0x5c, v0
	s_cbranch_execz .LBB406_37
; %bb.36:
	ds_load_2addr_b64 v[4:7], v3 offset1:92
	s_waitcnt lgkmcnt(0)
	v_dual_add_f32 v4, v6, v4 :: v_dual_add_f32 v5, v7, v5
	ds_store_b64 v3, v[4:5]
.LBB406_37:
	;; [unrolled: 14-line block ×3, first 2 shown]
	s_or_b32 exec_lo, exec_lo, s1
	s_delay_alu instid0(SALU_CYCLE_1)
	s_mov_b32 s1, exec_lo
	s_waitcnt lgkmcnt(0)
	buffer_gl0_inv
                                        ; implicit-def: $vgpr4
	v_cmpx_gt_u32_e32 23, v0
; %bb.40:
	v_add_nc_u32_e32 v4, 23, v0
                                        ; kill: def $vgpr1 killed $sgpr0 killed $exec
	s_or_b32 s0, s0, exec_lo
                                        ; implicit-def: $vgpr2
; %bb.41:
	s_or_b32 exec_lo, exec_lo, s1
	v_mov_b32_e32 v5, v3
.LBB406_42:
	s_and_saveexec_b32 s1, s0
	s_cbranch_execnz .LBB406_45
; %bb.43:
	s_or_b32 exec_lo, exec_lo, s1
	v_cmp_gt_u32_e32 vcc_lo, 23, v0
	s_and_b32 exec_lo, exec_lo, vcc_lo
	s_cbranch_execnz .LBB406_46
.LBB406_44:
	s_nop 0
	s_sendmsg sendmsg(MSG_DEALLOC_VGPRS)
	s_endpgm
.LBB406_45:
	v_lshlrev_b32_e32 v3, 3, v4
	ds_load_2addr_b32 v[1:2], v5 offset1:1
	ds_load_b64 v[3:4], v3
	s_waitcnt lgkmcnt(0)
	v_dual_add_f32 v2, v4, v2 :: v_dual_add_f32 v1, v3, v1
	s_or_b32 exec_lo, exec_lo, s1
	v_cmp_gt_u32_e32 vcc_lo, 23, v0
	s_and_b32 exec_lo, exec_lo, vcc_lo
	s_cbranch_execz .LBB406_44
.LBB406_46:
	v_mul_f32_e64 v3, v2, -v11
	v_mul_f32_e32 v4, v2, v10
	v_cmp_eq_f32_e32 vcc_lo, 0, v8
	v_cmp_eq_f32_e64 s0, 0, v9
	s_delay_alu instid0(VALU_DEP_4) | instskip(NEXT) | instid1(VALU_DEP_4)
	v_fmac_f32_e32 v3, v10, v1
	v_fmac_f32_e32 v4, v11, v1
	s_delay_alu instid0(VALU_DEP_3) | instskip(NEXT) | instid1(SALU_CYCLE_1)
	s_and_b32 s0, vcc_lo, s0
	s_and_saveexec_b32 s1, s0
	s_delay_alu instid0(SALU_CYCLE_1)
	s_xor_b32 s0, exec_lo, s1
	s_cbranch_execz .LBB406_48
; %bb.47:
	v_mad_u64_u32 v[1:2], null, s8, 23, v[0:1]
	v_mov_b32_e32 v2, 0
                                        ; implicit-def: $vgpr8
                                        ; implicit-def: $vgpr9
	s_delay_alu instid0(VALU_DEP_1) | instskip(NEXT) | instid1(VALU_DEP_1)
	v_lshlrev_b64 v[0:1], 3, v[1:2]
	v_add_co_u32 v0, vcc_lo, s10, v0
	s_delay_alu instid0(VALU_DEP_2)
	v_add_co_ci_u32_e32 v1, vcc_lo, s11, v1, vcc_lo
	global_store_b64 v[0:1], v[3:4], off
                                        ; implicit-def: $vgpr0
                                        ; implicit-def: $vgpr3
.LBB406_48:
	s_and_not1_saveexec_b32 s0, s0
	s_cbranch_execz .LBB406_44
; %bb.49:
	v_mad_u64_u32 v[1:2], null, s8, 23, v[0:1]
	v_mov_b32_e32 v2, 0
	s_delay_alu instid0(VALU_DEP_1) | instskip(NEXT) | instid1(VALU_DEP_1)
	v_lshlrev_b64 v[0:1], 3, v[1:2]
	v_add_co_u32 v0, vcc_lo, s10, v0
	s_delay_alu instid0(VALU_DEP_2) | instskip(SKIP_4) | instid1(VALU_DEP_2)
	v_add_co_ci_u32_e32 v1, vcc_lo, s11, v1, vcc_lo
	global_load_b64 v[5:6], v[0:1], off
	s_waitcnt vmcnt(0)
	v_fmac_f32_e32 v3, v8, v5
	v_fmac_f32_e32 v4, v9, v5
	v_fma_f32 v3, -v9, v6, v3
	s_delay_alu instid0(VALU_DEP_2)
	v_fmac_f32_e32 v4, v8, v6
	global_store_b64 v[0:1], v[3:4], off
	s_nop 0
	s_sendmsg sendmsg(MSG_DEALLOC_VGPRS)
	s_endpgm
	.section	.rodata,"a",@progbits
	.p2align	6, 0x0
	.amdhsa_kernel _ZN9rocsparseL20bsrxmvn_17_32_kernelILj23E21rocsparse_complex_numIfElifS2_S2_EEvT2_20rocsparse_direction_NS_24const_host_device_scalarIT0_EES3_PKS3_PKT1_SC_S9_PKT3_PKT4_S7_PT5_21rocsparse_index_base_b
		.amdhsa_group_segment_fixed_size 4232
		.amdhsa_private_segment_fixed_size 0
		.amdhsa_kernarg_size 96
		.amdhsa_user_sgpr_count 15
		.amdhsa_user_sgpr_dispatch_ptr 0
		.amdhsa_user_sgpr_queue_ptr 0
		.amdhsa_user_sgpr_kernarg_segment_ptr 1
		.amdhsa_user_sgpr_dispatch_id 0
		.amdhsa_user_sgpr_private_segment_size 0
		.amdhsa_wavefront_size32 1
		.amdhsa_uses_dynamic_stack 0
		.amdhsa_enable_private_segment 0
		.amdhsa_system_sgpr_workgroup_id_x 1
		.amdhsa_system_sgpr_workgroup_id_y 0
		.amdhsa_system_sgpr_workgroup_id_z 0
		.amdhsa_system_sgpr_workgroup_info 0
		.amdhsa_system_vgpr_workitem_id 0
		.amdhsa_next_free_vgpr 17
		.amdhsa_next_free_sgpr 20
		.amdhsa_reserve_vcc 1
		.amdhsa_float_round_mode_32 0
		.amdhsa_float_round_mode_16_64 0
		.amdhsa_float_denorm_mode_32 3
		.amdhsa_float_denorm_mode_16_64 3
		.amdhsa_dx10_clamp 1
		.amdhsa_ieee_mode 1
		.amdhsa_fp16_overflow 0
		.amdhsa_workgroup_processor_mode 1
		.amdhsa_memory_ordered 1
		.amdhsa_forward_progress 0
		.amdhsa_shared_vgpr_count 0
		.amdhsa_exception_fp_ieee_invalid_op 0
		.amdhsa_exception_fp_denorm_src 0
		.amdhsa_exception_fp_ieee_div_zero 0
		.amdhsa_exception_fp_ieee_overflow 0
		.amdhsa_exception_fp_ieee_underflow 0
		.amdhsa_exception_fp_ieee_inexact 0
		.amdhsa_exception_int_div_zero 0
	.end_amdhsa_kernel
	.section	.text._ZN9rocsparseL20bsrxmvn_17_32_kernelILj23E21rocsparse_complex_numIfElifS2_S2_EEvT2_20rocsparse_direction_NS_24const_host_device_scalarIT0_EES3_PKS3_PKT1_SC_S9_PKT3_PKT4_S7_PT5_21rocsparse_index_base_b,"axG",@progbits,_ZN9rocsparseL20bsrxmvn_17_32_kernelILj23E21rocsparse_complex_numIfElifS2_S2_EEvT2_20rocsparse_direction_NS_24const_host_device_scalarIT0_EES3_PKS3_PKT1_SC_S9_PKT3_PKT4_S7_PT5_21rocsparse_index_base_b,comdat
.Lfunc_end406:
	.size	_ZN9rocsparseL20bsrxmvn_17_32_kernelILj23E21rocsparse_complex_numIfElifS2_S2_EEvT2_20rocsparse_direction_NS_24const_host_device_scalarIT0_EES3_PKS3_PKT1_SC_S9_PKT3_PKT4_S7_PT5_21rocsparse_index_base_b, .Lfunc_end406-_ZN9rocsparseL20bsrxmvn_17_32_kernelILj23E21rocsparse_complex_numIfElifS2_S2_EEvT2_20rocsparse_direction_NS_24const_host_device_scalarIT0_EES3_PKS3_PKT1_SC_S9_PKT3_PKT4_S7_PT5_21rocsparse_index_base_b
                                        ; -- End function
	.section	.AMDGPU.csdata,"",@progbits
; Kernel info:
; codeLenInByte = 1924
; NumSgprs: 22
; NumVgprs: 17
; ScratchSize: 0
; MemoryBound: 0
; FloatMode: 240
; IeeeMode: 1
; LDSByteSize: 4232 bytes/workgroup (compile time only)
; SGPRBlocks: 2
; VGPRBlocks: 2
; NumSGPRsForWavesPerEU: 22
; NumVGPRsForWavesPerEU: 17
; Occupancy: 13
; WaveLimiterHint : 1
; COMPUTE_PGM_RSRC2:SCRATCH_EN: 0
; COMPUTE_PGM_RSRC2:USER_SGPR: 15
; COMPUTE_PGM_RSRC2:TRAP_HANDLER: 0
; COMPUTE_PGM_RSRC2:TGID_X_EN: 1
; COMPUTE_PGM_RSRC2:TGID_Y_EN: 0
; COMPUTE_PGM_RSRC2:TGID_Z_EN: 0
; COMPUTE_PGM_RSRC2:TIDIG_COMP_CNT: 0
	.section	.text._ZN9rocsparseL20bsrxmvn_17_32_kernelILj24E21rocsparse_complex_numIfElifS2_S2_EEvT2_20rocsparse_direction_NS_24const_host_device_scalarIT0_EES3_PKS3_PKT1_SC_S9_PKT3_PKT4_S7_PT5_21rocsparse_index_base_b,"axG",@progbits,_ZN9rocsparseL20bsrxmvn_17_32_kernelILj24E21rocsparse_complex_numIfElifS2_S2_EEvT2_20rocsparse_direction_NS_24const_host_device_scalarIT0_EES3_PKS3_PKT1_SC_S9_PKT3_PKT4_S7_PT5_21rocsparse_index_base_b,comdat
	.globl	_ZN9rocsparseL20bsrxmvn_17_32_kernelILj24E21rocsparse_complex_numIfElifS2_S2_EEvT2_20rocsparse_direction_NS_24const_host_device_scalarIT0_EES3_PKS3_PKT1_SC_S9_PKT3_PKT4_S7_PT5_21rocsparse_index_base_b ; -- Begin function _ZN9rocsparseL20bsrxmvn_17_32_kernelILj24E21rocsparse_complex_numIfElifS2_S2_EEvT2_20rocsparse_direction_NS_24const_host_device_scalarIT0_EES3_PKS3_PKT1_SC_S9_PKT3_PKT4_S7_PT5_21rocsparse_index_base_b
	.p2align	8
	.type	_ZN9rocsparseL20bsrxmvn_17_32_kernelILj24E21rocsparse_complex_numIfElifS2_S2_EEvT2_20rocsparse_direction_NS_24const_host_device_scalarIT0_EES3_PKS3_PKT1_SC_S9_PKT3_PKT4_S7_PT5_21rocsparse_index_base_b,@function
_ZN9rocsparseL20bsrxmvn_17_32_kernelILj24E21rocsparse_complex_numIfElifS2_S2_EEvT2_20rocsparse_direction_NS_24const_host_device_scalarIT0_EES3_PKS3_PKT1_SC_S9_PKT3_PKT4_S7_PT5_21rocsparse_index_base_b: ; @_ZN9rocsparseL20bsrxmvn_17_32_kernelILj24E21rocsparse_complex_numIfElifS2_S2_EEvT2_20rocsparse_direction_NS_24const_host_device_scalarIT0_EES3_PKS3_PKT1_SC_S9_PKT3_PKT4_S7_PT5_21rocsparse_index_base_b
; %bb.0:
	s_clause 0x2
	s_load_b64 s[12:13], s[0:1], 0x58
	s_load_b64 s[4:5], s[0:1], 0x8
	;; [unrolled: 1-line block ×3, first 2 shown]
	s_mov_b32 s8, s15
	s_waitcnt lgkmcnt(0)
	s_bitcmp1_b32 s13, 0
	v_mov_b32_e32 v10, s4
	s_cselect_b32 s6, -1, 0
	s_delay_alu instid0(SALU_CYCLE_1)
	s_and_b32 vcc_lo, exec_lo, s6
	s_xor_b32 s6, s6, -1
	s_cbranch_vccz .LBB407_15
; %bb.1:
	v_cndmask_b32_e64 v1, 0, 1, s6
	v_mov_b32_e32 v11, s5
	s_and_not1_b32 vcc_lo, exec_lo, s6
	s_cbranch_vccz .LBB407_16
.LBB407_2:
	s_delay_alu instid0(VALU_DEP_2)
	v_cmp_ne_u32_e32 vcc_lo, 1, v1
	v_mov_b32_e32 v8, s2
	s_cbranch_vccz .LBB407_17
.LBB407_3:
	v_cmp_ne_u32_e32 vcc_lo, 1, v1
	v_mov_b32_e32 v9, s3
	s_cbranch_vccnz .LBB407_5
.LBB407_4:
	v_dual_mov_b32 v1, s2 :: v_dual_mov_b32 v2, s3
	flat_load_b32 v9, v[1:2] offset:4
.LBB407_5:
	s_waitcnt vmcnt(0) lgkmcnt(0)
	v_cmp_eq_f32_e32 vcc_lo, 0, v10
	v_cmp_eq_f32_e64 s2, 0, v11
	s_delay_alu instid0(VALU_DEP_1)
	s_and_b32 s4, vcc_lo, s2
	s_mov_b32 s2, -1
	s_and_saveexec_b32 s3, s4
; %bb.6:
	v_cmp_neq_f32_e32 vcc_lo, 1.0, v8
	v_cmp_neq_f32_e64 s2, 0, v9
	s_delay_alu instid0(VALU_DEP_1) | instskip(NEXT) | instid1(SALU_CYCLE_1)
	s_or_b32 s2, vcc_lo, s2
	s_or_not1_b32 s2, s2, exec_lo
; %bb.7:
	s_or_b32 exec_lo, exec_lo, s3
	s_and_saveexec_b32 s3, s2
	s_cbranch_execz .LBB407_44
; %bb.8:
	s_clause 0x1
	s_load_b128 s[4:7], s[0:1], 0x18
	s_load_b64 s[10:11], s[0:1], 0x28
	s_waitcnt lgkmcnt(0)
	s_cmp_eq_u64 s[4:5], 0
	s_cbranch_scc1 .LBB407_10
; %bb.9:
	s_ashr_i32 s9, s8, 31
	s_delay_alu instid0(SALU_CYCLE_1) | instskip(NEXT) | instid1(SALU_CYCLE_1)
	s_lshl_b64 s[2:3], s[8:9], 2
	s_add_u32 s2, s4, s2
	s_addc_u32 s3, s5, s3
	s_load_b32 s2, s[2:3], 0x0
	s_waitcnt lgkmcnt(0)
	s_sub_i32 s8, s2, s12
.LBB407_10:
	s_load_b32 s3, s[0:1], 0x4
	v_mul_u32_u24_e32 v1, 0xaab, v0
	v_mov_b32_e32 v2, 0
	s_delay_alu instid0(VALU_DEP_2) | instskip(NEXT) | instid1(VALU_DEP_1)
	v_lshrrev_b32_e32 v3, 16, v1
	v_mul_lo_u16 v1, v3, 24
	s_delay_alu instid0(VALU_DEP_1)
	v_sub_nc_u16 v12, v0, v1
	v_mov_b32_e32 v1, 0
	s_waitcnt lgkmcnt(0)
	s_cmp_eq_u32 s3, 1
	s_cselect_b32 s2, -1, 0
	s_cmp_lg_u32 s3, 1
	s_cselect_b32 s3, -1, 0
	s_ashr_i32 s9, s8, 31
	s_delay_alu instid0(SALU_CYCLE_1) | instskip(NEXT) | instid1(SALU_CYCLE_1)
	s_lshl_b64 s[4:5], s[8:9], 3
	s_add_u32 s6, s6, s4
	s_addc_u32 s7, s7, s5
	s_add_u32 s9, s6, 8
	s_addc_u32 s13, s7, 0
	;; [unrolled: 2-line block ×3, first 2 shown]
	s_cmp_eq_u64 s[10:11], 0
	s_load_b64 s[10:11], s[0:1], 0x50
	s_cselect_b32 s5, s13, s5
	s_cselect_b32 s4, s9, s4
	s_load_b64 s[18:19], s[6:7], 0x0
	s_load_b64 s[14:15], s[4:5], 0x0
	s_waitcnt lgkmcnt(0)
	v_cmp_ge_i64_e64 s4, s[18:19], s[14:15]
	s_delay_alu instid0(VALU_DEP_1)
	s_and_b32 vcc_lo, exec_lo, s4
	s_cbranch_vccnz .LBB407_18
; %bb.11:
	v_and_b32_e32 v1, 0xffff, v3
	v_cmp_lt_u32_e32 vcc_lo, 0x23f, v0
	s_clause 0x1
	s_load_b128 s[4:7], s[0:1], 0x30
	s_load_b64 s[0:1], s[0:1], 0x40
	s_sub_u32 s14, s14, s12
	s_subb_u32 s15, s15, 0
	v_subrev_nc_u32_e32 v3, 24, v1
	v_cndmask_b32_e64 v13, 0, 1, vcc_lo
	v_cmp_gt_u32_e32 vcc_lo, 0x240, v0
	v_and_b32_e32 v2, 0xffff, v12
	s_sub_u32 s16, s18, s12
	s_subb_u32 s17, s19, 0
	s_mul_hi_u32 s9, s16, 0x900
	v_cndmask_b32_e32 v1, v3, v1, vcc_lo
	s_mul_i32 s13, s17, 0x900
	s_delay_alu instid0(SALU_CYCLE_1) | instskip(NEXT) | instid1(VALU_DEP_1)
	s_add_i32 s9, s9, s13
	v_cndmask_b32_e64 v3, v2, v1, s2
	v_add_co_u32 v1, s2, s18, v13
	s_delay_alu instid0(VALU_DEP_1) | instskip(SKIP_1) | instid1(VALU_DEP_2)
	v_add_co_ci_u32_e64 v2, null, s19, 0, s2
	s_mul_i32 s2, s16, 0x900
	v_sub_co_u32 v1, vcc_lo, v1, s12
	s_delay_alu instid0(VALU_DEP_2) | instskip(SKIP_3) | instid1(VALU_DEP_1)
	v_subrev_co_ci_u32_e32 v2, vcc_lo, 0, v2, vcc_lo
	s_waitcnt lgkmcnt(0)
	s_add_u32 s2, s6, s2
	s_addc_u32 s6, s7, s9
	v_lshlrev_b64 v[6:7], 2, v[1:2]
	v_mov_b32_e32 v2, 0
	s_delay_alu instid0(VALU_DEP_1) | instskip(NEXT) | instid1(VALU_DEP_1)
	v_dual_mov_b32 v1, v2 :: v_dual_lshlrev_b32 v4, 2, v0
	v_add_co_u32 v4, s2, s2, v4
	s_delay_alu instid0(VALU_DEP_4)
	v_add_co_u32 v6, vcc_lo, s4, v6
	v_add_co_ci_u32_e64 v5, null, s6, 0, s2
	v_add_co_ci_u32_e32 v7, vcc_lo, s5, v7, vcc_lo
	s_set_inst_prefetch_distance 0x1
	s_branch .LBB407_13
	.p2align	6
.LBB407_12:                             ;   in Loop: Header=BB407_13 Depth=1
	s_or_b32 exec_lo, exec_lo, s2
	s_add_u32 s16, s16, 1
	s_addc_u32 s17, s17, 0
	v_add_co_u32 v6, vcc_lo, v6, 4
	v_cmp_lt_i64_e64 s2, s[16:17], s[14:15]
	v_add_co_ci_u32_e32 v7, vcc_lo, 0, v7, vcc_lo
	s_delay_alu instid0(VALU_DEP_2)
	s_and_b32 vcc_lo, exec_lo, s2
	s_cbranch_vccz .LBB407_18
.LBB407_13:                             ; =>This Inner Loop Header: Depth=1
	v_add_co_u32 v14, s2, v13, s16
	s_delay_alu instid0(VALU_DEP_1) | instskip(SKIP_1) | instid1(VALU_DEP_1)
	v_add_co_ci_u32_e64 v15, null, 0, s17, s2
	s_mov_b32 s2, exec_lo
	v_cmpx_gt_i64_e64 s[14:15], v[14:15]
	s_cbranch_execz .LBB407_12
; %bb.14:                               ;   in Loop: Header=BB407_13 Depth=1
	global_load_b32 v14, v[6:7], off
	s_waitcnt vmcnt(0)
	v_subrev_nc_u32_e32 v16, s12, v14
	s_delay_alu instid0(VALU_DEP_1) | instskip(NEXT) | instid1(VALU_DEP_1)
	v_mad_u64_u32 v[14:15], null, v16, 24, v[3:4]
	v_ashrrev_i32_e32 v15, 31, v14
	s_delay_alu instid0(VALU_DEP_1) | instskip(NEXT) | instid1(VALU_DEP_1)
	v_lshlrev_b64 v[14:15], 3, v[14:15]
	v_add_co_u32 v14, vcc_lo, s0, v14
	s_delay_alu instid0(VALU_DEP_2)
	v_add_co_ci_u32_e32 v15, vcc_lo, s1, v15, vcc_lo
	global_load_b32 v16, v[4:5], off
	global_load_b64 v[14:15], v[14:15], off
	v_add_co_u32 v4, vcc_lo, 0x900, v4
	v_add_co_ci_u32_e32 v5, vcc_lo, 0, v5, vcc_lo
	s_waitcnt vmcnt(0)
	v_fmac_f32_e32 v1, v16, v14
	s_delay_alu instid0(VALU_DEP_1) | instskip(NEXT) | instid1(VALU_DEP_1)
	v_dual_fmac_f32 v2, 0, v14 :: v_dual_fmac_f32 v1, 0x80000000, v15
	v_fmac_f32_e32 v2, v16, v15
	s_branch .LBB407_12
.LBB407_15:
	v_dual_mov_b32 v1, s4 :: v_dual_mov_b32 v2, s5
	flat_load_b32 v10, v[1:2]
	v_cndmask_b32_e64 v1, 0, 1, s6
	v_mov_b32_e32 v11, s5
	s_and_not1_b32 vcc_lo, exec_lo, s6
	s_cbranch_vccnz .LBB407_2
.LBB407_16:
	v_dual_mov_b32 v2, s4 :: v_dual_mov_b32 v3, s5
	flat_load_b32 v11, v[2:3] offset:4
	v_cmp_ne_u32_e32 vcc_lo, 1, v1
	v_mov_b32_e32 v8, s2
	s_cbranch_vccnz .LBB407_3
.LBB407_17:
	v_dual_mov_b32 v2, s2 :: v_dual_mov_b32 v3, s3
	flat_load_b32 v8, v[2:3]
	v_cmp_ne_u32_e32 vcc_lo, 1, v1
	v_mov_b32_e32 v9, s3
	s_cbranch_vccz .LBB407_4
	s_branch .LBB407_5
.LBB407_18:
	s_set_inst_prefetch_distance 0x2
	v_lshlrev_b32_e32 v3, 3, v0
	s_and_b32 vcc_lo, exec_lo, s3
	ds_store_b64 v3, v[1:2]
	s_waitcnt lgkmcnt(0)
	s_barrier
	buffer_gl0_inv
	s_cbranch_vccz .LBB407_30
; %bb.19:
	v_cmp_gt_u16_e32 vcc_lo, 8, v12
	s_and_saveexec_b32 s0, vcc_lo
	s_cbranch_execz .LBB407_21
; %bb.20:
	ds_load_2addr_b64 v[4:7], v3 offset1:16
	s_waitcnt lgkmcnt(0)
	v_dual_add_f32 v4, v6, v4 :: v_dual_add_f32 v5, v7, v5
	ds_store_b64 v3, v[4:5]
.LBB407_21:
	s_or_b32 exec_lo, exec_lo, s0
	s_waitcnt lgkmcnt(0)
	s_barrier
	buffer_gl0_inv
	s_and_saveexec_b32 s0, vcc_lo
	s_cbranch_execz .LBB407_23
; %bb.22:
	ds_load_2addr_b64 v[4:7], v3 offset1:8
	s_waitcnt lgkmcnt(0)
	v_dual_add_f32 v4, v6, v4 :: v_dual_add_f32 v5, v7, v5
	ds_store_b64 v3, v[4:5]
.LBB407_23:
	s_or_b32 exec_lo, exec_lo, s0
	s_delay_alu instid0(SALU_CYCLE_1)
	s_mov_b32 s0, exec_lo
	s_waitcnt lgkmcnt(0)
	s_barrier
	buffer_gl0_inv
	v_cmpx_gt_u16_e32 4, v12
	s_cbranch_execz .LBB407_25
; %bb.24:
	ds_load_2addr_b64 v[4:7], v3 offset1:4
	s_waitcnt lgkmcnt(0)
	v_dual_add_f32 v4, v6, v4 :: v_dual_add_f32 v5, v7, v5
	ds_store_b64 v3, v[4:5]
.LBB407_25:
	s_or_b32 exec_lo, exec_lo, s0
	s_delay_alu instid0(SALU_CYCLE_1)
	s_mov_b32 s0, exec_lo
	s_waitcnt lgkmcnt(0)
	s_barrier
	buffer_gl0_inv
	v_cmpx_gt_u16_e32 2, v12
	s_cbranch_execz .LBB407_27
; %bb.26:
	ds_load_2addr_b64 v[4:7], v3 offset1:2
	s_waitcnt lgkmcnt(0)
	v_dual_add_f32 v4, v6, v4 :: v_dual_add_f32 v5, v7, v5
	ds_store_b64 v3, v[4:5]
.LBB407_27:
	s_or_b32 exec_lo, exec_lo, s0
	s_mov_b32 s1, 0
	s_mov_b32 s0, 0
	s_mov_b32 s2, exec_lo
	s_waitcnt lgkmcnt(0)
	s_barrier
	buffer_gl0_inv
                                        ; implicit-def: $vgpr5
                                        ; implicit-def: $vgpr4
	v_cmpx_gt_u32_e32 24, v0
	s_xor_b32 s2, exec_lo, s2
; %bb.28:
	v_mul_u32_u24_e32 v4, 24, v0
	s_mov_b32 s0, exec_lo
	s_delay_alu instid0(VALU_DEP_1)
	v_lshlrev_b32_e32 v5, 3, v4
	v_or_b32_e32 v4, 1, v4
; %bb.29:
	s_or_b32 exec_lo, exec_lo, s2
	s_delay_alu instid0(SALU_CYCLE_1)
	s_and_b32 vcc_lo, exec_lo, s1
	s_cbranch_vccnz .LBB407_31
	s_branch .LBB407_42
.LBB407_30:
	s_mov_b32 s0, 0
                                        ; implicit-def: $vgpr5
                                        ; implicit-def: $vgpr4
	s_cbranch_execz .LBB407_42
.LBB407_31:
	v_cmp_gt_u32_e32 vcc_lo, 0xc0, v0
	s_and_saveexec_b32 s1, vcc_lo
	s_cbranch_execz .LBB407_33
; %bb.32:
	ds_load_2addr_stride64_b64 v[4:7], v3 offset1:6
	s_waitcnt lgkmcnt(0)
	v_dual_add_f32 v4, v6, v4 :: v_dual_add_f32 v5, v7, v5
	ds_store_b64 v3, v[4:5]
.LBB407_33:
	s_or_b32 exec_lo, exec_lo, s1
	s_waitcnt lgkmcnt(0)
	s_barrier
	buffer_gl0_inv
	s_and_saveexec_b32 s1, vcc_lo
	s_cbranch_execz .LBB407_35
; %bb.34:
	ds_load_2addr_stride64_b64 v[4:7], v3 offset1:3
	s_waitcnt lgkmcnt(0)
	v_dual_add_f32 v4, v6, v4 :: v_dual_add_f32 v5, v7, v5
	ds_store_b64 v3, v[4:5]
.LBB407_35:
	s_or_b32 exec_lo, exec_lo, s1
	s_delay_alu instid0(SALU_CYCLE_1)
	s_mov_b32 s1, exec_lo
	s_waitcnt lgkmcnt(0)
	s_barrier
	buffer_gl0_inv
	v_cmpx_gt_u32_e32 0x60, v0
	s_cbranch_execz .LBB407_37
; %bb.36:
	ds_load_2addr_b64 v[4:7], v3 offset1:96
	s_waitcnt lgkmcnt(0)
	v_dual_add_f32 v4, v6, v4 :: v_dual_add_f32 v5, v7, v5
	ds_store_b64 v3, v[4:5]
.LBB407_37:
	s_or_b32 exec_lo, exec_lo, s1
	s_delay_alu instid0(SALU_CYCLE_1)
	s_mov_b32 s1, exec_lo
	s_waitcnt lgkmcnt(0)
	s_barrier
	buffer_gl0_inv
	v_cmpx_gt_u32_e32 48, v0
	s_cbranch_execz .LBB407_39
; %bb.38:
	ds_load_2addr_b64 v[4:7], v3 offset1:48
	s_waitcnt lgkmcnt(0)
	v_dual_add_f32 v4, v6, v4 :: v_dual_add_f32 v5, v7, v5
	ds_store_b64 v3, v[4:5]
.LBB407_39:
	s_or_b32 exec_lo, exec_lo, s1
	s_delay_alu instid0(SALU_CYCLE_1)
	s_mov_b32 s1, exec_lo
	s_waitcnt lgkmcnt(0)
	buffer_gl0_inv
                                        ; implicit-def: $vgpr4
	v_cmpx_gt_u32_e32 24, v0
; %bb.40:
	v_add_nc_u32_e32 v4, 24, v0
                                        ; kill: def $vgpr1 killed $sgpr0 killed $exec
	s_or_b32 s0, s0, exec_lo
                                        ; implicit-def: $vgpr2
; %bb.41:
	s_or_b32 exec_lo, exec_lo, s1
	v_mov_b32_e32 v5, v3
.LBB407_42:
	s_and_saveexec_b32 s1, s0
	s_cbranch_execnz .LBB407_45
; %bb.43:
	s_or_b32 exec_lo, exec_lo, s1
	v_cmp_gt_u32_e32 vcc_lo, 24, v0
	s_and_b32 exec_lo, exec_lo, vcc_lo
	s_cbranch_execnz .LBB407_46
.LBB407_44:
	s_nop 0
	s_sendmsg sendmsg(MSG_DEALLOC_VGPRS)
	s_endpgm
.LBB407_45:
	v_lshlrev_b32_e32 v3, 3, v4
	ds_load_2addr_b32 v[1:2], v5 offset1:1
	ds_load_b64 v[3:4], v3
	s_waitcnt lgkmcnt(0)
	v_dual_add_f32 v2, v4, v2 :: v_dual_add_f32 v1, v3, v1
	s_or_b32 exec_lo, exec_lo, s1
	v_cmp_gt_u32_e32 vcc_lo, 24, v0
	s_and_b32 exec_lo, exec_lo, vcc_lo
	s_cbranch_execz .LBB407_44
.LBB407_46:
	v_mul_f32_e64 v3, v2, -v11
	v_mul_f32_e32 v4, v2, v10
	v_cmp_eq_f32_e32 vcc_lo, 0, v8
	v_cmp_eq_f32_e64 s0, 0, v9
	s_delay_alu instid0(VALU_DEP_4) | instskip(NEXT) | instid1(VALU_DEP_4)
	v_fmac_f32_e32 v3, v10, v1
	v_fmac_f32_e32 v4, v11, v1
	s_delay_alu instid0(VALU_DEP_3) | instskip(NEXT) | instid1(SALU_CYCLE_1)
	s_and_b32 s0, vcc_lo, s0
	s_and_saveexec_b32 s1, s0
	s_delay_alu instid0(SALU_CYCLE_1)
	s_xor_b32 s0, exec_lo, s1
	s_cbranch_execz .LBB407_48
; %bb.47:
	v_mad_u64_u32 v[1:2], null, s8, 24, v[0:1]
	v_mov_b32_e32 v2, 0
                                        ; implicit-def: $vgpr8
                                        ; implicit-def: $vgpr9
	s_delay_alu instid0(VALU_DEP_1) | instskip(NEXT) | instid1(VALU_DEP_1)
	v_lshlrev_b64 v[0:1], 3, v[1:2]
	v_add_co_u32 v0, vcc_lo, s10, v0
	s_delay_alu instid0(VALU_DEP_2)
	v_add_co_ci_u32_e32 v1, vcc_lo, s11, v1, vcc_lo
	global_store_b64 v[0:1], v[3:4], off
                                        ; implicit-def: $vgpr0
                                        ; implicit-def: $vgpr3
.LBB407_48:
	s_and_not1_saveexec_b32 s0, s0
	s_cbranch_execz .LBB407_44
; %bb.49:
	v_mad_u64_u32 v[1:2], null, s8, 24, v[0:1]
	v_mov_b32_e32 v2, 0
	s_delay_alu instid0(VALU_DEP_1) | instskip(NEXT) | instid1(VALU_DEP_1)
	v_lshlrev_b64 v[0:1], 3, v[1:2]
	v_add_co_u32 v0, vcc_lo, s10, v0
	s_delay_alu instid0(VALU_DEP_2) | instskip(SKIP_4) | instid1(VALU_DEP_2)
	v_add_co_ci_u32_e32 v1, vcc_lo, s11, v1, vcc_lo
	global_load_b64 v[5:6], v[0:1], off
	s_waitcnt vmcnt(0)
	v_fmac_f32_e32 v3, v8, v5
	v_fmac_f32_e32 v4, v9, v5
	v_fma_f32 v3, -v9, v6, v3
	s_delay_alu instid0(VALU_DEP_2)
	v_fmac_f32_e32 v4, v8, v6
	global_store_b64 v[0:1], v[3:4], off
	s_nop 0
	s_sendmsg sendmsg(MSG_DEALLOC_VGPRS)
	s_endpgm
	.section	.rodata,"a",@progbits
	.p2align	6, 0x0
	.amdhsa_kernel _ZN9rocsparseL20bsrxmvn_17_32_kernelILj24E21rocsparse_complex_numIfElifS2_S2_EEvT2_20rocsparse_direction_NS_24const_host_device_scalarIT0_EES3_PKS3_PKT1_SC_S9_PKT3_PKT4_S7_PT5_21rocsparse_index_base_b
		.amdhsa_group_segment_fixed_size 4608
		.amdhsa_private_segment_fixed_size 0
		.amdhsa_kernarg_size 96
		.amdhsa_user_sgpr_count 15
		.amdhsa_user_sgpr_dispatch_ptr 0
		.amdhsa_user_sgpr_queue_ptr 0
		.amdhsa_user_sgpr_kernarg_segment_ptr 1
		.amdhsa_user_sgpr_dispatch_id 0
		.amdhsa_user_sgpr_private_segment_size 0
		.amdhsa_wavefront_size32 1
		.amdhsa_uses_dynamic_stack 0
		.amdhsa_enable_private_segment 0
		.amdhsa_system_sgpr_workgroup_id_x 1
		.amdhsa_system_sgpr_workgroup_id_y 0
		.amdhsa_system_sgpr_workgroup_id_z 0
		.amdhsa_system_sgpr_workgroup_info 0
		.amdhsa_system_vgpr_workitem_id 0
		.amdhsa_next_free_vgpr 17
		.amdhsa_next_free_sgpr 20
		.amdhsa_reserve_vcc 1
		.amdhsa_float_round_mode_32 0
		.amdhsa_float_round_mode_16_64 0
		.amdhsa_float_denorm_mode_32 3
		.amdhsa_float_denorm_mode_16_64 3
		.amdhsa_dx10_clamp 1
		.amdhsa_ieee_mode 1
		.amdhsa_fp16_overflow 0
		.amdhsa_workgroup_processor_mode 1
		.amdhsa_memory_ordered 1
		.amdhsa_forward_progress 0
		.amdhsa_shared_vgpr_count 0
		.amdhsa_exception_fp_ieee_invalid_op 0
		.amdhsa_exception_fp_denorm_src 0
		.amdhsa_exception_fp_ieee_div_zero 0
		.amdhsa_exception_fp_ieee_overflow 0
		.amdhsa_exception_fp_ieee_underflow 0
		.amdhsa_exception_fp_ieee_inexact 0
		.amdhsa_exception_int_div_zero 0
	.end_amdhsa_kernel
	.section	.text._ZN9rocsparseL20bsrxmvn_17_32_kernelILj24E21rocsparse_complex_numIfElifS2_S2_EEvT2_20rocsparse_direction_NS_24const_host_device_scalarIT0_EES3_PKS3_PKT1_SC_S9_PKT3_PKT4_S7_PT5_21rocsparse_index_base_b,"axG",@progbits,_ZN9rocsparseL20bsrxmvn_17_32_kernelILj24E21rocsparse_complex_numIfElifS2_S2_EEvT2_20rocsparse_direction_NS_24const_host_device_scalarIT0_EES3_PKS3_PKT1_SC_S9_PKT3_PKT4_S7_PT5_21rocsparse_index_base_b,comdat
.Lfunc_end407:
	.size	_ZN9rocsparseL20bsrxmvn_17_32_kernelILj24E21rocsparse_complex_numIfElifS2_S2_EEvT2_20rocsparse_direction_NS_24const_host_device_scalarIT0_EES3_PKS3_PKT1_SC_S9_PKT3_PKT4_S7_PT5_21rocsparse_index_base_b, .Lfunc_end407-_ZN9rocsparseL20bsrxmvn_17_32_kernelILj24E21rocsparse_complex_numIfElifS2_S2_EEvT2_20rocsparse_direction_NS_24const_host_device_scalarIT0_EES3_PKS3_PKT1_SC_S9_PKT3_PKT4_S7_PT5_21rocsparse_index_base_b
                                        ; -- End function
	.section	.AMDGPU.csdata,"",@progbits
; Kernel info:
; codeLenInByte = 1892
; NumSgprs: 22
; NumVgprs: 17
; ScratchSize: 0
; MemoryBound: 0
; FloatMode: 240
; IeeeMode: 1
; LDSByteSize: 4608 bytes/workgroup (compile time only)
; SGPRBlocks: 2
; VGPRBlocks: 2
; NumSGPRsForWavesPerEU: 22
; NumVGPRsForWavesPerEU: 17
; Occupancy: 14
; WaveLimiterHint : 1
; COMPUTE_PGM_RSRC2:SCRATCH_EN: 0
; COMPUTE_PGM_RSRC2:USER_SGPR: 15
; COMPUTE_PGM_RSRC2:TRAP_HANDLER: 0
; COMPUTE_PGM_RSRC2:TGID_X_EN: 1
; COMPUTE_PGM_RSRC2:TGID_Y_EN: 0
; COMPUTE_PGM_RSRC2:TGID_Z_EN: 0
; COMPUTE_PGM_RSRC2:TIDIG_COMP_CNT: 0
	.section	.text._ZN9rocsparseL20bsrxmvn_17_32_kernelILj25E21rocsparse_complex_numIfElifS2_S2_EEvT2_20rocsparse_direction_NS_24const_host_device_scalarIT0_EES3_PKS3_PKT1_SC_S9_PKT3_PKT4_S7_PT5_21rocsparse_index_base_b,"axG",@progbits,_ZN9rocsparseL20bsrxmvn_17_32_kernelILj25E21rocsparse_complex_numIfElifS2_S2_EEvT2_20rocsparse_direction_NS_24const_host_device_scalarIT0_EES3_PKS3_PKT1_SC_S9_PKT3_PKT4_S7_PT5_21rocsparse_index_base_b,comdat
	.globl	_ZN9rocsparseL20bsrxmvn_17_32_kernelILj25E21rocsparse_complex_numIfElifS2_S2_EEvT2_20rocsparse_direction_NS_24const_host_device_scalarIT0_EES3_PKS3_PKT1_SC_S9_PKT3_PKT4_S7_PT5_21rocsparse_index_base_b ; -- Begin function _ZN9rocsparseL20bsrxmvn_17_32_kernelILj25E21rocsparse_complex_numIfElifS2_S2_EEvT2_20rocsparse_direction_NS_24const_host_device_scalarIT0_EES3_PKS3_PKT1_SC_S9_PKT3_PKT4_S7_PT5_21rocsparse_index_base_b
	.p2align	8
	.type	_ZN9rocsparseL20bsrxmvn_17_32_kernelILj25E21rocsparse_complex_numIfElifS2_S2_EEvT2_20rocsparse_direction_NS_24const_host_device_scalarIT0_EES3_PKS3_PKT1_SC_S9_PKT3_PKT4_S7_PT5_21rocsparse_index_base_b,@function
_ZN9rocsparseL20bsrxmvn_17_32_kernelILj25E21rocsparse_complex_numIfElifS2_S2_EEvT2_20rocsparse_direction_NS_24const_host_device_scalarIT0_EES3_PKS3_PKT1_SC_S9_PKT3_PKT4_S7_PT5_21rocsparse_index_base_b: ; @_ZN9rocsparseL20bsrxmvn_17_32_kernelILj25E21rocsparse_complex_numIfElifS2_S2_EEvT2_20rocsparse_direction_NS_24const_host_device_scalarIT0_EES3_PKS3_PKT1_SC_S9_PKT3_PKT4_S7_PT5_21rocsparse_index_base_b
; %bb.0:
	s_clause 0x2
	s_load_b64 s[12:13], s[0:1], 0x58
	s_load_b64 s[4:5], s[0:1], 0x8
	;; [unrolled: 1-line block ×3, first 2 shown]
	s_mov_b32 s8, s15
	s_waitcnt lgkmcnt(0)
	s_bitcmp1_b32 s13, 0
	v_mov_b32_e32 v10, s4
	s_cselect_b32 s6, -1, 0
	s_delay_alu instid0(SALU_CYCLE_1)
	s_and_b32 vcc_lo, exec_lo, s6
	s_xor_b32 s6, s6, -1
	s_cbranch_vccz .LBB408_15
; %bb.1:
	v_cndmask_b32_e64 v1, 0, 1, s6
	v_mov_b32_e32 v11, s5
	s_and_not1_b32 vcc_lo, exec_lo, s6
	s_cbranch_vccz .LBB408_16
.LBB408_2:
	s_delay_alu instid0(VALU_DEP_2)
	v_cmp_ne_u32_e32 vcc_lo, 1, v1
	v_mov_b32_e32 v8, s2
	s_cbranch_vccz .LBB408_17
.LBB408_3:
	v_cmp_ne_u32_e32 vcc_lo, 1, v1
	v_mov_b32_e32 v9, s3
	s_cbranch_vccnz .LBB408_5
.LBB408_4:
	v_dual_mov_b32 v1, s2 :: v_dual_mov_b32 v2, s3
	flat_load_b32 v9, v[1:2] offset:4
.LBB408_5:
	s_waitcnt vmcnt(0) lgkmcnt(0)
	v_cmp_eq_f32_e32 vcc_lo, 0, v10
	v_cmp_eq_f32_e64 s2, 0, v11
	s_delay_alu instid0(VALU_DEP_1)
	s_and_b32 s4, vcc_lo, s2
	s_mov_b32 s2, -1
	s_and_saveexec_b32 s3, s4
; %bb.6:
	v_cmp_neq_f32_e32 vcc_lo, 1.0, v8
	v_cmp_neq_f32_e64 s2, 0, v9
	s_delay_alu instid0(VALU_DEP_1) | instskip(NEXT) | instid1(SALU_CYCLE_1)
	s_or_b32 s2, vcc_lo, s2
	s_or_not1_b32 s2, s2, exec_lo
; %bb.7:
	s_or_b32 exec_lo, exec_lo, s3
	s_and_saveexec_b32 s3, s2
	s_cbranch_execz .LBB408_44
; %bb.8:
	s_clause 0x1
	s_load_b128 s[4:7], s[0:1], 0x18
	s_load_b64 s[10:11], s[0:1], 0x28
	s_waitcnt lgkmcnt(0)
	s_cmp_eq_u64 s[4:5], 0
	s_cbranch_scc1 .LBB408_10
; %bb.9:
	s_ashr_i32 s9, s8, 31
	s_delay_alu instid0(SALU_CYCLE_1) | instskip(NEXT) | instid1(SALU_CYCLE_1)
	s_lshl_b64 s[2:3], s[8:9], 2
	s_add_u32 s2, s4, s2
	s_addc_u32 s3, s5, s3
	s_load_b32 s2, s[2:3], 0x0
	s_waitcnt lgkmcnt(0)
	s_sub_i32 s8, s2, s12
.LBB408_10:
	s_load_b32 s3, s[0:1], 0x4
	v_mul_u32_u24_e32 v1, 0xa3e, v0
	v_mov_b32_e32 v2, 0
	s_delay_alu instid0(VALU_DEP_2) | instskip(NEXT) | instid1(VALU_DEP_1)
	v_lshrrev_b32_e32 v3, 16, v1
	v_mul_lo_u16 v1, v3, 25
	s_delay_alu instid0(VALU_DEP_1)
	v_sub_nc_u16 v12, v0, v1
	v_mov_b32_e32 v1, 0
	s_waitcnt lgkmcnt(0)
	s_cmp_eq_u32 s3, 1
	s_cselect_b32 s2, -1, 0
	s_cmp_lg_u32 s3, 1
	s_cselect_b32 s3, -1, 0
	s_ashr_i32 s9, s8, 31
	s_delay_alu instid0(SALU_CYCLE_1) | instskip(NEXT) | instid1(SALU_CYCLE_1)
	s_lshl_b64 s[4:5], s[8:9], 3
	s_add_u32 s6, s6, s4
	s_addc_u32 s7, s7, s5
	s_add_u32 s9, s6, 8
	s_addc_u32 s13, s7, 0
	;; [unrolled: 2-line block ×3, first 2 shown]
	s_cmp_eq_u64 s[10:11], 0
	s_load_b64 s[10:11], s[0:1], 0x50
	s_cselect_b32 s5, s13, s5
	s_cselect_b32 s4, s9, s4
	s_load_b64 s[18:19], s[6:7], 0x0
	s_load_b64 s[14:15], s[4:5], 0x0
	s_waitcnt lgkmcnt(0)
	v_cmp_ge_i64_e64 s4, s[18:19], s[14:15]
	s_delay_alu instid0(VALU_DEP_1)
	s_and_b32 vcc_lo, exec_lo, s4
	s_cbranch_vccnz .LBB408_18
; %bb.11:
	v_and_b32_e32 v1, 0xffff, v3
	v_cmp_lt_u32_e32 vcc_lo, 0x270, v0
	s_clause 0x1
	s_load_b128 s[4:7], s[0:1], 0x30
	s_load_b64 s[0:1], s[0:1], 0x40
	s_sub_u32 s14, s14, s12
	s_subb_u32 s15, s15, 0
	v_subrev_nc_u32_e32 v3, 25, v1
	v_cndmask_b32_e64 v13, 0, 1, vcc_lo
	v_cmp_gt_u32_e32 vcc_lo, 0x271, v0
	v_and_b32_e32 v2, 0xffff, v12
	s_sub_u32 s16, s18, s12
	s_subb_u32 s17, s19, 0
	s_mul_hi_u32 s9, s16, 0x9c4
	v_cndmask_b32_e32 v1, v3, v1, vcc_lo
	s_mul_i32 s13, s17, 0x9c4
	s_delay_alu instid0(SALU_CYCLE_1) | instskip(NEXT) | instid1(VALU_DEP_1)
	s_add_i32 s9, s9, s13
	v_cndmask_b32_e64 v3, v2, v1, s2
	v_add_co_u32 v1, s2, s18, v13
	s_delay_alu instid0(VALU_DEP_1) | instskip(SKIP_1) | instid1(VALU_DEP_2)
	v_add_co_ci_u32_e64 v2, null, s19, 0, s2
	s_mul_i32 s2, s16, 0x9c4
	v_sub_co_u32 v1, vcc_lo, v1, s12
	s_delay_alu instid0(VALU_DEP_2) | instskip(SKIP_3) | instid1(VALU_DEP_1)
	v_subrev_co_ci_u32_e32 v2, vcc_lo, 0, v2, vcc_lo
	s_waitcnt lgkmcnt(0)
	s_add_u32 s2, s6, s2
	s_addc_u32 s6, s7, s9
	v_lshlrev_b64 v[6:7], 2, v[1:2]
	v_mov_b32_e32 v2, 0
	s_delay_alu instid0(VALU_DEP_1) | instskip(NEXT) | instid1(VALU_DEP_1)
	v_dual_mov_b32 v1, v2 :: v_dual_lshlrev_b32 v4, 2, v0
	v_add_co_u32 v4, s2, s2, v4
	s_delay_alu instid0(VALU_DEP_4)
	v_add_co_u32 v6, vcc_lo, s4, v6
	v_add_co_ci_u32_e64 v5, null, s6, 0, s2
	v_add_co_ci_u32_e32 v7, vcc_lo, s5, v7, vcc_lo
	s_set_inst_prefetch_distance 0x1
	s_branch .LBB408_13
	.p2align	6
.LBB408_12:                             ;   in Loop: Header=BB408_13 Depth=1
	s_or_b32 exec_lo, exec_lo, s2
	s_add_u32 s16, s16, 1
	s_addc_u32 s17, s17, 0
	v_add_co_u32 v6, vcc_lo, v6, 4
	v_cmp_lt_i64_e64 s2, s[16:17], s[14:15]
	v_add_co_ci_u32_e32 v7, vcc_lo, 0, v7, vcc_lo
	s_delay_alu instid0(VALU_DEP_2)
	s_and_b32 vcc_lo, exec_lo, s2
	s_cbranch_vccz .LBB408_18
.LBB408_13:                             ; =>This Inner Loop Header: Depth=1
	v_add_co_u32 v14, s2, v13, s16
	s_delay_alu instid0(VALU_DEP_1) | instskip(SKIP_1) | instid1(VALU_DEP_1)
	v_add_co_ci_u32_e64 v15, null, 0, s17, s2
	s_mov_b32 s2, exec_lo
	v_cmpx_gt_i64_e64 s[14:15], v[14:15]
	s_cbranch_execz .LBB408_12
; %bb.14:                               ;   in Loop: Header=BB408_13 Depth=1
	global_load_b32 v14, v[6:7], off
	s_waitcnt vmcnt(0)
	v_subrev_nc_u32_e32 v16, s12, v14
	s_delay_alu instid0(VALU_DEP_1) | instskip(NEXT) | instid1(VALU_DEP_1)
	v_mad_u64_u32 v[14:15], null, v16, 25, v[3:4]
	v_ashrrev_i32_e32 v15, 31, v14
	s_delay_alu instid0(VALU_DEP_1) | instskip(NEXT) | instid1(VALU_DEP_1)
	v_lshlrev_b64 v[14:15], 3, v[14:15]
	v_add_co_u32 v14, vcc_lo, s0, v14
	s_delay_alu instid0(VALU_DEP_2)
	v_add_co_ci_u32_e32 v15, vcc_lo, s1, v15, vcc_lo
	global_load_b32 v16, v[4:5], off
	global_load_b64 v[14:15], v[14:15], off
	v_add_co_u32 v4, vcc_lo, 0x9c4, v4
	v_add_co_ci_u32_e32 v5, vcc_lo, 0, v5, vcc_lo
	s_waitcnt vmcnt(0)
	v_fmac_f32_e32 v1, v16, v14
	s_delay_alu instid0(VALU_DEP_1) | instskip(NEXT) | instid1(VALU_DEP_1)
	v_dual_fmac_f32 v2, 0, v14 :: v_dual_fmac_f32 v1, 0x80000000, v15
	v_fmac_f32_e32 v2, v16, v15
	s_branch .LBB408_12
.LBB408_15:
	v_dual_mov_b32 v1, s4 :: v_dual_mov_b32 v2, s5
	flat_load_b32 v10, v[1:2]
	v_cndmask_b32_e64 v1, 0, 1, s6
	v_mov_b32_e32 v11, s5
	s_and_not1_b32 vcc_lo, exec_lo, s6
	s_cbranch_vccnz .LBB408_2
.LBB408_16:
	v_dual_mov_b32 v2, s4 :: v_dual_mov_b32 v3, s5
	flat_load_b32 v11, v[2:3] offset:4
	v_cmp_ne_u32_e32 vcc_lo, 1, v1
	v_mov_b32_e32 v8, s2
	s_cbranch_vccnz .LBB408_3
.LBB408_17:
	v_dual_mov_b32 v2, s2 :: v_dual_mov_b32 v3, s3
	flat_load_b32 v8, v[2:3]
	v_cmp_ne_u32_e32 vcc_lo, 1, v1
	v_mov_b32_e32 v9, s3
	s_cbranch_vccz .LBB408_4
	s_branch .LBB408_5
.LBB408_18:
	s_set_inst_prefetch_distance 0x2
	v_lshlrev_b32_e32 v3, 3, v0
	s_and_b32 vcc_lo, exec_lo, s3
	ds_store_b64 v3, v[1:2]
	s_waitcnt lgkmcnt(0)
	s_barrier
	buffer_gl0_inv
	s_cbranch_vccz .LBB408_30
; %bb.19:
	s_mov_b32 s0, exec_lo
	v_cmpx_gt_u16_e32 9, v12
	s_cbranch_execz .LBB408_21
; %bb.20:
	ds_load_2addr_b64 v[4:7], v3 offset1:16
	s_waitcnt lgkmcnt(0)
	v_dual_add_f32 v4, v6, v4 :: v_dual_add_f32 v5, v7, v5
	ds_store_b64 v3, v[4:5]
.LBB408_21:
	s_or_b32 exec_lo, exec_lo, s0
	s_delay_alu instid0(SALU_CYCLE_1)
	s_mov_b32 s0, exec_lo
	s_waitcnt lgkmcnt(0)
	s_barrier
	buffer_gl0_inv
	v_cmpx_gt_u16_e32 8, v12
	s_cbranch_execz .LBB408_23
; %bb.22:
	ds_load_2addr_b64 v[4:7], v3 offset1:8
	s_waitcnt lgkmcnt(0)
	v_dual_add_f32 v4, v6, v4 :: v_dual_add_f32 v5, v7, v5
	ds_store_b64 v3, v[4:5]
.LBB408_23:
	s_or_b32 exec_lo, exec_lo, s0
	s_delay_alu instid0(SALU_CYCLE_1)
	s_mov_b32 s0, exec_lo
	s_waitcnt lgkmcnt(0)
	s_barrier
	buffer_gl0_inv
	;; [unrolled: 14-line block ×3, first 2 shown]
	v_cmpx_gt_u16_e32 2, v12
	s_cbranch_execz .LBB408_27
; %bb.26:
	ds_load_2addr_b64 v[4:7], v3 offset1:2
	s_waitcnt lgkmcnt(0)
	v_dual_add_f32 v4, v6, v4 :: v_dual_add_f32 v5, v7, v5
	ds_store_b64 v3, v[4:5]
.LBB408_27:
	s_or_b32 exec_lo, exec_lo, s0
	s_mov_b32 s1, 0
	s_mov_b32 s0, 0
	s_mov_b32 s2, exec_lo
	s_waitcnt lgkmcnt(0)
	s_barrier
	buffer_gl0_inv
                                        ; implicit-def: $vgpr5
                                        ; implicit-def: $vgpr4
	v_cmpx_gt_u32_e32 25, v0
	s_xor_b32 s2, exec_lo, s2
; %bb.28:
	v_mul_u32_u24_e32 v5, 25, v0
	v_mad_u32_u24 v4, v0, 25, 1
	s_mov_b32 s0, exec_lo
	s_delay_alu instid0(VALU_DEP_2)
	v_lshlrev_b32_e32 v5, 3, v5
; %bb.29:
	s_or_b32 exec_lo, exec_lo, s2
	s_delay_alu instid0(SALU_CYCLE_1)
	s_and_b32 vcc_lo, exec_lo, s1
	s_cbranch_vccnz .LBB408_31
	s_branch .LBB408_42
.LBB408_30:
	s_mov_b32 s0, 0
                                        ; implicit-def: $vgpr5
                                        ; implicit-def: $vgpr4
	s_cbranch_execz .LBB408_42
.LBB408_31:
	s_mov_b32 s1, exec_lo
	v_cmpx_gt_u32_e32 0xe1, v0
	s_cbranch_execz .LBB408_33
; %bb.32:
	ds_load_b64 v[4:5], v3 offset:3200
	ds_load_b64 v[6:7], v3
	s_waitcnt lgkmcnt(0)
	v_dual_add_f32 v4, v4, v6 :: v_dual_add_f32 v5, v5, v7
	ds_store_b64 v3, v[4:5]
.LBB408_33:
	s_or_b32 exec_lo, exec_lo, s1
	s_delay_alu instid0(SALU_CYCLE_1)
	s_mov_b32 s1, exec_lo
	s_waitcnt lgkmcnt(0)
	s_barrier
	buffer_gl0_inv
	v_cmpx_gt_u32_e32 0xc8, v0
	s_cbranch_execz .LBB408_35
; %bb.34:
	ds_load_2addr_b64 v[4:7], v3 offset1:200
	s_waitcnt lgkmcnt(0)
	v_dual_add_f32 v4, v6, v4 :: v_dual_add_f32 v5, v7, v5
	ds_store_b64 v3, v[4:5]
.LBB408_35:
	s_or_b32 exec_lo, exec_lo, s1
	s_delay_alu instid0(SALU_CYCLE_1)
	s_mov_b32 s1, exec_lo
	s_waitcnt lgkmcnt(0)
	s_barrier
	buffer_gl0_inv
	v_cmpx_gt_u32_e32 0x64, v0
	s_cbranch_execz .LBB408_37
; %bb.36:
	ds_load_2addr_b64 v[4:7], v3 offset1:100
	s_waitcnt lgkmcnt(0)
	v_dual_add_f32 v4, v6, v4 :: v_dual_add_f32 v5, v7, v5
	ds_store_b64 v3, v[4:5]
.LBB408_37:
	;; [unrolled: 14-line block ×3, first 2 shown]
	s_or_b32 exec_lo, exec_lo, s1
	s_delay_alu instid0(SALU_CYCLE_1)
	s_mov_b32 s1, exec_lo
	s_waitcnt lgkmcnt(0)
	buffer_gl0_inv
                                        ; implicit-def: $vgpr4
	v_cmpx_gt_u32_e32 25, v0
; %bb.40:
	v_add_nc_u32_e32 v4, 25, v0
                                        ; kill: def $vgpr1 killed $sgpr0 killed $exec
	s_or_b32 s0, s0, exec_lo
                                        ; implicit-def: $vgpr2
; %bb.41:
	s_or_b32 exec_lo, exec_lo, s1
	v_mov_b32_e32 v5, v3
.LBB408_42:
	s_and_saveexec_b32 s1, s0
	s_cbranch_execnz .LBB408_45
; %bb.43:
	s_or_b32 exec_lo, exec_lo, s1
	v_cmp_gt_u32_e32 vcc_lo, 25, v0
	s_and_b32 exec_lo, exec_lo, vcc_lo
	s_cbranch_execnz .LBB408_46
.LBB408_44:
	s_nop 0
	s_sendmsg sendmsg(MSG_DEALLOC_VGPRS)
	s_endpgm
.LBB408_45:
	v_lshlrev_b32_e32 v3, 3, v4
	ds_load_2addr_b32 v[1:2], v5 offset1:1
	ds_load_b64 v[3:4], v3
	s_waitcnt lgkmcnt(0)
	v_dual_add_f32 v2, v4, v2 :: v_dual_add_f32 v1, v3, v1
	s_or_b32 exec_lo, exec_lo, s1
	v_cmp_gt_u32_e32 vcc_lo, 25, v0
	s_and_b32 exec_lo, exec_lo, vcc_lo
	s_cbranch_execz .LBB408_44
.LBB408_46:
	v_mul_f32_e64 v3, v2, -v11
	v_mul_f32_e32 v4, v2, v10
	v_cmp_eq_f32_e32 vcc_lo, 0, v8
	v_cmp_eq_f32_e64 s0, 0, v9
	s_delay_alu instid0(VALU_DEP_4) | instskip(NEXT) | instid1(VALU_DEP_4)
	v_fmac_f32_e32 v3, v10, v1
	v_fmac_f32_e32 v4, v11, v1
	s_delay_alu instid0(VALU_DEP_3) | instskip(NEXT) | instid1(SALU_CYCLE_1)
	s_and_b32 s0, vcc_lo, s0
	s_and_saveexec_b32 s1, s0
	s_delay_alu instid0(SALU_CYCLE_1)
	s_xor_b32 s0, exec_lo, s1
	s_cbranch_execz .LBB408_48
; %bb.47:
	v_mad_u64_u32 v[1:2], null, s8, 25, v[0:1]
	v_mov_b32_e32 v2, 0
                                        ; implicit-def: $vgpr8
                                        ; implicit-def: $vgpr9
	s_delay_alu instid0(VALU_DEP_1) | instskip(NEXT) | instid1(VALU_DEP_1)
	v_lshlrev_b64 v[0:1], 3, v[1:2]
	v_add_co_u32 v0, vcc_lo, s10, v0
	s_delay_alu instid0(VALU_DEP_2)
	v_add_co_ci_u32_e32 v1, vcc_lo, s11, v1, vcc_lo
	global_store_b64 v[0:1], v[3:4], off
                                        ; implicit-def: $vgpr0
                                        ; implicit-def: $vgpr3
.LBB408_48:
	s_and_not1_saveexec_b32 s0, s0
	s_cbranch_execz .LBB408_44
; %bb.49:
	v_mad_u64_u32 v[1:2], null, s8, 25, v[0:1]
	v_mov_b32_e32 v2, 0
	s_delay_alu instid0(VALU_DEP_1) | instskip(NEXT) | instid1(VALU_DEP_1)
	v_lshlrev_b64 v[0:1], 3, v[1:2]
	v_add_co_u32 v0, vcc_lo, s10, v0
	s_delay_alu instid0(VALU_DEP_2) | instskip(SKIP_4) | instid1(VALU_DEP_2)
	v_add_co_ci_u32_e32 v1, vcc_lo, s11, v1, vcc_lo
	global_load_b64 v[5:6], v[0:1], off
	s_waitcnt vmcnt(0)
	v_fmac_f32_e32 v3, v8, v5
	v_fmac_f32_e32 v4, v9, v5
	v_fma_f32 v3, -v9, v6, v3
	s_delay_alu instid0(VALU_DEP_2)
	v_fmac_f32_e32 v4, v8, v6
	global_store_b64 v[0:1], v[3:4], off
	s_nop 0
	s_sendmsg sendmsg(MSG_DEALLOC_VGPRS)
	s_endpgm
	.section	.rodata,"a",@progbits
	.p2align	6, 0x0
	.amdhsa_kernel _ZN9rocsparseL20bsrxmvn_17_32_kernelILj25E21rocsparse_complex_numIfElifS2_S2_EEvT2_20rocsparse_direction_NS_24const_host_device_scalarIT0_EES3_PKS3_PKT1_SC_S9_PKT3_PKT4_S7_PT5_21rocsparse_index_base_b
		.amdhsa_group_segment_fixed_size 5000
		.amdhsa_private_segment_fixed_size 0
		.amdhsa_kernarg_size 96
		.amdhsa_user_sgpr_count 15
		.amdhsa_user_sgpr_dispatch_ptr 0
		.amdhsa_user_sgpr_queue_ptr 0
		.amdhsa_user_sgpr_kernarg_segment_ptr 1
		.amdhsa_user_sgpr_dispatch_id 0
		.amdhsa_user_sgpr_private_segment_size 0
		.amdhsa_wavefront_size32 1
		.amdhsa_uses_dynamic_stack 0
		.amdhsa_enable_private_segment 0
		.amdhsa_system_sgpr_workgroup_id_x 1
		.amdhsa_system_sgpr_workgroup_id_y 0
		.amdhsa_system_sgpr_workgroup_id_z 0
		.amdhsa_system_sgpr_workgroup_info 0
		.amdhsa_system_vgpr_workitem_id 0
		.amdhsa_next_free_vgpr 17
		.amdhsa_next_free_sgpr 20
		.amdhsa_reserve_vcc 1
		.amdhsa_float_round_mode_32 0
		.amdhsa_float_round_mode_16_64 0
		.amdhsa_float_denorm_mode_32 3
		.amdhsa_float_denorm_mode_16_64 3
		.amdhsa_dx10_clamp 1
		.amdhsa_ieee_mode 1
		.amdhsa_fp16_overflow 0
		.amdhsa_workgroup_processor_mode 1
		.amdhsa_memory_ordered 1
		.amdhsa_forward_progress 0
		.amdhsa_shared_vgpr_count 0
		.amdhsa_exception_fp_ieee_invalid_op 0
		.amdhsa_exception_fp_denorm_src 0
		.amdhsa_exception_fp_ieee_div_zero 0
		.amdhsa_exception_fp_ieee_overflow 0
		.amdhsa_exception_fp_ieee_underflow 0
		.amdhsa_exception_fp_ieee_inexact 0
		.amdhsa_exception_int_div_zero 0
	.end_amdhsa_kernel
	.section	.text._ZN9rocsparseL20bsrxmvn_17_32_kernelILj25E21rocsparse_complex_numIfElifS2_S2_EEvT2_20rocsparse_direction_NS_24const_host_device_scalarIT0_EES3_PKS3_PKT1_SC_S9_PKT3_PKT4_S7_PT5_21rocsparse_index_base_b,"axG",@progbits,_ZN9rocsparseL20bsrxmvn_17_32_kernelILj25E21rocsparse_complex_numIfElifS2_S2_EEvT2_20rocsparse_direction_NS_24const_host_device_scalarIT0_EES3_PKS3_PKT1_SC_S9_PKT3_PKT4_S7_PT5_21rocsparse_index_base_b,comdat
.Lfunc_end408:
	.size	_ZN9rocsparseL20bsrxmvn_17_32_kernelILj25E21rocsparse_complex_numIfElifS2_S2_EEvT2_20rocsparse_direction_NS_24const_host_device_scalarIT0_EES3_PKS3_PKT1_SC_S9_PKT3_PKT4_S7_PT5_21rocsparse_index_base_b, .Lfunc_end408-_ZN9rocsparseL20bsrxmvn_17_32_kernelILj25E21rocsparse_complex_numIfElifS2_S2_EEvT2_20rocsparse_direction_NS_24const_host_device_scalarIT0_EES3_PKS3_PKT1_SC_S9_PKT3_PKT4_S7_PT5_21rocsparse_index_base_b
                                        ; -- End function
	.section	.AMDGPU.csdata,"",@progbits
; Kernel info:
; codeLenInByte = 1924
; NumSgprs: 22
; NumVgprs: 17
; ScratchSize: 0
; MemoryBound: 0
; FloatMode: 240
; IeeeMode: 1
; LDSByteSize: 5000 bytes/workgroup (compile time only)
; SGPRBlocks: 2
; VGPRBlocks: 2
; NumSGPRsForWavesPerEU: 22
; NumVGPRsForWavesPerEU: 17
; Occupancy: 15
; WaveLimiterHint : 1
; COMPUTE_PGM_RSRC2:SCRATCH_EN: 0
; COMPUTE_PGM_RSRC2:USER_SGPR: 15
; COMPUTE_PGM_RSRC2:TRAP_HANDLER: 0
; COMPUTE_PGM_RSRC2:TGID_X_EN: 1
; COMPUTE_PGM_RSRC2:TGID_Y_EN: 0
; COMPUTE_PGM_RSRC2:TGID_Z_EN: 0
; COMPUTE_PGM_RSRC2:TIDIG_COMP_CNT: 0
	.section	.text._ZN9rocsparseL20bsrxmvn_17_32_kernelILj26E21rocsparse_complex_numIfElifS2_S2_EEvT2_20rocsparse_direction_NS_24const_host_device_scalarIT0_EES3_PKS3_PKT1_SC_S9_PKT3_PKT4_S7_PT5_21rocsparse_index_base_b,"axG",@progbits,_ZN9rocsparseL20bsrxmvn_17_32_kernelILj26E21rocsparse_complex_numIfElifS2_S2_EEvT2_20rocsparse_direction_NS_24const_host_device_scalarIT0_EES3_PKS3_PKT1_SC_S9_PKT3_PKT4_S7_PT5_21rocsparse_index_base_b,comdat
	.globl	_ZN9rocsparseL20bsrxmvn_17_32_kernelILj26E21rocsparse_complex_numIfElifS2_S2_EEvT2_20rocsparse_direction_NS_24const_host_device_scalarIT0_EES3_PKS3_PKT1_SC_S9_PKT3_PKT4_S7_PT5_21rocsparse_index_base_b ; -- Begin function _ZN9rocsparseL20bsrxmvn_17_32_kernelILj26E21rocsparse_complex_numIfElifS2_S2_EEvT2_20rocsparse_direction_NS_24const_host_device_scalarIT0_EES3_PKS3_PKT1_SC_S9_PKT3_PKT4_S7_PT5_21rocsparse_index_base_b
	.p2align	8
	.type	_ZN9rocsparseL20bsrxmvn_17_32_kernelILj26E21rocsparse_complex_numIfElifS2_S2_EEvT2_20rocsparse_direction_NS_24const_host_device_scalarIT0_EES3_PKS3_PKT1_SC_S9_PKT3_PKT4_S7_PT5_21rocsparse_index_base_b,@function
_ZN9rocsparseL20bsrxmvn_17_32_kernelILj26E21rocsparse_complex_numIfElifS2_S2_EEvT2_20rocsparse_direction_NS_24const_host_device_scalarIT0_EES3_PKS3_PKT1_SC_S9_PKT3_PKT4_S7_PT5_21rocsparse_index_base_b: ; @_ZN9rocsparseL20bsrxmvn_17_32_kernelILj26E21rocsparse_complex_numIfElifS2_S2_EEvT2_20rocsparse_direction_NS_24const_host_device_scalarIT0_EES3_PKS3_PKT1_SC_S9_PKT3_PKT4_S7_PT5_21rocsparse_index_base_b
; %bb.0:
	s_clause 0x2
	s_load_b64 s[12:13], s[0:1], 0x58
	s_load_b64 s[4:5], s[0:1], 0x8
	;; [unrolled: 1-line block ×3, first 2 shown]
	s_mov_b32 s8, s15
	s_waitcnt lgkmcnt(0)
	s_bitcmp1_b32 s13, 0
	v_mov_b32_e32 v10, s4
	s_cselect_b32 s6, -1, 0
	s_delay_alu instid0(SALU_CYCLE_1)
	s_and_b32 vcc_lo, exec_lo, s6
	s_xor_b32 s6, s6, -1
	s_cbranch_vccz .LBB409_15
; %bb.1:
	v_cndmask_b32_e64 v1, 0, 1, s6
	v_mov_b32_e32 v11, s5
	s_and_not1_b32 vcc_lo, exec_lo, s6
	s_cbranch_vccz .LBB409_16
.LBB409_2:
	s_delay_alu instid0(VALU_DEP_2)
	v_cmp_ne_u32_e32 vcc_lo, 1, v1
	v_mov_b32_e32 v8, s2
	s_cbranch_vccz .LBB409_17
.LBB409_3:
	v_cmp_ne_u32_e32 vcc_lo, 1, v1
	v_mov_b32_e32 v9, s3
	s_cbranch_vccnz .LBB409_5
.LBB409_4:
	v_dual_mov_b32 v1, s2 :: v_dual_mov_b32 v2, s3
	flat_load_b32 v9, v[1:2] offset:4
.LBB409_5:
	s_waitcnt vmcnt(0) lgkmcnt(0)
	v_cmp_eq_f32_e32 vcc_lo, 0, v10
	v_cmp_eq_f32_e64 s2, 0, v11
	s_delay_alu instid0(VALU_DEP_1)
	s_and_b32 s4, vcc_lo, s2
	s_mov_b32 s2, -1
	s_and_saveexec_b32 s3, s4
; %bb.6:
	v_cmp_neq_f32_e32 vcc_lo, 1.0, v8
	v_cmp_neq_f32_e64 s2, 0, v9
	s_delay_alu instid0(VALU_DEP_1) | instskip(NEXT) | instid1(SALU_CYCLE_1)
	s_or_b32 s2, vcc_lo, s2
	s_or_not1_b32 s2, s2, exec_lo
; %bb.7:
	s_or_b32 exec_lo, exec_lo, s3
	s_and_saveexec_b32 s3, s2
	s_cbranch_execz .LBB409_44
; %bb.8:
	s_clause 0x1
	s_load_b128 s[4:7], s[0:1], 0x18
	s_load_b64 s[10:11], s[0:1], 0x28
	s_waitcnt lgkmcnt(0)
	s_cmp_eq_u64 s[4:5], 0
	s_cbranch_scc1 .LBB409_10
; %bb.9:
	s_ashr_i32 s9, s8, 31
	s_delay_alu instid0(SALU_CYCLE_1) | instskip(NEXT) | instid1(SALU_CYCLE_1)
	s_lshl_b64 s[2:3], s[8:9], 2
	s_add_u32 s2, s4, s2
	s_addc_u32 s3, s5, s3
	s_load_b32 s2, s[2:3], 0x0
	s_waitcnt lgkmcnt(0)
	s_sub_i32 s8, s2, s12
.LBB409_10:
	s_load_b32 s3, s[0:1], 0x4
	v_mul_u32_u24_e32 v1, 0x9d9, v0
	v_mov_b32_e32 v2, 0
	s_delay_alu instid0(VALU_DEP_2) | instskip(NEXT) | instid1(VALU_DEP_1)
	v_lshrrev_b32_e32 v3, 16, v1
	v_mul_lo_u16 v1, v3, 26
	s_delay_alu instid0(VALU_DEP_1)
	v_sub_nc_u16 v12, v0, v1
	v_mov_b32_e32 v1, 0
	s_waitcnt lgkmcnt(0)
	s_cmp_eq_u32 s3, 1
	s_cselect_b32 s2, -1, 0
	s_cmp_lg_u32 s3, 1
	s_cselect_b32 s3, -1, 0
	s_ashr_i32 s9, s8, 31
	s_delay_alu instid0(SALU_CYCLE_1) | instskip(NEXT) | instid1(SALU_CYCLE_1)
	s_lshl_b64 s[4:5], s[8:9], 3
	s_add_u32 s6, s6, s4
	s_addc_u32 s7, s7, s5
	s_add_u32 s9, s6, 8
	s_addc_u32 s13, s7, 0
	;; [unrolled: 2-line block ×3, first 2 shown]
	s_cmp_eq_u64 s[10:11], 0
	s_load_b64 s[10:11], s[0:1], 0x50
	s_cselect_b32 s5, s13, s5
	s_cselect_b32 s4, s9, s4
	s_load_b64 s[18:19], s[6:7], 0x0
	s_load_b64 s[14:15], s[4:5], 0x0
	s_waitcnt lgkmcnt(0)
	v_cmp_ge_i64_e64 s4, s[18:19], s[14:15]
	s_delay_alu instid0(VALU_DEP_1)
	s_and_b32 vcc_lo, exec_lo, s4
	s_cbranch_vccnz .LBB409_18
; %bb.11:
	v_and_b32_e32 v1, 0xffff, v3
	v_cmp_lt_u32_e32 vcc_lo, 0x2a3, v0
	s_clause 0x1
	s_load_b128 s[4:7], s[0:1], 0x30
	s_load_b64 s[0:1], s[0:1], 0x40
	s_sub_u32 s14, s14, s12
	s_subb_u32 s15, s15, 0
	v_subrev_nc_u32_e32 v3, 26, v1
	v_cndmask_b32_e64 v13, 0, 1, vcc_lo
	v_cmp_gt_u32_e32 vcc_lo, 0x2a4, v0
	v_and_b32_e32 v2, 0xffff, v12
	s_sub_u32 s16, s18, s12
	s_subb_u32 s17, s19, 0
	s_mul_hi_u32 s9, s16, 0xa90
	v_cndmask_b32_e32 v1, v3, v1, vcc_lo
	s_mul_i32 s13, s17, 0xa90
	s_delay_alu instid0(SALU_CYCLE_1) | instskip(NEXT) | instid1(VALU_DEP_1)
	s_add_i32 s9, s9, s13
	v_cndmask_b32_e64 v3, v2, v1, s2
	v_add_co_u32 v1, s2, s18, v13
	s_delay_alu instid0(VALU_DEP_1) | instskip(SKIP_1) | instid1(VALU_DEP_2)
	v_add_co_ci_u32_e64 v2, null, s19, 0, s2
	s_mul_i32 s2, s16, 0xa90
	v_sub_co_u32 v1, vcc_lo, v1, s12
	s_delay_alu instid0(VALU_DEP_2) | instskip(SKIP_3) | instid1(VALU_DEP_1)
	v_subrev_co_ci_u32_e32 v2, vcc_lo, 0, v2, vcc_lo
	s_waitcnt lgkmcnt(0)
	s_add_u32 s2, s6, s2
	s_addc_u32 s6, s7, s9
	v_lshlrev_b64 v[6:7], 2, v[1:2]
	v_mov_b32_e32 v2, 0
	s_delay_alu instid0(VALU_DEP_1) | instskip(NEXT) | instid1(VALU_DEP_1)
	v_dual_mov_b32 v1, v2 :: v_dual_lshlrev_b32 v4, 2, v0
	v_add_co_u32 v4, s2, s2, v4
	s_delay_alu instid0(VALU_DEP_4)
	v_add_co_u32 v6, vcc_lo, s4, v6
	v_add_co_ci_u32_e64 v5, null, s6, 0, s2
	v_add_co_ci_u32_e32 v7, vcc_lo, s5, v7, vcc_lo
	s_set_inst_prefetch_distance 0x1
	s_branch .LBB409_13
	.p2align	6
.LBB409_12:                             ;   in Loop: Header=BB409_13 Depth=1
	s_or_b32 exec_lo, exec_lo, s2
	s_add_u32 s16, s16, 1
	s_addc_u32 s17, s17, 0
	v_add_co_u32 v6, vcc_lo, v6, 4
	v_cmp_lt_i64_e64 s2, s[16:17], s[14:15]
	v_add_co_ci_u32_e32 v7, vcc_lo, 0, v7, vcc_lo
	s_delay_alu instid0(VALU_DEP_2)
	s_and_b32 vcc_lo, exec_lo, s2
	s_cbranch_vccz .LBB409_18
.LBB409_13:                             ; =>This Inner Loop Header: Depth=1
	v_add_co_u32 v14, s2, v13, s16
	s_delay_alu instid0(VALU_DEP_1) | instskip(SKIP_1) | instid1(VALU_DEP_1)
	v_add_co_ci_u32_e64 v15, null, 0, s17, s2
	s_mov_b32 s2, exec_lo
	v_cmpx_gt_i64_e64 s[14:15], v[14:15]
	s_cbranch_execz .LBB409_12
; %bb.14:                               ;   in Loop: Header=BB409_13 Depth=1
	global_load_b32 v14, v[6:7], off
	s_waitcnt vmcnt(0)
	v_subrev_nc_u32_e32 v16, s12, v14
	s_delay_alu instid0(VALU_DEP_1) | instskip(NEXT) | instid1(VALU_DEP_1)
	v_mad_u64_u32 v[14:15], null, v16, 26, v[3:4]
	v_ashrrev_i32_e32 v15, 31, v14
	s_delay_alu instid0(VALU_DEP_1) | instskip(NEXT) | instid1(VALU_DEP_1)
	v_lshlrev_b64 v[14:15], 3, v[14:15]
	v_add_co_u32 v14, vcc_lo, s0, v14
	s_delay_alu instid0(VALU_DEP_2)
	v_add_co_ci_u32_e32 v15, vcc_lo, s1, v15, vcc_lo
	global_load_b32 v16, v[4:5], off
	global_load_b64 v[14:15], v[14:15], off
	v_add_co_u32 v4, vcc_lo, 0xa90, v4
	v_add_co_ci_u32_e32 v5, vcc_lo, 0, v5, vcc_lo
	s_waitcnt vmcnt(0)
	v_fmac_f32_e32 v1, v16, v14
	s_delay_alu instid0(VALU_DEP_1) | instskip(NEXT) | instid1(VALU_DEP_1)
	v_dual_fmac_f32 v2, 0, v14 :: v_dual_fmac_f32 v1, 0x80000000, v15
	v_fmac_f32_e32 v2, v16, v15
	s_branch .LBB409_12
.LBB409_15:
	v_dual_mov_b32 v1, s4 :: v_dual_mov_b32 v2, s5
	flat_load_b32 v10, v[1:2]
	v_cndmask_b32_e64 v1, 0, 1, s6
	v_mov_b32_e32 v11, s5
	s_and_not1_b32 vcc_lo, exec_lo, s6
	s_cbranch_vccnz .LBB409_2
.LBB409_16:
	v_dual_mov_b32 v2, s4 :: v_dual_mov_b32 v3, s5
	flat_load_b32 v11, v[2:3] offset:4
	v_cmp_ne_u32_e32 vcc_lo, 1, v1
	v_mov_b32_e32 v8, s2
	s_cbranch_vccnz .LBB409_3
.LBB409_17:
	v_dual_mov_b32 v2, s2 :: v_dual_mov_b32 v3, s3
	flat_load_b32 v8, v[2:3]
	v_cmp_ne_u32_e32 vcc_lo, 1, v1
	v_mov_b32_e32 v9, s3
	s_cbranch_vccz .LBB409_4
	s_branch .LBB409_5
.LBB409_18:
	s_set_inst_prefetch_distance 0x2
	v_lshlrev_b32_e32 v3, 3, v0
	s_and_b32 vcc_lo, exec_lo, s3
	ds_store_b64 v3, v[1:2]
	s_waitcnt lgkmcnt(0)
	s_barrier
	buffer_gl0_inv
	s_cbranch_vccz .LBB409_30
; %bb.19:
	s_mov_b32 s0, exec_lo
	v_cmpx_gt_u16_e32 10, v12
	s_cbranch_execz .LBB409_21
; %bb.20:
	ds_load_2addr_b64 v[4:7], v3 offset1:16
	s_waitcnt lgkmcnt(0)
	v_dual_add_f32 v4, v6, v4 :: v_dual_add_f32 v5, v7, v5
	ds_store_b64 v3, v[4:5]
.LBB409_21:
	s_or_b32 exec_lo, exec_lo, s0
	s_delay_alu instid0(SALU_CYCLE_1)
	s_mov_b32 s0, exec_lo
	s_waitcnt lgkmcnt(0)
	s_barrier
	buffer_gl0_inv
	v_cmpx_gt_u16_e32 8, v12
	s_cbranch_execz .LBB409_23
; %bb.22:
	ds_load_2addr_b64 v[4:7], v3 offset1:8
	s_waitcnt lgkmcnt(0)
	v_dual_add_f32 v4, v6, v4 :: v_dual_add_f32 v5, v7, v5
	ds_store_b64 v3, v[4:5]
.LBB409_23:
	s_or_b32 exec_lo, exec_lo, s0
	s_delay_alu instid0(SALU_CYCLE_1)
	s_mov_b32 s0, exec_lo
	s_waitcnt lgkmcnt(0)
	s_barrier
	buffer_gl0_inv
	;; [unrolled: 14-line block ×3, first 2 shown]
	v_cmpx_gt_u16_e32 2, v12
	s_cbranch_execz .LBB409_27
; %bb.26:
	ds_load_2addr_b64 v[4:7], v3 offset1:2
	s_waitcnt lgkmcnt(0)
	v_dual_add_f32 v4, v6, v4 :: v_dual_add_f32 v5, v7, v5
	ds_store_b64 v3, v[4:5]
.LBB409_27:
	s_or_b32 exec_lo, exec_lo, s0
	s_mov_b32 s1, 0
	s_mov_b32 s0, 0
	s_mov_b32 s2, exec_lo
	s_waitcnt lgkmcnt(0)
	s_barrier
	buffer_gl0_inv
                                        ; implicit-def: $vgpr5
                                        ; implicit-def: $vgpr4
	v_cmpx_gt_u32_e32 26, v0
	s_xor_b32 s2, exec_lo, s2
; %bb.28:
	v_mul_u32_u24_e32 v4, 26, v0
	s_mov_b32 s0, exec_lo
	s_delay_alu instid0(VALU_DEP_1)
	v_lshlrev_b32_e32 v5, 3, v4
	v_or_b32_e32 v4, 1, v4
; %bb.29:
	s_or_b32 exec_lo, exec_lo, s2
	s_delay_alu instid0(SALU_CYCLE_1)
	s_and_b32 vcc_lo, exec_lo, s1
	s_cbranch_vccnz .LBB409_31
	s_branch .LBB409_42
.LBB409_30:
	s_mov_b32 s0, 0
                                        ; implicit-def: $vgpr5
                                        ; implicit-def: $vgpr4
	s_cbranch_execz .LBB409_42
.LBB409_31:
	s_mov_b32 s1, exec_lo
	v_cmpx_gt_u32_e32 0x104, v0
	s_cbranch_execz .LBB409_33
; %bb.32:
	ds_load_b64 v[4:5], v3 offset:3328
	ds_load_b64 v[6:7], v3
	s_waitcnt lgkmcnt(0)
	v_dual_add_f32 v4, v4, v6 :: v_dual_add_f32 v5, v5, v7
	ds_store_b64 v3, v[4:5]
.LBB409_33:
	s_or_b32 exec_lo, exec_lo, s1
	s_delay_alu instid0(SALU_CYCLE_1)
	s_mov_b32 s1, exec_lo
	s_waitcnt lgkmcnt(0)
	s_barrier
	buffer_gl0_inv
	v_cmpx_gt_u32_e32 0xd0, v0
	s_cbranch_execz .LBB409_35
; %bb.34:
	ds_load_2addr_b64 v[4:7], v3 offset1:208
	s_waitcnt lgkmcnt(0)
	v_dual_add_f32 v4, v6, v4 :: v_dual_add_f32 v5, v7, v5
	ds_store_b64 v3, v[4:5]
.LBB409_35:
	s_or_b32 exec_lo, exec_lo, s1
	s_delay_alu instid0(SALU_CYCLE_1)
	s_mov_b32 s1, exec_lo
	s_waitcnt lgkmcnt(0)
	s_barrier
	buffer_gl0_inv
	v_cmpx_gt_u32_e32 0x68, v0
	s_cbranch_execz .LBB409_37
; %bb.36:
	ds_load_2addr_b64 v[4:7], v3 offset1:104
	s_waitcnt lgkmcnt(0)
	v_dual_add_f32 v4, v6, v4 :: v_dual_add_f32 v5, v7, v5
	ds_store_b64 v3, v[4:5]
.LBB409_37:
	;; [unrolled: 14-line block ×3, first 2 shown]
	s_or_b32 exec_lo, exec_lo, s1
	s_delay_alu instid0(SALU_CYCLE_1)
	s_mov_b32 s1, exec_lo
	s_waitcnt lgkmcnt(0)
	buffer_gl0_inv
                                        ; implicit-def: $vgpr4
	v_cmpx_gt_u32_e32 26, v0
; %bb.40:
	v_add_nc_u32_e32 v4, 26, v0
                                        ; kill: def $vgpr1 killed $sgpr0 killed $exec
	s_or_b32 s0, s0, exec_lo
                                        ; implicit-def: $vgpr2
; %bb.41:
	s_or_b32 exec_lo, exec_lo, s1
	v_mov_b32_e32 v5, v3
.LBB409_42:
	s_and_saveexec_b32 s1, s0
	s_cbranch_execnz .LBB409_45
; %bb.43:
	s_or_b32 exec_lo, exec_lo, s1
	v_cmp_gt_u32_e32 vcc_lo, 26, v0
	s_and_b32 exec_lo, exec_lo, vcc_lo
	s_cbranch_execnz .LBB409_46
.LBB409_44:
	s_nop 0
	s_sendmsg sendmsg(MSG_DEALLOC_VGPRS)
	s_endpgm
.LBB409_45:
	v_lshlrev_b32_e32 v3, 3, v4
	ds_load_2addr_b32 v[1:2], v5 offset1:1
	ds_load_b64 v[3:4], v3
	s_waitcnt lgkmcnt(0)
	v_dual_add_f32 v2, v4, v2 :: v_dual_add_f32 v1, v3, v1
	s_or_b32 exec_lo, exec_lo, s1
	v_cmp_gt_u32_e32 vcc_lo, 26, v0
	s_and_b32 exec_lo, exec_lo, vcc_lo
	s_cbranch_execz .LBB409_44
.LBB409_46:
	v_mul_f32_e64 v3, v2, -v11
	v_mul_f32_e32 v4, v2, v10
	v_cmp_eq_f32_e32 vcc_lo, 0, v8
	v_cmp_eq_f32_e64 s0, 0, v9
	s_delay_alu instid0(VALU_DEP_4) | instskip(NEXT) | instid1(VALU_DEP_4)
	v_fmac_f32_e32 v3, v10, v1
	v_fmac_f32_e32 v4, v11, v1
	s_delay_alu instid0(VALU_DEP_3) | instskip(NEXT) | instid1(SALU_CYCLE_1)
	s_and_b32 s0, vcc_lo, s0
	s_and_saveexec_b32 s1, s0
	s_delay_alu instid0(SALU_CYCLE_1)
	s_xor_b32 s0, exec_lo, s1
	s_cbranch_execz .LBB409_48
; %bb.47:
	v_mad_u64_u32 v[1:2], null, s8, 26, v[0:1]
	v_mov_b32_e32 v2, 0
                                        ; implicit-def: $vgpr8
                                        ; implicit-def: $vgpr9
	s_delay_alu instid0(VALU_DEP_1) | instskip(NEXT) | instid1(VALU_DEP_1)
	v_lshlrev_b64 v[0:1], 3, v[1:2]
	v_add_co_u32 v0, vcc_lo, s10, v0
	s_delay_alu instid0(VALU_DEP_2)
	v_add_co_ci_u32_e32 v1, vcc_lo, s11, v1, vcc_lo
	global_store_b64 v[0:1], v[3:4], off
                                        ; implicit-def: $vgpr0
                                        ; implicit-def: $vgpr3
.LBB409_48:
	s_and_not1_saveexec_b32 s0, s0
	s_cbranch_execz .LBB409_44
; %bb.49:
	v_mad_u64_u32 v[1:2], null, s8, 26, v[0:1]
	v_mov_b32_e32 v2, 0
	s_delay_alu instid0(VALU_DEP_1) | instskip(NEXT) | instid1(VALU_DEP_1)
	v_lshlrev_b64 v[0:1], 3, v[1:2]
	v_add_co_u32 v0, vcc_lo, s10, v0
	s_delay_alu instid0(VALU_DEP_2) | instskip(SKIP_4) | instid1(VALU_DEP_2)
	v_add_co_ci_u32_e32 v1, vcc_lo, s11, v1, vcc_lo
	global_load_b64 v[5:6], v[0:1], off
	s_waitcnt vmcnt(0)
	v_fmac_f32_e32 v3, v8, v5
	v_fmac_f32_e32 v4, v9, v5
	v_fma_f32 v3, -v9, v6, v3
	s_delay_alu instid0(VALU_DEP_2)
	v_fmac_f32_e32 v4, v8, v6
	global_store_b64 v[0:1], v[3:4], off
	s_nop 0
	s_sendmsg sendmsg(MSG_DEALLOC_VGPRS)
	s_endpgm
	.section	.rodata,"a",@progbits
	.p2align	6, 0x0
	.amdhsa_kernel _ZN9rocsparseL20bsrxmvn_17_32_kernelILj26E21rocsparse_complex_numIfElifS2_S2_EEvT2_20rocsparse_direction_NS_24const_host_device_scalarIT0_EES3_PKS3_PKT1_SC_S9_PKT3_PKT4_S7_PT5_21rocsparse_index_base_b
		.amdhsa_group_segment_fixed_size 5408
		.amdhsa_private_segment_fixed_size 0
		.amdhsa_kernarg_size 96
		.amdhsa_user_sgpr_count 15
		.amdhsa_user_sgpr_dispatch_ptr 0
		.amdhsa_user_sgpr_queue_ptr 0
		.amdhsa_user_sgpr_kernarg_segment_ptr 1
		.amdhsa_user_sgpr_dispatch_id 0
		.amdhsa_user_sgpr_private_segment_size 0
		.amdhsa_wavefront_size32 1
		.amdhsa_uses_dynamic_stack 0
		.amdhsa_enable_private_segment 0
		.amdhsa_system_sgpr_workgroup_id_x 1
		.amdhsa_system_sgpr_workgroup_id_y 0
		.amdhsa_system_sgpr_workgroup_id_z 0
		.amdhsa_system_sgpr_workgroup_info 0
		.amdhsa_system_vgpr_workitem_id 0
		.amdhsa_next_free_vgpr 17
		.amdhsa_next_free_sgpr 20
		.amdhsa_reserve_vcc 1
		.amdhsa_float_round_mode_32 0
		.amdhsa_float_round_mode_16_64 0
		.amdhsa_float_denorm_mode_32 3
		.amdhsa_float_denorm_mode_16_64 3
		.amdhsa_dx10_clamp 1
		.amdhsa_ieee_mode 1
		.amdhsa_fp16_overflow 0
		.amdhsa_workgroup_processor_mode 1
		.amdhsa_memory_ordered 1
		.amdhsa_forward_progress 0
		.amdhsa_shared_vgpr_count 0
		.amdhsa_exception_fp_ieee_invalid_op 0
		.amdhsa_exception_fp_denorm_src 0
		.amdhsa_exception_fp_ieee_div_zero 0
		.amdhsa_exception_fp_ieee_overflow 0
		.amdhsa_exception_fp_ieee_underflow 0
		.amdhsa_exception_fp_ieee_inexact 0
		.amdhsa_exception_int_div_zero 0
	.end_amdhsa_kernel
	.section	.text._ZN9rocsparseL20bsrxmvn_17_32_kernelILj26E21rocsparse_complex_numIfElifS2_S2_EEvT2_20rocsparse_direction_NS_24const_host_device_scalarIT0_EES3_PKS3_PKT1_SC_S9_PKT3_PKT4_S7_PT5_21rocsparse_index_base_b,"axG",@progbits,_ZN9rocsparseL20bsrxmvn_17_32_kernelILj26E21rocsparse_complex_numIfElifS2_S2_EEvT2_20rocsparse_direction_NS_24const_host_device_scalarIT0_EES3_PKS3_PKT1_SC_S9_PKT3_PKT4_S7_PT5_21rocsparse_index_base_b,comdat
.Lfunc_end409:
	.size	_ZN9rocsparseL20bsrxmvn_17_32_kernelILj26E21rocsparse_complex_numIfElifS2_S2_EEvT2_20rocsparse_direction_NS_24const_host_device_scalarIT0_EES3_PKS3_PKT1_SC_S9_PKT3_PKT4_S7_PT5_21rocsparse_index_base_b, .Lfunc_end409-_ZN9rocsparseL20bsrxmvn_17_32_kernelILj26E21rocsparse_complex_numIfElifS2_S2_EEvT2_20rocsparse_direction_NS_24const_host_device_scalarIT0_EES3_PKS3_PKT1_SC_S9_PKT3_PKT4_S7_PT5_21rocsparse_index_base_b
                                        ; -- End function
	.section	.AMDGPU.csdata,"",@progbits
; Kernel info:
; codeLenInByte = 1920
; NumSgprs: 22
; NumVgprs: 17
; ScratchSize: 0
; MemoryBound: 0
; FloatMode: 240
; IeeeMode: 1
; LDSByteSize: 5408 bytes/workgroup (compile time only)
; SGPRBlocks: 2
; VGPRBlocks: 2
; NumSGPRsForWavesPerEU: 22
; NumVGPRsForWavesPerEU: 17
; Occupancy: 11
; WaveLimiterHint : 1
; COMPUTE_PGM_RSRC2:SCRATCH_EN: 0
; COMPUTE_PGM_RSRC2:USER_SGPR: 15
; COMPUTE_PGM_RSRC2:TRAP_HANDLER: 0
; COMPUTE_PGM_RSRC2:TGID_X_EN: 1
; COMPUTE_PGM_RSRC2:TGID_Y_EN: 0
; COMPUTE_PGM_RSRC2:TGID_Z_EN: 0
; COMPUTE_PGM_RSRC2:TIDIG_COMP_CNT: 0
	.section	.text._ZN9rocsparseL20bsrxmvn_17_32_kernelILj27E21rocsparse_complex_numIfElifS2_S2_EEvT2_20rocsparse_direction_NS_24const_host_device_scalarIT0_EES3_PKS3_PKT1_SC_S9_PKT3_PKT4_S7_PT5_21rocsparse_index_base_b,"axG",@progbits,_ZN9rocsparseL20bsrxmvn_17_32_kernelILj27E21rocsparse_complex_numIfElifS2_S2_EEvT2_20rocsparse_direction_NS_24const_host_device_scalarIT0_EES3_PKS3_PKT1_SC_S9_PKT3_PKT4_S7_PT5_21rocsparse_index_base_b,comdat
	.globl	_ZN9rocsparseL20bsrxmvn_17_32_kernelILj27E21rocsparse_complex_numIfElifS2_S2_EEvT2_20rocsparse_direction_NS_24const_host_device_scalarIT0_EES3_PKS3_PKT1_SC_S9_PKT3_PKT4_S7_PT5_21rocsparse_index_base_b ; -- Begin function _ZN9rocsparseL20bsrxmvn_17_32_kernelILj27E21rocsparse_complex_numIfElifS2_S2_EEvT2_20rocsparse_direction_NS_24const_host_device_scalarIT0_EES3_PKS3_PKT1_SC_S9_PKT3_PKT4_S7_PT5_21rocsparse_index_base_b
	.p2align	8
	.type	_ZN9rocsparseL20bsrxmvn_17_32_kernelILj27E21rocsparse_complex_numIfElifS2_S2_EEvT2_20rocsparse_direction_NS_24const_host_device_scalarIT0_EES3_PKS3_PKT1_SC_S9_PKT3_PKT4_S7_PT5_21rocsparse_index_base_b,@function
_ZN9rocsparseL20bsrxmvn_17_32_kernelILj27E21rocsparse_complex_numIfElifS2_S2_EEvT2_20rocsparse_direction_NS_24const_host_device_scalarIT0_EES3_PKS3_PKT1_SC_S9_PKT3_PKT4_S7_PT5_21rocsparse_index_base_b: ; @_ZN9rocsparseL20bsrxmvn_17_32_kernelILj27E21rocsparse_complex_numIfElifS2_S2_EEvT2_20rocsparse_direction_NS_24const_host_device_scalarIT0_EES3_PKS3_PKT1_SC_S9_PKT3_PKT4_S7_PT5_21rocsparse_index_base_b
; %bb.0:
	s_clause 0x2
	s_load_b64 s[12:13], s[0:1], 0x58
	s_load_b64 s[4:5], s[0:1], 0x8
	;; [unrolled: 1-line block ×3, first 2 shown]
	s_mov_b32 s8, s15
	s_waitcnt lgkmcnt(0)
	s_bitcmp1_b32 s13, 0
	v_mov_b32_e32 v10, s4
	s_cselect_b32 s6, -1, 0
	s_delay_alu instid0(SALU_CYCLE_1)
	s_and_b32 vcc_lo, exec_lo, s6
	s_xor_b32 s6, s6, -1
	s_cbranch_vccz .LBB410_15
; %bb.1:
	v_cndmask_b32_e64 v1, 0, 1, s6
	v_mov_b32_e32 v11, s5
	s_and_not1_b32 vcc_lo, exec_lo, s6
	s_cbranch_vccz .LBB410_16
.LBB410_2:
	s_delay_alu instid0(VALU_DEP_2)
	v_cmp_ne_u32_e32 vcc_lo, 1, v1
	v_mov_b32_e32 v8, s2
	s_cbranch_vccz .LBB410_17
.LBB410_3:
	v_cmp_ne_u32_e32 vcc_lo, 1, v1
	v_mov_b32_e32 v9, s3
	s_cbranch_vccnz .LBB410_5
.LBB410_4:
	v_dual_mov_b32 v1, s2 :: v_dual_mov_b32 v2, s3
	flat_load_b32 v9, v[1:2] offset:4
.LBB410_5:
	s_waitcnt vmcnt(0) lgkmcnt(0)
	v_cmp_eq_f32_e32 vcc_lo, 0, v10
	v_cmp_eq_f32_e64 s2, 0, v11
	s_delay_alu instid0(VALU_DEP_1)
	s_and_b32 s4, vcc_lo, s2
	s_mov_b32 s2, -1
	s_and_saveexec_b32 s3, s4
; %bb.6:
	v_cmp_neq_f32_e32 vcc_lo, 1.0, v8
	v_cmp_neq_f32_e64 s2, 0, v9
	s_delay_alu instid0(VALU_DEP_1) | instskip(NEXT) | instid1(SALU_CYCLE_1)
	s_or_b32 s2, vcc_lo, s2
	s_or_not1_b32 s2, s2, exec_lo
; %bb.7:
	s_or_b32 exec_lo, exec_lo, s3
	s_and_saveexec_b32 s3, s2
	s_cbranch_execz .LBB410_44
; %bb.8:
	s_clause 0x1
	s_load_b128 s[4:7], s[0:1], 0x18
	s_load_b64 s[10:11], s[0:1], 0x28
	s_waitcnt lgkmcnt(0)
	s_cmp_eq_u64 s[4:5], 0
	s_cbranch_scc1 .LBB410_10
; %bb.9:
	s_ashr_i32 s9, s8, 31
	s_delay_alu instid0(SALU_CYCLE_1) | instskip(NEXT) | instid1(SALU_CYCLE_1)
	s_lshl_b64 s[2:3], s[8:9], 2
	s_add_u32 s2, s4, s2
	s_addc_u32 s3, s5, s3
	s_load_b32 s2, s[2:3], 0x0
	s_waitcnt lgkmcnt(0)
	s_sub_i32 s8, s2, s12
.LBB410_10:
	s_load_b32 s3, s[0:1], 0x4
	v_mul_u32_u24_e32 v1, 0x97c, v0
	v_mov_b32_e32 v2, 0
	s_delay_alu instid0(VALU_DEP_2) | instskip(NEXT) | instid1(VALU_DEP_1)
	v_lshrrev_b32_e32 v3, 16, v1
	v_mul_lo_u16 v1, v3, 27
	s_delay_alu instid0(VALU_DEP_1)
	v_sub_nc_u16 v12, v0, v1
	v_mov_b32_e32 v1, 0
	s_waitcnt lgkmcnt(0)
	s_cmp_eq_u32 s3, 1
	s_cselect_b32 s2, -1, 0
	s_cmp_lg_u32 s3, 1
	s_cselect_b32 s3, -1, 0
	s_ashr_i32 s9, s8, 31
	s_delay_alu instid0(SALU_CYCLE_1) | instskip(NEXT) | instid1(SALU_CYCLE_1)
	s_lshl_b64 s[4:5], s[8:9], 3
	s_add_u32 s6, s6, s4
	s_addc_u32 s7, s7, s5
	s_add_u32 s9, s6, 8
	s_addc_u32 s13, s7, 0
	;; [unrolled: 2-line block ×3, first 2 shown]
	s_cmp_eq_u64 s[10:11], 0
	s_load_b64 s[10:11], s[0:1], 0x50
	s_cselect_b32 s5, s13, s5
	s_cselect_b32 s4, s9, s4
	s_load_b64 s[18:19], s[6:7], 0x0
	s_load_b64 s[14:15], s[4:5], 0x0
	s_waitcnt lgkmcnt(0)
	v_cmp_ge_i64_e64 s4, s[18:19], s[14:15]
	s_delay_alu instid0(VALU_DEP_1)
	s_and_b32 vcc_lo, exec_lo, s4
	s_cbranch_vccnz .LBB410_18
; %bb.11:
	v_and_b32_e32 v1, 0xffff, v3
	v_cmp_lt_u32_e32 vcc_lo, 0x2d8, v0
	s_clause 0x1
	s_load_b128 s[4:7], s[0:1], 0x30
	s_load_b64 s[0:1], s[0:1], 0x40
	s_sub_u32 s14, s14, s12
	s_subb_u32 s15, s15, 0
	v_subrev_nc_u32_e32 v3, 27, v1
	v_cndmask_b32_e64 v13, 0, 1, vcc_lo
	v_cmp_gt_u32_e32 vcc_lo, 0x2d9, v0
	v_and_b32_e32 v2, 0xffff, v12
	s_sub_u32 s16, s18, s12
	s_subb_u32 s17, s19, 0
	s_mul_hi_u32 s9, s16, 0xb64
	v_cndmask_b32_e32 v1, v3, v1, vcc_lo
	s_mul_i32 s13, s17, 0xb64
	s_delay_alu instid0(SALU_CYCLE_1) | instskip(NEXT) | instid1(VALU_DEP_1)
	s_add_i32 s9, s9, s13
	v_cndmask_b32_e64 v3, v2, v1, s2
	v_add_co_u32 v1, s2, s18, v13
	s_delay_alu instid0(VALU_DEP_1) | instskip(SKIP_1) | instid1(VALU_DEP_2)
	v_add_co_ci_u32_e64 v2, null, s19, 0, s2
	s_mul_i32 s2, s16, 0xb64
	v_sub_co_u32 v1, vcc_lo, v1, s12
	s_delay_alu instid0(VALU_DEP_2) | instskip(SKIP_3) | instid1(VALU_DEP_1)
	v_subrev_co_ci_u32_e32 v2, vcc_lo, 0, v2, vcc_lo
	s_waitcnt lgkmcnt(0)
	s_add_u32 s2, s6, s2
	s_addc_u32 s6, s7, s9
	v_lshlrev_b64 v[6:7], 2, v[1:2]
	v_mov_b32_e32 v2, 0
	s_delay_alu instid0(VALU_DEP_1) | instskip(NEXT) | instid1(VALU_DEP_1)
	v_dual_mov_b32 v1, v2 :: v_dual_lshlrev_b32 v4, 2, v0
	v_add_co_u32 v4, s2, s2, v4
	s_delay_alu instid0(VALU_DEP_4)
	v_add_co_u32 v6, vcc_lo, s4, v6
	v_add_co_ci_u32_e64 v5, null, s6, 0, s2
	v_add_co_ci_u32_e32 v7, vcc_lo, s5, v7, vcc_lo
	s_set_inst_prefetch_distance 0x1
	s_branch .LBB410_13
	.p2align	6
.LBB410_12:                             ;   in Loop: Header=BB410_13 Depth=1
	s_or_b32 exec_lo, exec_lo, s2
	s_add_u32 s16, s16, 1
	s_addc_u32 s17, s17, 0
	v_add_co_u32 v6, vcc_lo, v6, 4
	v_cmp_lt_i64_e64 s2, s[16:17], s[14:15]
	v_add_co_ci_u32_e32 v7, vcc_lo, 0, v7, vcc_lo
	s_delay_alu instid0(VALU_DEP_2)
	s_and_b32 vcc_lo, exec_lo, s2
	s_cbranch_vccz .LBB410_18
.LBB410_13:                             ; =>This Inner Loop Header: Depth=1
	v_add_co_u32 v14, s2, v13, s16
	s_delay_alu instid0(VALU_DEP_1) | instskip(SKIP_1) | instid1(VALU_DEP_1)
	v_add_co_ci_u32_e64 v15, null, 0, s17, s2
	s_mov_b32 s2, exec_lo
	v_cmpx_gt_i64_e64 s[14:15], v[14:15]
	s_cbranch_execz .LBB410_12
; %bb.14:                               ;   in Loop: Header=BB410_13 Depth=1
	global_load_b32 v14, v[6:7], off
	s_waitcnt vmcnt(0)
	v_subrev_nc_u32_e32 v16, s12, v14
	s_delay_alu instid0(VALU_DEP_1) | instskip(NEXT) | instid1(VALU_DEP_1)
	v_mad_u64_u32 v[14:15], null, v16, 27, v[3:4]
	v_ashrrev_i32_e32 v15, 31, v14
	s_delay_alu instid0(VALU_DEP_1) | instskip(NEXT) | instid1(VALU_DEP_1)
	v_lshlrev_b64 v[14:15], 3, v[14:15]
	v_add_co_u32 v14, vcc_lo, s0, v14
	s_delay_alu instid0(VALU_DEP_2)
	v_add_co_ci_u32_e32 v15, vcc_lo, s1, v15, vcc_lo
	global_load_b32 v16, v[4:5], off
	global_load_b64 v[14:15], v[14:15], off
	v_add_co_u32 v4, vcc_lo, 0xb64, v4
	v_add_co_ci_u32_e32 v5, vcc_lo, 0, v5, vcc_lo
	s_waitcnt vmcnt(0)
	v_fmac_f32_e32 v1, v16, v14
	s_delay_alu instid0(VALU_DEP_1) | instskip(NEXT) | instid1(VALU_DEP_1)
	v_dual_fmac_f32 v2, 0, v14 :: v_dual_fmac_f32 v1, 0x80000000, v15
	v_fmac_f32_e32 v2, v16, v15
	s_branch .LBB410_12
.LBB410_15:
	v_dual_mov_b32 v1, s4 :: v_dual_mov_b32 v2, s5
	flat_load_b32 v10, v[1:2]
	v_cndmask_b32_e64 v1, 0, 1, s6
	v_mov_b32_e32 v11, s5
	s_and_not1_b32 vcc_lo, exec_lo, s6
	s_cbranch_vccnz .LBB410_2
.LBB410_16:
	v_dual_mov_b32 v2, s4 :: v_dual_mov_b32 v3, s5
	flat_load_b32 v11, v[2:3] offset:4
	v_cmp_ne_u32_e32 vcc_lo, 1, v1
	v_mov_b32_e32 v8, s2
	s_cbranch_vccnz .LBB410_3
.LBB410_17:
	v_dual_mov_b32 v2, s2 :: v_dual_mov_b32 v3, s3
	flat_load_b32 v8, v[2:3]
	v_cmp_ne_u32_e32 vcc_lo, 1, v1
	v_mov_b32_e32 v9, s3
	s_cbranch_vccz .LBB410_4
	s_branch .LBB410_5
.LBB410_18:
	s_set_inst_prefetch_distance 0x2
	v_lshlrev_b32_e32 v3, 3, v0
	s_and_b32 vcc_lo, exec_lo, s3
	ds_store_b64 v3, v[1:2]
	s_waitcnt lgkmcnt(0)
	s_barrier
	buffer_gl0_inv
	s_cbranch_vccz .LBB410_30
; %bb.19:
	s_mov_b32 s0, exec_lo
	v_cmpx_gt_u16_e32 11, v12
	s_cbranch_execz .LBB410_21
; %bb.20:
	ds_load_2addr_b64 v[4:7], v3 offset1:16
	s_waitcnt lgkmcnt(0)
	v_dual_add_f32 v4, v6, v4 :: v_dual_add_f32 v5, v7, v5
	ds_store_b64 v3, v[4:5]
.LBB410_21:
	s_or_b32 exec_lo, exec_lo, s0
	s_delay_alu instid0(SALU_CYCLE_1)
	s_mov_b32 s0, exec_lo
	s_waitcnt lgkmcnt(0)
	s_barrier
	buffer_gl0_inv
	v_cmpx_gt_u16_e32 8, v12
	s_cbranch_execz .LBB410_23
; %bb.22:
	ds_load_2addr_b64 v[4:7], v3 offset1:8
	s_waitcnt lgkmcnt(0)
	v_dual_add_f32 v4, v6, v4 :: v_dual_add_f32 v5, v7, v5
	ds_store_b64 v3, v[4:5]
.LBB410_23:
	s_or_b32 exec_lo, exec_lo, s0
	s_delay_alu instid0(SALU_CYCLE_1)
	s_mov_b32 s0, exec_lo
	s_waitcnt lgkmcnt(0)
	s_barrier
	buffer_gl0_inv
	;; [unrolled: 14-line block ×3, first 2 shown]
	v_cmpx_gt_u16_e32 2, v12
	s_cbranch_execz .LBB410_27
; %bb.26:
	ds_load_2addr_b64 v[4:7], v3 offset1:2
	s_waitcnt lgkmcnt(0)
	v_dual_add_f32 v4, v6, v4 :: v_dual_add_f32 v5, v7, v5
	ds_store_b64 v3, v[4:5]
.LBB410_27:
	s_or_b32 exec_lo, exec_lo, s0
	s_mov_b32 s1, 0
	s_mov_b32 s0, 0
	s_mov_b32 s2, exec_lo
	s_waitcnt lgkmcnt(0)
	s_barrier
	buffer_gl0_inv
                                        ; implicit-def: $vgpr5
                                        ; implicit-def: $vgpr4
	v_cmpx_gt_u32_e32 27, v0
	s_xor_b32 s2, exec_lo, s2
; %bb.28:
	v_mul_u32_u24_e32 v5, 27, v0
	v_mad_u32_u24 v4, v0, 27, 1
	s_mov_b32 s0, exec_lo
	s_delay_alu instid0(VALU_DEP_2)
	v_lshlrev_b32_e32 v5, 3, v5
; %bb.29:
	s_or_b32 exec_lo, exec_lo, s2
	s_delay_alu instid0(SALU_CYCLE_1)
	s_and_b32 vcc_lo, exec_lo, s1
	s_cbranch_vccnz .LBB410_31
	s_branch .LBB410_42
.LBB410_30:
	s_mov_b32 s0, 0
                                        ; implicit-def: $vgpr5
                                        ; implicit-def: $vgpr4
	s_cbranch_execz .LBB410_42
.LBB410_31:
	s_mov_b32 s1, exec_lo
	v_cmpx_gt_u32_e32 0x129, v0
	s_cbranch_execz .LBB410_33
; %bb.32:
	ds_load_b64 v[4:5], v3 offset:3456
	ds_load_b64 v[6:7], v3
	s_waitcnt lgkmcnt(0)
	v_dual_add_f32 v4, v4, v6 :: v_dual_add_f32 v5, v5, v7
	ds_store_b64 v3, v[4:5]
.LBB410_33:
	s_or_b32 exec_lo, exec_lo, s1
	s_delay_alu instid0(SALU_CYCLE_1)
	s_mov_b32 s1, exec_lo
	s_waitcnt lgkmcnt(0)
	s_barrier
	buffer_gl0_inv
	v_cmpx_gt_u32_e32 0xd8, v0
	s_cbranch_execz .LBB410_35
; %bb.34:
	ds_load_2addr_b64 v[4:7], v3 offset1:216
	s_waitcnt lgkmcnt(0)
	v_dual_add_f32 v4, v6, v4 :: v_dual_add_f32 v5, v7, v5
	ds_store_b64 v3, v[4:5]
.LBB410_35:
	s_or_b32 exec_lo, exec_lo, s1
	s_delay_alu instid0(SALU_CYCLE_1)
	s_mov_b32 s1, exec_lo
	s_waitcnt lgkmcnt(0)
	s_barrier
	buffer_gl0_inv
	v_cmpx_gt_u32_e32 0x6c, v0
	s_cbranch_execz .LBB410_37
; %bb.36:
	ds_load_2addr_b64 v[4:7], v3 offset1:108
	s_waitcnt lgkmcnt(0)
	v_dual_add_f32 v4, v6, v4 :: v_dual_add_f32 v5, v7, v5
	ds_store_b64 v3, v[4:5]
.LBB410_37:
	;; [unrolled: 14-line block ×3, first 2 shown]
	s_or_b32 exec_lo, exec_lo, s1
	s_delay_alu instid0(SALU_CYCLE_1)
	s_mov_b32 s1, exec_lo
	s_waitcnt lgkmcnt(0)
	buffer_gl0_inv
                                        ; implicit-def: $vgpr4
	v_cmpx_gt_u32_e32 27, v0
; %bb.40:
	v_add_nc_u32_e32 v4, 27, v0
                                        ; kill: def $vgpr1 killed $sgpr0 killed $exec
	s_or_b32 s0, s0, exec_lo
                                        ; implicit-def: $vgpr2
; %bb.41:
	s_or_b32 exec_lo, exec_lo, s1
	v_mov_b32_e32 v5, v3
.LBB410_42:
	s_and_saveexec_b32 s1, s0
	s_cbranch_execnz .LBB410_45
; %bb.43:
	s_or_b32 exec_lo, exec_lo, s1
	v_cmp_gt_u32_e32 vcc_lo, 27, v0
	s_and_b32 exec_lo, exec_lo, vcc_lo
	s_cbranch_execnz .LBB410_46
.LBB410_44:
	s_nop 0
	s_sendmsg sendmsg(MSG_DEALLOC_VGPRS)
	s_endpgm
.LBB410_45:
	v_lshlrev_b32_e32 v3, 3, v4
	ds_load_2addr_b32 v[1:2], v5 offset1:1
	ds_load_b64 v[3:4], v3
	s_waitcnt lgkmcnt(0)
	v_dual_add_f32 v2, v4, v2 :: v_dual_add_f32 v1, v3, v1
	s_or_b32 exec_lo, exec_lo, s1
	v_cmp_gt_u32_e32 vcc_lo, 27, v0
	s_and_b32 exec_lo, exec_lo, vcc_lo
	s_cbranch_execz .LBB410_44
.LBB410_46:
	v_mul_f32_e64 v3, v2, -v11
	v_mul_f32_e32 v4, v2, v10
	v_cmp_eq_f32_e32 vcc_lo, 0, v8
	v_cmp_eq_f32_e64 s0, 0, v9
	s_delay_alu instid0(VALU_DEP_4) | instskip(NEXT) | instid1(VALU_DEP_4)
	v_fmac_f32_e32 v3, v10, v1
	v_fmac_f32_e32 v4, v11, v1
	s_delay_alu instid0(VALU_DEP_3) | instskip(NEXT) | instid1(SALU_CYCLE_1)
	s_and_b32 s0, vcc_lo, s0
	s_and_saveexec_b32 s1, s0
	s_delay_alu instid0(SALU_CYCLE_1)
	s_xor_b32 s0, exec_lo, s1
	s_cbranch_execz .LBB410_48
; %bb.47:
	v_mad_u64_u32 v[1:2], null, s8, 27, v[0:1]
	v_mov_b32_e32 v2, 0
                                        ; implicit-def: $vgpr8
                                        ; implicit-def: $vgpr9
	s_delay_alu instid0(VALU_DEP_1) | instskip(NEXT) | instid1(VALU_DEP_1)
	v_lshlrev_b64 v[0:1], 3, v[1:2]
	v_add_co_u32 v0, vcc_lo, s10, v0
	s_delay_alu instid0(VALU_DEP_2)
	v_add_co_ci_u32_e32 v1, vcc_lo, s11, v1, vcc_lo
	global_store_b64 v[0:1], v[3:4], off
                                        ; implicit-def: $vgpr0
                                        ; implicit-def: $vgpr3
.LBB410_48:
	s_and_not1_saveexec_b32 s0, s0
	s_cbranch_execz .LBB410_44
; %bb.49:
	v_mad_u64_u32 v[1:2], null, s8, 27, v[0:1]
	v_mov_b32_e32 v2, 0
	s_delay_alu instid0(VALU_DEP_1) | instskip(NEXT) | instid1(VALU_DEP_1)
	v_lshlrev_b64 v[0:1], 3, v[1:2]
	v_add_co_u32 v0, vcc_lo, s10, v0
	s_delay_alu instid0(VALU_DEP_2) | instskip(SKIP_4) | instid1(VALU_DEP_2)
	v_add_co_ci_u32_e32 v1, vcc_lo, s11, v1, vcc_lo
	global_load_b64 v[5:6], v[0:1], off
	s_waitcnt vmcnt(0)
	v_fmac_f32_e32 v3, v8, v5
	v_fmac_f32_e32 v4, v9, v5
	v_fma_f32 v3, -v9, v6, v3
	s_delay_alu instid0(VALU_DEP_2)
	v_fmac_f32_e32 v4, v8, v6
	global_store_b64 v[0:1], v[3:4], off
	s_nop 0
	s_sendmsg sendmsg(MSG_DEALLOC_VGPRS)
	s_endpgm
	.section	.rodata,"a",@progbits
	.p2align	6, 0x0
	.amdhsa_kernel _ZN9rocsparseL20bsrxmvn_17_32_kernelILj27E21rocsparse_complex_numIfElifS2_S2_EEvT2_20rocsparse_direction_NS_24const_host_device_scalarIT0_EES3_PKS3_PKT1_SC_S9_PKT3_PKT4_S7_PT5_21rocsparse_index_base_b
		.amdhsa_group_segment_fixed_size 5832
		.amdhsa_private_segment_fixed_size 0
		.amdhsa_kernarg_size 96
		.amdhsa_user_sgpr_count 15
		.amdhsa_user_sgpr_dispatch_ptr 0
		.amdhsa_user_sgpr_queue_ptr 0
		.amdhsa_user_sgpr_kernarg_segment_ptr 1
		.amdhsa_user_sgpr_dispatch_id 0
		.amdhsa_user_sgpr_private_segment_size 0
		.amdhsa_wavefront_size32 1
		.amdhsa_uses_dynamic_stack 0
		.amdhsa_enable_private_segment 0
		.amdhsa_system_sgpr_workgroup_id_x 1
		.amdhsa_system_sgpr_workgroup_id_y 0
		.amdhsa_system_sgpr_workgroup_id_z 0
		.amdhsa_system_sgpr_workgroup_info 0
		.amdhsa_system_vgpr_workitem_id 0
		.amdhsa_next_free_vgpr 17
		.amdhsa_next_free_sgpr 20
		.amdhsa_reserve_vcc 1
		.amdhsa_float_round_mode_32 0
		.amdhsa_float_round_mode_16_64 0
		.amdhsa_float_denorm_mode_32 3
		.amdhsa_float_denorm_mode_16_64 3
		.amdhsa_dx10_clamp 1
		.amdhsa_ieee_mode 1
		.amdhsa_fp16_overflow 0
		.amdhsa_workgroup_processor_mode 1
		.amdhsa_memory_ordered 1
		.amdhsa_forward_progress 0
		.amdhsa_shared_vgpr_count 0
		.amdhsa_exception_fp_ieee_invalid_op 0
		.amdhsa_exception_fp_denorm_src 0
		.amdhsa_exception_fp_ieee_div_zero 0
		.amdhsa_exception_fp_ieee_overflow 0
		.amdhsa_exception_fp_ieee_underflow 0
		.amdhsa_exception_fp_ieee_inexact 0
		.amdhsa_exception_int_div_zero 0
	.end_amdhsa_kernel
	.section	.text._ZN9rocsparseL20bsrxmvn_17_32_kernelILj27E21rocsparse_complex_numIfElifS2_S2_EEvT2_20rocsparse_direction_NS_24const_host_device_scalarIT0_EES3_PKS3_PKT1_SC_S9_PKT3_PKT4_S7_PT5_21rocsparse_index_base_b,"axG",@progbits,_ZN9rocsparseL20bsrxmvn_17_32_kernelILj27E21rocsparse_complex_numIfElifS2_S2_EEvT2_20rocsparse_direction_NS_24const_host_device_scalarIT0_EES3_PKS3_PKT1_SC_S9_PKT3_PKT4_S7_PT5_21rocsparse_index_base_b,comdat
.Lfunc_end410:
	.size	_ZN9rocsparseL20bsrxmvn_17_32_kernelILj27E21rocsparse_complex_numIfElifS2_S2_EEvT2_20rocsparse_direction_NS_24const_host_device_scalarIT0_EES3_PKS3_PKT1_SC_S9_PKT3_PKT4_S7_PT5_21rocsparse_index_base_b, .Lfunc_end410-_ZN9rocsparseL20bsrxmvn_17_32_kernelILj27E21rocsparse_complex_numIfElifS2_S2_EEvT2_20rocsparse_direction_NS_24const_host_device_scalarIT0_EES3_PKS3_PKT1_SC_S9_PKT3_PKT4_S7_PT5_21rocsparse_index_base_b
                                        ; -- End function
	.section	.AMDGPU.csdata,"",@progbits
; Kernel info:
; codeLenInByte = 1924
; NumSgprs: 22
; NumVgprs: 17
; ScratchSize: 0
; MemoryBound: 0
; FloatMode: 240
; IeeeMode: 1
; LDSByteSize: 5832 bytes/workgroup (compile time only)
; SGPRBlocks: 2
; VGPRBlocks: 2
; NumSGPRsForWavesPerEU: 22
; NumVGPRsForWavesPerEU: 17
; Occupancy: 12
; WaveLimiterHint : 1
; COMPUTE_PGM_RSRC2:SCRATCH_EN: 0
; COMPUTE_PGM_RSRC2:USER_SGPR: 15
; COMPUTE_PGM_RSRC2:TRAP_HANDLER: 0
; COMPUTE_PGM_RSRC2:TGID_X_EN: 1
; COMPUTE_PGM_RSRC2:TGID_Y_EN: 0
; COMPUTE_PGM_RSRC2:TGID_Z_EN: 0
; COMPUTE_PGM_RSRC2:TIDIG_COMP_CNT: 0
	.section	.text._ZN9rocsparseL20bsrxmvn_17_32_kernelILj28E21rocsparse_complex_numIfElifS2_S2_EEvT2_20rocsparse_direction_NS_24const_host_device_scalarIT0_EES3_PKS3_PKT1_SC_S9_PKT3_PKT4_S7_PT5_21rocsparse_index_base_b,"axG",@progbits,_ZN9rocsparseL20bsrxmvn_17_32_kernelILj28E21rocsparse_complex_numIfElifS2_S2_EEvT2_20rocsparse_direction_NS_24const_host_device_scalarIT0_EES3_PKS3_PKT1_SC_S9_PKT3_PKT4_S7_PT5_21rocsparse_index_base_b,comdat
	.globl	_ZN9rocsparseL20bsrxmvn_17_32_kernelILj28E21rocsparse_complex_numIfElifS2_S2_EEvT2_20rocsparse_direction_NS_24const_host_device_scalarIT0_EES3_PKS3_PKT1_SC_S9_PKT3_PKT4_S7_PT5_21rocsparse_index_base_b ; -- Begin function _ZN9rocsparseL20bsrxmvn_17_32_kernelILj28E21rocsparse_complex_numIfElifS2_S2_EEvT2_20rocsparse_direction_NS_24const_host_device_scalarIT0_EES3_PKS3_PKT1_SC_S9_PKT3_PKT4_S7_PT5_21rocsparse_index_base_b
	.p2align	8
	.type	_ZN9rocsparseL20bsrxmvn_17_32_kernelILj28E21rocsparse_complex_numIfElifS2_S2_EEvT2_20rocsparse_direction_NS_24const_host_device_scalarIT0_EES3_PKS3_PKT1_SC_S9_PKT3_PKT4_S7_PT5_21rocsparse_index_base_b,@function
_ZN9rocsparseL20bsrxmvn_17_32_kernelILj28E21rocsparse_complex_numIfElifS2_S2_EEvT2_20rocsparse_direction_NS_24const_host_device_scalarIT0_EES3_PKS3_PKT1_SC_S9_PKT3_PKT4_S7_PT5_21rocsparse_index_base_b: ; @_ZN9rocsparseL20bsrxmvn_17_32_kernelILj28E21rocsparse_complex_numIfElifS2_S2_EEvT2_20rocsparse_direction_NS_24const_host_device_scalarIT0_EES3_PKS3_PKT1_SC_S9_PKT3_PKT4_S7_PT5_21rocsparse_index_base_b
; %bb.0:
	s_clause 0x2
	s_load_b64 s[12:13], s[0:1], 0x58
	s_load_b64 s[4:5], s[0:1], 0x8
	;; [unrolled: 1-line block ×3, first 2 shown]
	s_mov_b32 s8, s15
	s_waitcnt lgkmcnt(0)
	s_bitcmp1_b32 s13, 0
	v_mov_b32_e32 v10, s4
	s_cselect_b32 s6, -1, 0
	s_delay_alu instid0(SALU_CYCLE_1)
	s_and_b32 vcc_lo, exec_lo, s6
	s_xor_b32 s6, s6, -1
	s_cbranch_vccz .LBB411_15
; %bb.1:
	v_cndmask_b32_e64 v1, 0, 1, s6
	v_mov_b32_e32 v11, s5
	s_and_not1_b32 vcc_lo, exec_lo, s6
	s_cbranch_vccz .LBB411_16
.LBB411_2:
	s_delay_alu instid0(VALU_DEP_2)
	v_cmp_ne_u32_e32 vcc_lo, 1, v1
	v_mov_b32_e32 v8, s2
	s_cbranch_vccz .LBB411_17
.LBB411_3:
	v_cmp_ne_u32_e32 vcc_lo, 1, v1
	v_mov_b32_e32 v9, s3
	s_cbranch_vccnz .LBB411_5
.LBB411_4:
	v_dual_mov_b32 v1, s2 :: v_dual_mov_b32 v2, s3
	flat_load_b32 v9, v[1:2] offset:4
.LBB411_5:
	s_waitcnt vmcnt(0) lgkmcnt(0)
	v_cmp_eq_f32_e32 vcc_lo, 0, v10
	v_cmp_eq_f32_e64 s2, 0, v11
	s_delay_alu instid0(VALU_DEP_1)
	s_and_b32 s4, vcc_lo, s2
	s_mov_b32 s2, -1
	s_and_saveexec_b32 s3, s4
; %bb.6:
	v_cmp_neq_f32_e32 vcc_lo, 1.0, v8
	v_cmp_neq_f32_e64 s2, 0, v9
	s_delay_alu instid0(VALU_DEP_1) | instskip(NEXT) | instid1(SALU_CYCLE_1)
	s_or_b32 s2, vcc_lo, s2
	s_or_not1_b32 s2, s2, exec_lo
; %bb.7:
	s_or_b32 exec_lo, exec_lo, s3
	s_and_saveexec_b32 s3, s2
	s_cbranch_execz .LBB411_44
; %bb.8:
	s_clause 0x1
	s_load_b128 s[4:7], s[0:1], 0x18
	s_load_b64 s[10:11], s[0:1], 0x28
	s_waitcnt lgkmcnt(0)
	s_cmp_eq_u64 s[4:5], 0
	s_cbranch_scc1 .LBB411_10
; %bb.9:
	s_ashr_i32 s9, s8, 31
	s_delay_alu instid0(SALU_CYCLE_1) | instskip(NEXT) | instid1(SALU_CYCLE_1)
	s_lshl_b64 s[2:3], s[8:9], 2
	s_add_u32 s2, s4, s2
	s_addc_u32 s3, s5, s3
	s_load_b32 s2, s[2:3], 0x0
	s_waitcnt lgkmcnt(0)
	s_sub_i32 s8, s2, s12
.LBB411_10:
	s_load_b32 s3, s[0:1], 0x4
	v_mul_u32_u24_e32 v1, 0x925, v0
	v_mov_b32_e32 v2, 0
	s_delay_alu instid0(VALU_DEP_2) | instskip(NEXT) | instid1(VALU_DEP_1)
	v_lshrrev_b32_e32 v3, 16, v1
	v_mul_lo_u16 v1, v3, 28
	s_delay_alu instid0(VALU_DEP_1)
	v_sub_nc_u16 v12, v0, v1
	v_mov_b32_e32 v1, 0
	s_waitcnt lgkmcnt(0)
	s_cmp_eq_u32 s3, 1
	s_cselect_b32 s2, -1, 0
	s_cmp_lg_u32 s3, 1
	s_cselect_b32 s3, -1, 0
	s_ashr_i32 s9, s8, 31
	s_delay_alu instid0(SALU_CYCLE_1) | instskip(NEXT) | instid1(SALU_CYCLE_1)
	s_lshl_b64 s[4:5], s[8:9], 3
	s_add_u32 s6, s6, s4
	s_addc_u32 s7, s7, s5
	s_add_u32 s9, s6, 8
	s_addc_u32 s13, s7, 0
	s_add_u32 s4, s10, s4
	s_addc_u32 s5, s11, s5
	s_cmp_eq_u64 s[10:11], 0
	s_load_b64 s[10:11], s[0:1], 0x50
	s_cselect_b32 s5, s13, s5
	s_cselect_b32 s4, s9, s4
	s_load_b64 s[18:19], s[6:7], 0x0
	s_load_b64 s[14:15], s[4:5], 0x0
	s_waitcnt lgkmcnt(0)
	v_cmp_ge_i64_e64 s4, s[18:19], s[14:15]
	s_delay_alu instid0(VALU_DEP_1)
	s_and_b32 vcc_lo, exec_lo, s4
	s_cbranch_vccnz .LBB411_18
; %bb.11:
	v_and_b32_e32 v1, 0xffff, v3
	v_cmp_lt_u32_e32 vcc_lo, 0x30f, v0
	s_clause 0x1
	s_load_b128 s[4:7], s[0:1], 0x30
	s_load_b64 s[0:1], s[0:1], 0x40
	s_sub_u32 s14, s14, s12
	s_subb_u32 s15, s15, 0
	v_subrev_nc_u32_e32 v3, 28, v1
	v_cndmask_b32_e64 v13, 0, 1, vcc_lo
	v_cmp_gt_u32_e32 vcc_lo, 0x310, v0
	v_and_b32_e32 v2, 0xffff, v12
	s_sub_u32 s16, s18, s12
	s_subb_u32 s17, s19, 0
	s_mul_hi_u32 s9, s16, 0xc40
	v_cndmask_b32_e32 v1, v3, v1, vcc_lo
	s_mul_i32 s13, s17, 0xc40
	s_delay_alu instid0(SALU_CYCLE_1) | instskip(NEXT) | instid1(VALU_DEP_1)
	s_add_i32 s9, s9, s13
	v_cndmask_b32_e64 v3, v2, v1, s2
	v_add_co_u32 v1, s2, s18, v13
	s_delay_alu instid0(VALU_DEP_1) | instskip(SKIP_1) | instid1(VALU_DEP_2)
	v_add_co_ci_u32_e64 v2, null, s19, 0, s2
	s_mul_i32 s2, s16, 0xc40
	v_sub_co_u32 v1, vcc_lo, v1, s12
	s_delay_alu instid0(VALU_DEP_2) | instskip(SKIP_3) | instid1(VALU_DEP_1)
	v_subrev_co_ci_u32_e32 v2, vcc_lo, 0, v2, vcc_lo
	s_waitcnt lgkmcnt(0)
	s_add_u32 s2, s6, s2
	s_addc_u32 s6, s7, s9
	v_lshlrev_b64 v[6:7], 2, v[1:2]
	v_mov_b32_e32 v2, 0
	s_delay_alu instid0(VALU_DEP_1) | instskip(NEXT) | instid1(VALU_DEP_1)
	v_dual_mov_b32 v1, v2 :: v_dual_lshlrev_b32 v4, 2, v0
	v_add_co_u32 v4, s2, s2, v4
	s_delay_alu instid0(VALU_DEP_4)
	v_add_co_u32 v6, vcc_lo, s4, v6
	v_add_co_ci_u32_e64 v5, null, s6, 0, s2
	v_add_co_ci_u32_e32 v7, vcc_lo, s5, v7, vcc_lo
	s_set_inst_prefetch_distance 0x1
	s_branch .LBB411_13
	.p2align	6
.LBB411_12:                             ;   in Loop: Header=BB411_13 Depth=1
	s_or_b32 exec_lo, exec_lo, s2
	s_add_u32 s16, s16, 1
	s_addc_u32 s17, s17, 0
	v_add_co_u32 v6, vcc_lo, v6, 4
	v_cmp_lt_i64_e64 s2, s[16:17], s[14:15]
	v_add_co_ci_u32_e32 v7, vcc_lo, 0, v7, vcc_lo
	s_delay_alu instid0(VALU_DEP_2)
	s_and_b32 vcc_lo, exec_lo, s2
	s_cbranch_vccz .LBB411_18
.LBB411_13:                             ; =>This Inner Loop Header: Depth=1
	v_add_co_u32 v14, s2, v13, s16
	s_delay_alu instid0(VALU_DEP_1) | instskip(SKIP_1) | instid1(VALU_DEP_1)
	v_add_co_ci_u32_e64 v15, null, 0, s17, s2
	s_mov_b32 s2, exec_lo
	v_cmpx_gt_i64_e64 s[14:15], v[14:15]
	s_cbranch_execz .LBB411_12
; %bb.14:                               ;   in Loop: Header=BB411_13 Depth=1
	global_load_b32 v14, v[6:7], off
	s_waitcnt vmcnt(0)
	v_subrev_nc_u32_e32 v16, s12, v14
	s_delay_alu instid0(VALU_DEP_1) | instskip(NEXT) | instid1(VALU_DEP_1)
	v_mad_u64_u32 v[14:15], null, v16, 28, v[3:4]
	v_ashrrev_i32_e32 v15, 31, v14
	s_delay_alu instid0(VALU_DEP_1) | instskip(NEXT) | instid1(VALU_DEP_1)
	v_lshlrev_b64 v[14:15], 3, v[14:15]
	v_add_co_u32 v14, vcc_lo, s0, v14
	s_delay_alu instid0(VALU_DEP_2)
	v_add_co_ci_u32_e32 v15, vcc_lo, s1, v15, vcc_lo
	global_load_b32 v16, v[4:5], off
	global_load_b64 v[14:15], v[14:15], off
	v_add_co_u32 v4, vcc_lo, 0xc40, v4
	v_add_co_ci_u32_e32 v5, vcc_lo, 0, v5, vcc_lo
	s_waitcnt vmcnt(0)
	v_fmac_f32_e32 v1, v16, v14
	s_delay_alu instid0(VALU_DEP_1) | instskip(NEXT) | instid1(VALU_DEP_1)
	v_dual_fmac_f32 v2, 0, v14 :: v_dual_fmac_f32 v1, 0x80000000, v15
	v_fmac_f32_e32 v2, v16, v15
	s_branch .LBB411_12
.LBB411_15:
	v_dual_mov_b32 v1, s4 :: v_dual_mov_b32 v2, s5
	flat_load_b32 v10, v[1:2]
	v_cndmask_b32_e64 v1, 0, 1, s6
	v_mov_b32_e32 v11, s5
	s_and_not1_b32 vcc_lo, exec_lo, s6
	s_cbranch_vccnz .LBB411_2
.LBB411_16:
	v_dual_mov_b32 v2, s4 :: v_dual_mov_b32 v3, s5
	flat_load_b32 v11, v[2:3] offset:4
	v_cmp_ne_u32_e32 vcc_lo, 1, v1
	v_mov_b32_e32 v8, s2
	s_cbranch_vccnz .LBB411_3
.LBB411_17:
	v_dual_mov_b32 v2, s2 :: v_dual_mov_b32 v3, s3
	flat_load_b32 v8, v[2:3]
	v_cmp_ne_u32_e32 vcc_lo, 1, v1
	v_mov_b32_e32 v9, s3
	s_cbranch_vccz .LBB411_4
	s_branch .LBB411_5
.LBB411_18:
	s_set_inst_prefetch_distance 0x2
	v_lshlrev_b32_e32 v3, 3, v0
	s_and_b32 vcc_lo, exec_lo, s3
	ds_store_b64 v3, v[1:2]
	s_waitcnt lgkmcnt(0)
	s_barrier
	buffer_gl0_inv
	s_cbranch_vccz .LBB411_30
; %bb.19:
	s_mov_b32 s0, exec_lo
	v_cmpx_gt_u16_e32 12, v12
	s_cbranch_execz .LBB411_21
; %bb.20:
	ds_load_2addr_b64 v[4:7], v3 offset1:16
	s_waitcnt lgkmcnt(0)
	v_dual_add_f32 v4, v6, v4 :: v_dual_add_f32 v5, v7, v5
	ds_store_b64 v3, v[4:5]
.LBB411_21:
	s_or_b32 exec_lo, exec_lo, s0
	s_delay_alu instid0(SALU_CYCLE_1)
	s_mov_b32 s0, exec_lo
	s_waitcnt lgkmcnt(0)
	s_barrier
	buffer_gl0_inv
	v_cmpx_gt_u16_e32 8, v12
	s_cbranch_execz .LBB411_23
; %bb.22:
	ds_load_2addr_b64 v[4:7], v3 offset1:8
	s_waitcnt lgkmcnt(0)
	v_dual_add_f32 v4, v6, v4 :: v_dual_add_f32 v5, v7, v5
	ds_store_b64 v3, v[4:5]
.LBB411_23:
	s_or_b32 exec_lo, exec_lo, s0
	s_delay_alu instid0(SALU_CYCLE_1)
	s_mov_b32 s0, exec_lo
	s_waitcnt lgkmcnt(0)
	s_barrier
	buffer_gl0_inv
	;; [unrolled: 14-line block ×3, first 2 shown]
	v_cmpx_gt_u16_e32 2, v12
	s_cbranch_execz .LBB411_27
; %bb.26:
	ds_load_2addr_b64 v[4:7], v3 offset1:2
	s_waitcnt lgkmcnt(0)
	v_dual_add_f32 v4, v6, v4 :: v_dual_add_f32 v5, v7, v5
	ds_store_b64 v3, v[4:5]
.LBB411_27:
	s_or_b32 exec_lo, exec_lo, s0
	s_mov_b32 s1, 0
	s_mov_b32 s0, 0
	s_mov_b32 s2, exec_lo
	s_waitcnt lgkmcnt(0)
	s_barrier
	buffer_gl0_inv
                                        ; implicit-def: $vgpr5
                                        ; implicit-def: $vgpr4
	v_cmpx_gt_u32_e32 28, v0
	s_xor_b32 s2, exec_lo, s2
; %bb.28:
	v_mul_u32_u24_e32 v4, 28, v0
	s_mov_b32 s0, exec_lo
	s_delay_alu instid0(VALU_DEP_1)
	v_lshlrev_b32_e32 v5, 3, v4
	v_or_b32_e32 v4, 1, v4
; %bb.29:
	s_or_b32 exec_lo, exec_lo, s2
	s_delay_alu instid0(SALU_CYCLE_1)
	s_and_b32 vcc_lo, exec_lo, s1
	s_cbranch_vccnz .LBB411_31
	s_branch .LBB411_42
.LBB411_30:
	s_mov_b32 s0, 0
                                        ; implicit-def: $vgpr5
                                        ; implicit-def: $vgpr4
	s_cbranch_execz .LBB411_42
.LBB411_31:
	s_mov_b32 s1, exec_lo
	v_cmpx_gt_u32_e32 0x150, v0
	s_cbranch_execz .LBB411_33
; %bb.32:
	ds_load_2addr_stride64_b64 v[4:7], v3 offset1:7
	s_waitcnt lgkmcnt(0)
	v_dual_add_f32 v4, v6, v4 :: v_dual_add_f32 v5, v7, v5
	ds_store_b64 v3, v[4:5]
.LBB411_33:
	s_or_b32 exec_lo, exec_lo, s1
	s_delay_alu instid0(SALU_CYCLE_1)
	s_mov_b32 s1, exec_lo
	s_waitcnt lgkmcnt(0)
	s_barrier
	buffer_gl0_inv
	v_cmpx_gt_u32_e32 0xe0, v0
	s_cbranch_execz .LBB411_35
; %bb.34:
	ds_load_2addr_b64 v[4:7], v3 offset1:224
	s_waitcnt lgkmcnt(0)
	v_dual_add_f32 v4, v6, v4 :: v_dual_add_f32 v5, v7, v5
	ds_store_b64 v3, v[4:5]
.LBB411_35:
	s_or_b32 exec_lo, exec_lo, s1
	s_delay_alu instid0(SALU_CYCLE_1)
	s_mov_b32 s1, exec_lo
	s_waitcnt lgkmcnt(0)
	s_barrier
	buffer_gl0_inv
	v_cmpx_gt_u32_e32 0x70, v0
	s_cbranch_execz .LBB411_37
; %bb.36:
	ds_load_2addr_b64 v[4:7], v3 offset1:112
	s_waitcnt lgkmcnt(0)
	v_dual_add_f32 v4, v6, v4 :: v_dual_add_f32 v5, v7, v5
	ds_store_b64 v3, v[4:5]
.LBB411_37:
	;; [unrolled: 14-line block ×3, first 2 shown]
	s_or_b32 exec_lo, exec_lo, s1
	s_delay_alu instid0(SALU_CYCLE_1)
	s_mov_b32 s1, exec_lo
	s_waitcnt lgkmcnt(0)
	buffer_gl0_inv
                                        ; implicit-def: $vgpr4
	v_cmpx_gt_u32_e32 28, v0
; %bb.40:
	v_add_nc_u32_e32 v4, 28, v0
                                        ; kill: def $vgpr1 killed $sgpr0 killed $exec
	s_or_b32 s0, s0, exec_lo
                                        ; implicit-def: $vgpr2
; %bb.41:
	s_or_b32 exec_lo, exec_lo, s1
	v_mov_b32_e32 v5, v3
.LBB411_42:
	s_and_saveexec_b32 s1, s0
	s_cbranch_execnz .LBB411_45
; %bb.43:
	s_or_b32 exec_lo, exec_lo, s1
	v_cmp_gt_u32_e32 vcc_lo, 28, v0
	s_and_b32 exec_lo, exec_lo, vcc_lo
	s_cbranch_execnz .LBB411_46
.LBB411_44:
	s_nop 0
	s_sendmsg sendmsg(MSG_DEALLOC_VGPRS)
	s_endpgm
.LBB411_45:
	v_lshlrev_b32_e32 v3, 3, v4
	ds_load_2addr_b32 v[1:2], v5 offset1:1
	ds_load_b64 v[3:4], v3
	s_waitcnt lgkmcnt(0)
	v_dual_add_f32 v2, v4, v2 :: v_dual_add_f32 v1, v3, v1
	s_or_b32 exec_lo, exec_lo, s1
	v_cmp_gt_u32_e32 vcc_lo, 28, v0
	s_and_b32 exec_lo, exec_lo, vcc_lo
	s_cbranch_execz .LBB411_44
.LBB411_46:
	v_mul_f32_e64 v3, v2, -v11
	v_mul_f32_e32 v4, v2, v10
	v_cmp_eq_f32_e32 vcc_lo, 0, v8
	v_cmp_eq_f32_e64 s0, 0, v9
	s_delay_alu instid0(VALU_DEP_4) | instskip(NEXT) | instid1(VALU_DEP_4)
	v_fmac_f32_e32 v3, v10, v1
	v_fmac_f32_e32 v4, v11, v1
	s_delay_alu instid0(VALU_DEP_3) | instskip(NEXT) | instid1(SALU_CYCLE_1)
	s_and_b32 s0, vcc_lo, s0
	s_and_saveexec_b32 s1, s0
	s_delay_alu instid0(SALU_CYCLE_1)
	s_xor_b32 s0, exec_lo, s1
	s_cbranch_execz .LBB411_48
; %bb.47:
	v_mad_u64_u32 v[1:2], null, s8, 28, v[0:1]
	v_mov_b32_e32 v2, 0
                                        ; implicit-def: $vgpr8
                                        ; implicit-def: $vgpr9
	s_delay_alu instid0(VALU_DEP_1) | instskip(NEXT) | instid1(VALU_DEP_1)
	v_lshlrev_b64 v[0:1], 3, v[1:2]
	v_add_co_u32 v0, vcc_lo, s10, v0
	s_delay_alu instid0(VALU_DEP_2)
	v_add_co_ci_u32_e32 v1, vcc_lo, s11, v1, vcc_lo
	global_store_b64 v[0:1], v[3:4], off
                                        ; implicit-def: $vgpr0
                                        ; implicit-def: $vgpr3
.LBB411_48:
	s_and_not1_saveexec_b32 s0, s0
	s_cbranch_execz .LBB411_44
; %bb.49:
	v_mad_u64_u32 v[1:2], null, s8, 28, v[0:1]
	v_mov_b32_e32 v2, 0
	s_delay_alu instid0(VALU_DEP_1) | instskip(NEXT) | instid1(VALU_DEP_1)
	v_lshlrev_b64 v[0:1], 3, v[1:2]
	v_add_co_u32 v0, vcc_lo, s10, v0
	s_delay_alu instid0(VALU_DEP_2) | instskip(SKIP_4) | instid1(VALU_DEP_2)
	v_add_co_ci_u32_e32 v1, vcc_lo, s11, v1, vcc_lo
	global_load_b64 v[5:6], v[0:1], off
	s_waitcnt vmcnt(0)
	v_fmac_f32_e32 v3, v8, v5
	v_fmac_f32_e32 v4, v9, v5
	v_fma_f32 v3, -v9, v6, v3
	s_delay_alu instid0(VALU_DEP_2)
	v_fmac_f32_e32 v4, v8, v6
	global_store_b64 v[0:1], v[3:4], off
	s_nop 0
	s_sendmsg sendmsg(MSG_DEALLOC_VGPRS)
	s_endpgm
	.section	.rodata,"a",@progbits
	.p2align	6, 0x0
	.amdhsa_kernel _ZN9rocsparseL20bsrxmvn_17_32_kernelILj28E21rocsparse_complex_numIfElifS2_S2_EEvT2_20rocsparse_direction_NS_24const_host_device_scalarIT0_EES3_PKS3_PKT1_SC_S9_PKT3_PKT4_S7_PT5_21rocsparse_index_base_b
		.amdhsa_group_segment_fixed_size 6272
		.amdhsa_private_segment_fixed_size 0
		.amdhsa_kernarg_size 96
		.amdhsa_user_sgpr_count 15
		.amdhsa_user_sgpr_dispatch_ptr 0
		.amdhsa_user_sgpr_queue_ptr 0
		.amdhsa_user_sgpr_kernarg_segment_ptr 1
		.amdhsa_user_sgpr_dispatch_id 0
		.amdhsa_user_sgpr_private_segment_size 0
		.amdhsa_wavefront_size32 1
		.amdhsa_uses_dynamic_stack 0
		.amdhsa_enable_private_segment 0
		.amdhsa_system_sgpr_workgroup_id_x 1
		.amdhsa_system_sgpr_workgroup_id_y 0
		.amdhsa_system_sgpr_workgroup_id_z 0
		.amdhsa_system_sgpr_workgroup_info 0
		.amdhsa_system_vgpr_workitem_id 0
		.amdhsa_next_free_vgpr 17
		.amdhsa_next_free_sgpr 20
		.amdhsa_reserve_vcc 1
		.amdhsa_float_round_mode_32 0
		.amdhsa_float_round_mode_16_64 0
		.amdhsa_float_denorm_mode_32 3
		.amdhsa_float_denorm_mode_16_64 3
		.amdhsa_dx10_clamp 1
		.amdhsa_ieee_mode 1
		.amdhsa_fp16_overflow 0
		.amdhsa_workgroup_processor_mode 1
		.amdhsa_memory_ordered 1
		.amdhsa_forward_progress 0
		.amdhsa_shared_vgpr_count 0
		.amdhsa_exception_fp_ieee_invalid_op 0
		.amdhsa_exception_fp_denorm_src 0
		.amdhsa_exception_fp_ieee_div_zero 0
		.amdhsa_exception_fp_ieee_overflow 0
		.amdhsa_exception_fp_ieee_underflow 0
		.amdhsa_exception_fp_ieee_inexact 0
		.amdhsa_exception_int_div_zero 0
	.end_amdhsa_kernel
	.section	.text._ZN9rocsparseL20bsrxmvn_17_32_kernelILj28E21rocsparse_complex_numIfElifS2_S2_EEvT2_20rocsparse_direction_NS_24const_host_device_scalarIT0_EES3_PKS3_PKT1_SC_S9_PKT3_PKT4_S7_PT5_21rocsparse_index_base_b,"axG",@progbits,_ZN9rocsparseL20bsrxmvn_17_32_kernelILj28E21rocsparse_complex_numIfElifS2_S2_EEvT2_20rocsparse_direction_NS_24const_host_device_scalarIT0_EES3_PKS3_PKT1_SC_S9_PKT3_PKT4_S7_PT5_21rocsparse_index_base_b,comdat
.Lfunc_end411:
	.size	_ZN9rocsparseL20bsrxmvn_17_32_kernelILj28E21rocsparse_complex_numIfElifS2_S2_EEvT2_20rocsparse_direction_NS_24const_host_device_scalarIT0_EES3_PKS3_PKT1_SC_S9_PKT3_PKT4_S7_PT5_21rocsparse_index_base_b, .Lfunc_end411-_ZN9rocsparseL20bsrxmvn_17_32_kernelILj28E21rocsparse_complex_numIfElifS2_S2_EEvT2_20rocsparse_direction_NS_24const_host_device_scalarIT0_EES3_PKS3_PKT1_SC_S9_PKT3_PKT4_S7_PT5_21rocsparse_index_base_b
                                        ; -- End function
	.section	.AMDGPU.csdata,"",@progbits
; Kernel info:
; codeLenInByte = 1912
; NumSgprs: 22
; NumVgprs: 17
; ScratchSize: 0
; MemoryBound: 0
; FloatMode: 240
; IeeeMode: 1
; LDSByteSize: 6272 bytes/workgroup (compile time only)
; SGPRBlocks: 2
; VGPRBlocks: 2
; NumSGPRsForWavesPerEU: 22
; NumVGPRsForWavesPerEU: 17
; Occupancy: 13
; WaveLimiterHint : 1
; COMPUTE_PGM_RSRC2:SCRATCH_EN: 0
; COMPUTE_PGM_RSRC2:USER_SGPR: 15
; COMPUTE_PGM_RSRC2:TRAP_HANDLER: 0
; COMPUTE_PGM_RSRC2:TGID_X_EN: 1
; COMPUTE_PGM_RSRC2:TGID_Y_EN: 0
; COMPUTE_PGM_RSRC2:TGID_Z_EN: 0
; COMPUTE_PGM_RSRC2:TIDIG_COMP_CNT: 0
	.section	.text._ZN9rocsparseL20bsrxmvn_17_32_kernelILj29E21rocsparse_complex_numIfElifS2_S2_EEvT2_20rocsparse_direction_NS_24const_host_device_scalarIT0_EES3_PKS3_PKT1_SC_S9_PKT3_PKT4_S7_PT5_21rocsparse_index_base_b,"axG",@progbits,_ZN9rocsparseL20bsrxmvn_17_32_kernelILj29E21rocsparse_complex_numIfElifS2_S2_EEvT2_20rocsparse_direction_NS_24const_host_device_scalarIT0_EES3_PKS3_PKT1_SC_S9_PKT3_PKT4_S7_PT5_21rocsparse_index_base_b,comdat
	.globl	_ZN9rocsparseL20bsrxmvn_17_32_kernelILj29E21rocsparse_complex_numIfElifS2_S2_EEvT2_20rocsparse_direction_NS_24const_host_device_scalarIT0_EES3_PKS3_PKT1_SC_S9_PKT3_PKT4_S7_PT5_21rocsparse_index_base_b ; -- Begin function _ZN9rocsparseL20bsrxmvn_17_32_kernelILj29E21rocsparse_complex_numIfElifS2_S2_EEvT2_20rocsparse_direction_NS_24const_host_device_scalarIT0_EES3_PKS3_PKT1_SC_S9_PKT3_PKT4_S7_PT5_21rocsparse_index_base_b
	.p2align	8
	.type	_ZN9rocsparseL20bsrxmvn_17_32_kernelILj29E21rocsparse_complex_numIfElifS2_S2_EEvT2_20rocsparse_direction_NS_24const_host_device_scalarIT0_EES3_PKS3_PKT1_SC_S9_PKT3_PKT4_S7_PT5_21rocsparse_index_base_b,@function
_ZN9rocsparseL20bsrxmvn_17_32_kernelILj29E21rocsparse_complex_numIfElifS2_S2_EEvT2_20rocsparse_direction_NS_24const_host_device_scalarIT0_EES3_PKS3_PKT1_SC_S9_PKT3_PKT4_S7_PT5_21rocsparse_index_base_b: ; @_ZN9rocsparseL20bsrxmvn_17_32_kernelILj29E21rocsparse_complex_numIfElifS2_S2_EEvT2_20rocsparse_direction_NS_24const_host_device_scalarIT0_EES3_PKS3_PKT1_SC_S9_PKT3_PKT4_S7_PT5_21rocsparse_index_base_b
; %bb.0:
	s_clause 0x2
	s_load_b64 s[12:13], s[0:1], 0x58
	s_load_b64 s[4:5], s[0:1], 0x8
	s_load_b64 s[2:3], s[0:1], 0x48
	s_mov_b32 s8, s15
	s_waitcnt lgkmcnt(0)
	s_bitcmp1_b32 s13, 0
	v_mov_b32_e32 v10, s4
	s_cselect_b32 s6, -1, 0
	s_delay_alu instid0(SALU_CYCLE_1)
	s_and_b32 vcc_lo, exec_lo, s6
	s_xor_b32 s6, s6, -1
	s_cbranch_vccz .LBB412_15
; %bb.1:
	v_cndmask_b32_e64 v1, 0, 1, s6
	v_mov_b32_e32 v11, s5
	s_and_not1_b32 vcc_lo, exec_lo, s6
	s_cbranch_vccz .LBB412_16
.LBB412_2:
	s_delay_alu instid0(VALU_DEP_2)
	v_cmp_ne_u32_e32 vcc_lo, 1, v1
	v_mov_b32_e32 v8, s2
	s_cbranch_vccz .LBB412_17
.LBB412_3:
	v_cmp_ne_u32_e32 vcc_lo, 1, v1
	v_mov_b32_e32 v9, s3
	s_cbranch_vccnz .LBB412_5
.LBB412_4:
	v_dual_mov_b32 v1, s2 :: v_dual_mov_b32 v2, s3
	flat_load_b32 v9, v[1:2] offset:4
.LBB412_5:
	s_waitcnt vmcnt(0) lgkmcnt(0)
	v_cmp_eq_f32_e32 vcc_lo, 0, v10
	v_cmp_eq_f32_e64 s2, 0, v11
	s_delay_alu instid0(VALU_DEP_1)
	s_and_b32 s4, vcc_lo, s2
	s_mov_b32 s2, -1
	s_and_saveexec_b32 s3, s4
; %bb.6:
	v_cmp_neq_f32_e32 vcc_lo, 1.0, v8
	v_cmp_neq_f32_e64 s2, 0, v9
	s_delay_alu instid0(VALU_DEP_1) | instskip(NEXT) | instid1(SALU_CYCLE_1)
	s_or_b32 s2, vcc_lo, s2
	s_or_not1_b32 s2, s2, exec_lo
; %bb.7:
	s_or_b32 exec_lo, exec_lo, s3
	s_and_saveexec_b32 s3, s2
	s_cbranch_execz .LBB412_44
; %bb.8:
	s_clause 0x1
	s_load_b128 s[4:7], s[0:1], 0x18
	s_load_b64 s[10:11], s[0:1], 0x28
	s_waitcnt lgkmcnt(0)
	s_cmp_eq_u64 s[4:5], 0
	s_cbranch_scc1 .LBB412_10
; %bb.9:
	s_ashr_i32 s9, s8, 31
	s_delay_alu instid0(SALU_CYCLE_1) | instskip(NEXT) | instid1(SALU_CYCLE_1)
	s_lshl_b64 s[2:3], s[8:9], 2
	s_add_u32 s2, s4, s2
	s_addc_u32 s3, s5, s3
	s_load_b32 s2, s[2:3], 0x0
	s_waitcnt lgkmcnt(0)
	s_sub_i32 s8, s2, s12
.LBB412_10:
	s_load_b32 s3, s[0:1], 0x4
	v_mul_u32_u24_e32 v1, 0x8d4, v0
	v_mov_b32_e32 v2, 0
	s_delay_alu instid0(VALU_DEP_2) | instskip(NEXT) | instid1(VALU_DEP_1)
	v_lshrrev_b32_e32 v3, 16, v1
	v_mul_lo_u16 v1, v3, 29
	s_delay_alu instid0(VALU_DEP_1)
	v_sub_nc_u16 v12, v0, v1
	v_mov_b32_e32 v1, 0
	s_waitcnt lgkmcnt(0)
	s_cmp_eq_u32 s3, 1
	s_cselect_b32 s2, -1, 0
	s_cmp_lg_u32 s3, 1
	s_cselect_b32 s3, -1, 0
	s_ashr_i32 s9, s8, 31
	s_delay_alu instid0(SALU_CYCLE_1) | instskip(NEXT) | instid1(SALU_CYCLE_1)
	s_lshl_b64 s[4:5], s[8:9], 3
	s_add_u32 s6, s6, s4
	s_addc_u32 s7, s7, s5
	s_add_u32 s9, s6, 8
	s_addc_u32 s13, s7, 0
	;; [unrolled: 2-line block ×3, first 2 shown]
	s_cmp_eq_u64 s[10:11], 0
	s_load_b64 s[10:11], s[0:1], 0x50
	s_cselect_b32 s5, s13, s5
	s_cselect_b32 s4, s9, s4
	s_load_b64 s[18:19], s[6:7], 0x0
	s_load_b64 s[14:15], s[4:5], 0x0
	s_waitcnt lgkmcnt(0)
	v_cmp_ge_i64_e64 s4, s[18:19], s[14:15]
	s_delay_alu instid0(VALU_DEP_1)
	s_and_b32 vcc_lo, exec_lo, s4
	s_cbranch_vccnz .LBB412_18
; %bb.11:
	v_and_b32_e32 v1, 0xffff, v3
	v_cmp_lt_u32_e32 vcc_lo, 0x348, v0
	s_clause 0x1
	s_load_b128 s[4:7], s[0:1], 0x30
	s_load_b64 s[0:1], s[0:1], 0x40
	s_sub_u32 s14, s14, s12
	s_subb_u32 s15, s15, 0
	v_subrev_nc_u32_e32 v3, 29, v1
	v_cndmask_b32_e64 v13, 0, 1, vcc_lo
	v_cmp_gt_u32_e32 vcc_lo, 0x349, v0
	v_and_b32_e32 v2, 0xffff, v12
	s_sub_u32 s16, s18, s12
	s_subb_u32 s17, s19, 0
	s_mul_hi_u32 s9, s16, 0xd24
	v_cndmask_b32_e32 v1, v3, v1, vcc_lo
	s_mul_i32 s13, s17, 0xd24
	s_delay_alu instid0(SALU_CYCLE_1) | instskip(NEXT) | instid1(VALU_DEP_1)
	s_add_i32 s9, s9, s13
	v_cndmask_b32_e64 v3, v2, v1, s2
	v_add_co_u32 v1, s2, s18, v13
	s_delay_alu instid0(VALU_DEP_1) | instskip(SKIP_1) | instid1(VALU_DEP_2)
	v_add_co_ci_u32_e64 v2, null, s19, 0, s2
	s_mul_i32 s2, s16, 0xd24
	v_sub_co_u32 v1, vcc_lo, v1, s12
	s_delay_alu instid0(VALU_DEP_2) | instskip(SKIP_3) | instid1(VALU_DEP_1)
	v_subrev_co_ci_u32_e32 v2, vcc_lo, 0, v2, vcc_lo
	s_waitcnt lgkmcnt(0)
	s_add_u32 s2, s6, s2
	s_addc_u32 s6, s7, s9
	v_lshlrev_b64 v[6:7], 2, v[1:2]
	v_mov_b32_e32 v2, 0
	s_delay_alu instid0(VALU_DEP_1) | instskip(NEXT) | instid1(VALU_DEP_1)
	v_dual_mov_b32 v1, v2 :: v_dual_lshlrev_b32 v4, 2, v0
	v_add_co_u32 v4, s2, s2, v4
	s_delay_alu instid0(VALU_DEP_4)
	v_add_co_u32 v6, vcc_lo, s4, v6
	v_add_co_ci_u32_e64 v5, null, s6, 0, s2
	v_add_co_ci_u32_e32 v7, vcc_lo, s5, v7, vcc_lo
	s_set_inst_prefetch_distance 0x1
	s_branch .LBB412_13
	.p2align	6
.LBB412_12:                             ;   in Loop: Header=BB412_13 Depth=1
	s_or_b32 exec_lo, exec_lo, s2
	s_add_u32 s16, s16, 1
	s_addc_u32 s17, s17, 0
	v_add_co_u32 v6, vcc_lo, v6, 4
	v_cmp_lt_i64_e64 s2, s[16:17], s[14:15]
	v_add_co_ci_u32_e32 v7, vcc_lo, 0, v7, vcc_lo
	s_delay_alu instid0(VALU_DEP_2)
	s_and_b32 vcc_lo, exec_lo, s2
	s_cbranch_vccz .LBB412_18
.LBB412_13:                             ; =>This Inner Loop Header: Depth=1
	v_add_co_u32 v14, s2, v13, s16
	s_delay_alu instid0(VALU_DEP_1) | instskip(SKIP_1) | instid1(VALU_DEP_1)
	v_add_co_ci_u32_e64 v15, null, 0, s17, s2
	s_mov_b32 s2, exec_lo
	v_cmpx_gt_i64_e64 s[14:15], v[14:15]
	s_cbranch_execz .LBB412_12
; %bb.14:                               ;   in Loop: Header=BB412_13 Depth=1
	global_load_b32 v14, v[6:7], off
	s_waitcnt vmcnt(0)
	v_subrev_nc_u32_e32 v16, s12, v14
	s_delay_alu instid0(VALU_DEP_1) | instskip(NEXT) | instid1(VALU_DEP_1)
	v_mad_u64_u32 v[14:15], null, v16, 29, v[3:4]
	v_ashrrev_i32_e32 v15, 31, v14
	s_delay_alu instid0(VALU_DEP_1) | instskip(NEXT) | instid1(VALU_DEP_1)
	v_lshlrev_b64 v[14:15], 3, v[14:15]
	v_add_co_u32 v14, vcc_lo, s0, v14
	s_delay_alu instid0(VALU_DEP_2)
	v_add_co_ci_u32_e32 v15, vcc_lo, s1, v15, vcc_lo
	global_load_b32 v16, v[4:5], off
	global_load_b64 v[14:15], v[14:15], off
	v_add_co_u32 v4, vcc_lo, 0xd24, v4
	v_add_co_ci_u32_e32 v5, vcc_lo, 0, v5, vcc_lo
	s_waitcnt vmcnt(0)
	v_fmac_f32_e32 v1, v16, v14
	s_delay_alu instid0(VALU_DEP_1) | instskip(NEXT) | instid1(VALU_DEP_1)
	v_dual_fmac_f32 v2, 0, v14 :: v_dual_fmac_f32 v1, 0x80000000, v15
	v_fmac_f32_e32 v2, v16, v15
	s_branch .LBB412_12
.LBB412_15:
	v_dual_mov_b32 v1, s4 :: v_dual_mov_b32 v2, s5
	flat_load_b32 v10, v[1:2]
	v_cndmask_b32_e64 v1, 0, 1, s6
	v_mov_b32_e32 v11, s5
	s_and_not1_b32 vcc_lo, exec_lo, s6
	s_cbranch_vccnz .LBB412_2
.LBB412_16:
	v_dual_mov_b32 v2, s4 :: v_dual_mov_b32 v3, s5
	flat_load_b32 v11, v[2:3] offset:4
	v_cmp_ne_u32_e32 vcc_lo, 1, v1
	v_mov_b32_e32 v8, s2
	s_cbranch_vccnz .LBB412_3
.LBB412_17:
	v_dual_mov_b32 v2, s2 :: v_dual_mov_b32 v3, s3
	flat_load_b32 v8, v[2:3]
	v_cmp_ne_u32_e32 vcc_lo, 1, v1
	v_mov_b32_e32 v9, s3
	s_cbranch_vccz .LBB412_4
	s_branch .LBB412_5
.LBB412_18:
	s_set_inst_prefetch_distance 0x2
	v_lshlrev_b32_e32 v3, 3, v0
	s_and_b32 vcc_lo, exec_lo, s3
	ds_store_b64 v3, v[1:2]
	s_waitcnt lgkmcnt(0)
	s_barrier
	buffer_gl0_inv
	s_cbranch_vccz .LBB412_30
; %bb.19:
	s_mov_b32 s0, exec_lo
	v_cmpx_gt_u16_e32 13, v12
	s_cbranch_execz .LBB412_21
; %bb.20:
	ds_load_2addr_b64 v[4:7], v3 offset1:16
	s_waitcnt lgkmcnt(0)
	v_dual_add_f32 v4, v6, v4 :: v_dual_add_f32 v5, v7, v5
	ds_store_b64 v3, v[4:5]
.LBB412_21:
	s_or_b32 exec_lo, exec_lo, s0
	s_delay_alu instid0(SALU_CYCLE_1)
	s_mov_b32 s0, exec_lo
	s_waitcnt lgkmcnt(0)
	s_barrier
	buffer_gl0_inv
	v_cmpx_gt_u16_e32 8, v12
	s_cbranch_execz .LBB412_23
; %bb.22:
	ds_load_2addr_b64 v[4:7], v3 offset1:8
	s_waitcnt lgkmcnt(0)
	v_dual_add_f32 v4, v6, v4 :: v_dual_add_f32 v5, v7, v5
	ds_store_b64 v3, v[4:5]
.LBB412_23:
	s_or_b32 exec_lo, exec_lo, s0
	s_delay_alu instid0(SALU_CYCLE_1)
	s_mov_b32 s0, exec_lo
	s_waitcnt lgkmcnt(0)
	s_barrier
	buffer_gl0_inv
	;; [unrolled: 14-line block ×3, first 2 shown]
	v_cmpx_gt_u16_e32 2, v12
	s_cbranch_execz .LBB412_27
; %bb.26:
	ds_load_2addr_b64 v[4:7], v3 offset1:2
	s_waitcnt lgkmcnt(0)
	v_dual_add_f32 v4, v6, v4 :: v_dual_add_f32 v5, v7, v5
	ds_store_b64 v3, v[4:5]
.LBB412_27:
	s_or_b32 exec_lo, exec_lo, s0
	s_mov_b32 s1, 0
	s_mov_b32 s0, 0
	s_mov_b32 s2, exec_lo
	s_waitcnt lgkmcnt(0)
	s_barrier
	buffer_gl0_inv
                                        ; implicit-def: $vgpr5
                                        ; implicit-def: $vgpr4
	v_cmpx_gt_u32_e32 29, v0
	s_xor_b32 s2, exec_lo, s2
; %bb.28:
	v_mul_u32_u24_e32 v5, 29, v0
	v_mad_u32_u24 v4, v0, 29, 1
	s_mov_b32 s0, exec_lo
	s_delay_alu instid0(VALU_DEP_2)
	v_lshlrev_b32_e32 v5, 3, v5
; %bb.29:
	s_or_b32 exec_lo, exec_lo, s2
	s_delay_alu instid0(SALU_CYCLE_1)
	s_and_b32 vcc_lo, exec_lo, s1
	s_cbranch_vccnz .LBB412_31
	s_branch .LBB412_42
.LBB412_30:
	s_mov_b32 s0, 0
                                        ; implicit-def: $vgpr5
                                        ; implicit-def: $vgpr4
	s_cbranch_execz .LBB412_42
.LBB412_31:
	s_mov_b32 s1, exec_lo
	v_cmpx_gt_u32_e32 0x179, v0
	s_cbranch_execz .LBB412_33
; %bb.32:
	ds_load_b64 v[4:5], v3 offset:3712
	ds_load_b64 v[6:7], v3
	s_waitcnt lgkmcnt(0)
	v_dual_add_f32 v4, v4, v6 :: v_dual_add_f32 v5, v5, v7
	ds_store_b64 v3, v[4:5]
.LBB412_33:
	s_or_b32 exec_lo, exec_lo, s1
	s_delay_alu instid0(SALU_CYCLE_1)
	s_mov_b32 s1, exec_lo
	s_waitcnt lgkmcnt(0)
	s_barrier
	buffer_gl0_inv
	v_cmpx_gt_u32_e32 0xe8, v0
	s_cbranch_execz .LBB412_35
; %bb.34:
	ds_load_2addr_b64 v[4:7], v3 offset1:232
	s_waitcnt lgkmcnt(0)
	v_dual_add_f32 v4, v6, v4 :: v_dual_add_f32 v5, v7, v5
	ds_store_b64 v3, v[4:5]
.LBB412_35:
	s_or_b32 exec_lo, exec_lo, s1
	s_delay_alu instid0(SALU_CYCLE_1)
	s_mov_b32 s1, exec_lo
	s_waitcnt lgkmcnt(0)
	s_barrier
	buffer_gl0_inv
	v_cmpx_gt_u32_e32 0x74, v0
	s_cbranch_execz .LBB412_37
; %bb.36:
	ds_load_2addr_b64 v[4:7], v3 offset1:116
	s_waitcnt lgkmcnt(0)
	v_dual_add_f32 v4, v6, v4 :: v_dual_add_f32 v5, v7, v5
	ds_store_b64 v3, v[4:5]
.LBB412_37:
	s_or_b32 exec_lo, exec_lo, s1
	s_delay_alu instid0(SALU_CYCLE_1)
	s_mov_b32 s1, exec_lo
	s_waitcnt lgkmcnt(0)
	s_barrier
	buffer_gl0_inv
	v_cmpx_gt_u32_e32 58, v0
	s_cbranch_execz .LBB412_39
; %bb.38:
	ds_load_2addr_b64 v[4:7], v3 offset1:58
	s_waitcnt lgkmcnt(0)
	v_dual_add_f32 v4, v6, v4 :: v_dual_add_f32 v5, v7, v5
	ds_store_b64 v3, v[4:5]
.LBB412_39:
	s_or_b32 exec_lo, exec_lo, s1
	s_delay_alu instid0(SALU_CYCLE_1)
	s_mov_b32 s1, exec_lo
	s_waitcnt lgkmcnt(0)
	buffer_gl0_inv
                                        ; implicit-def: $vgpr4
	v_cmpx_gt_u32_e32 29, v0
; %bb.40:
	v_add_nc_u32_e32 v4, 29, v0
                                        ; kill: def $vgpr1 killed $sgpr0 killed $exec
	s_or_b32 s0, s0, exec_lo
                                        ; implicit-def: $vgpr2
; %bb.41:
	s_or_b32 exec_lo, exec_lo, s1
	v_mov_b32_e32 v5, v3
.LBB412_42:
	s_and_saveexec_b32 s1, s0
	s_cbranch_execnz .LBB412_45
; %bb.43:
	s_or_b32 exec_lo, exec_lo, s1
	v_cmp_gt_u32_e32 vcc_lo, 29, v0
	s_and_b32 exec_lo, exec_lo, vcc_lo
	s_cbranch_execnz .LBB412_46
.LBB412_44:
	s_nop 0
	s_sendmsg sendmsg(MSG_DEALLOC_VGPRS)
	s_endpgm
.LBB412_45:
	v_lshlrev_b32_e32 v3, 3, v4
	ds_load_2addr_b32 v[1:2], v5 offset1:1
	ds_load_b64 v[3:4], v3
	s_waitcnt lgkmcnt(0)
	v_dual_add_f32 v2, v4, v2 :: v_dual_add_f32 v1, v3, v1
	s_or_b32 exec_lo, exec_lo, s1
	v_cmp_gt_u32_e32 vcc_lo, 29, v0
	s_and_b32 exec_lo, exec_lo, vcc_lo
	s_cbranch_execz .LBB412_44
.LBB412_46:
	v_mul_f32_e64 v3, v2, -v11
	v_mul_f32_e32 v4, v2, v10
	v_cmp_eq_f32_e32 vcc_lo, 0, v8
	v_cmp_eq_f32_e64 s0, 0, v9
	s_delay_alu instid0(VALU_DEP_4) | instskip(NEXT) | instid1(VALU_DEP_4)
	v_fmac_f32_e32 v3, v10, v1
	v_fmac_f32_e32 v4, v11, v1
	s_delay_alu instid0(VALU_DEP_3) | instskip(NEXT) | instid1(SALU_CYCLE_1)
	s_and_b32 s0, vcc_lo, s0
	s_and_saveexec_b32 s1, s0
	s_delay_alu instid0(SALU_CYCLE_1)
	s_xor_b32 s0, exec_lo, s1
	s_cbranch_execz .LBB412_48
; %bb.47:
	v_mad_u64_u32 v[1:2], null, s8, 29, v[0:1]
	v_mov_b32_e32 v2, 0
                                        ; implicit-def: $vgpr8
                                        ; implicit-def: $vgpr9
	s_delay_alu instid0(VALU_DEP_1) | instskip(NEXT) | instid1(VALU_DEP_1)
	v_lshlrev_b64 v[0:1], 3, v[1:2]
	v_add_co_u32 v0, vcc_lo, s10, v0
	s_delay_alu instid0(VALU_DEP_2)
	v_add_co_ci_u32_e32 v1, vcc_lo, s11, v1, vcc_lo
	global_store_b64 v[0:1], v[3:4], off
                                        ; implicit-def: $vgpr0
                                        ; implicit-def: $vgpr3
.LBB412_48:
	s_and_not1_saveexec_b32 s0, s0
	s_cbranch_execz .LBB412_44
; %bb.49:
	v_mad_u64_u32 v[1:2], null, s8, 29, v[0:1]
	v_mov_b32_e32 v2, 0
	s_delay_alu instid0(VALU_DEP_1) | instskip(NEXT) | instid1(VALU_DEP_1)
	v_lshlrev_b64 v[0:1], 3, v[1:2]
	v_add_co_u32 v0, vcc_lo, s10, v0
	s_delay_alu instid0(VALU_DEP_2) | instskip(SKIP_4) | instid1(VALU_DEP_2)
	v_add_co_ci_u32_e32 v1, vcc_lo, s11, v1, vcc_lo
	global_load_b64 v[5:6], v[0:1], off
	s_waitcnt vmcnt(0)
	v_fmac_f32_e32 v3, v8, v5
	v_fmac_f32_e32 v4, v9, v5
	v_fma_f32 v3, -v9, v6, v3
	s_delay_alu instid0(VALU_DEP_2)
	v_fmac_f32_e32 v4, v8, v6
	global_store_b64 v[0:1], v[3:4], off
	s_nop 0
	s_sendmsg sendmsg(MSG_DEALLOC_VGPRS)
	s_endpgm
	.section	.rodata,"a",@progbits
	.p2align	6, 0x0
	.amdhsa_kernel _ZN9rocsparseL20bsrxmvn_17_32_kernelILj29E21rocsparse_complex_numIfElifS2_S2_EEvT2_20rocsparse_direction_NS_24const_host_device_scalarIT0_EES3_PKS3_PKT1_SC_S9_PKT3_PKT4_S7_PT5_21rocsparse_index_base_b
		.amdhsa_group_segment_fixed_size 6728
		.amdhsa_private_segment_fixed_size 0
		.amdhsa_kernarg_size 96
		.amdhsa_user_sgpr_count 15
		.amdhsa_user_sgpr_dispatch_ptr 0
		.amdhsa_user_sgpr_queue_ptr 0
		.amdhsa_user_sgpr_kernarg_segment_ptr 1
		.amdhsa_user_sgpr_dispatch_id 0
		.amdhsa_user_sgpr_private_segment_size 0
		.amdhsa_wavefront_size32 1
		.amdhsa_uses_dynamic_stack 0
		.amdhsa_enable_private_segment 0
		.amdhsa_system_sgpr_workgroup_id_x 1
		.amdhsa_system_sgpr_workgroup_id_y 0
		.amdhsa_system_sgpr_workgroup_id_z 0
		.amdhsa_system_sgpr_workgroup_info 0
		.amdhsa_system_vgpr_workitem_id 0
		.amdhsa_next_free_vgpr 17
		.amdhsa_next_free_sgpr 20
		.amdhsa_reserve_vcc 1
		.amdhsa_float_round_mode_32 0
		.amdhsa_float_round_mode_16_64 0
		.amdhsa_float_denorm_mode_32 3
		.amdhsa_float_denorm_mode_16_64 3
		.amdhsa_dx10_clamp 1
		.amdhsa_ieee_mode 1
		.amdhsa_fp16_overflow 0
		.amdhsa_workgroup_processor_mode 1
		.amdhsa_memory_ordered 1
		.amdhsa_forward_progress 0
		.amdhsa_shared_vgpr_count 0
		.amdhsa_exception_fp_ieee_invalid_op 0
		.amdhsa_exception_fp_denorm_src 0
		.amdhsa_exception_fp_ieee_div_zero 0
		.amdhsa_exception_fp_ieee_overflow 0
		.amdhsa_exception_fp_ieee_underflow 0
		.amdhsa_exception_fp_ieee_inexact 0
		.amdhsa_exception_int_div_zero 0
	.end_amdhsa_kernel
	.section	.text._ZN9rocsparseL20bsrxmvn_17_32_kernelILj29E21rocsparse_complex_numIfElifS2_S2_EEvT2_20rocsparse_direction_NS_24const_host_device_scalarIT0_EES3_PKS3_PKT1_SC_S9_PKT3_PKT4_S7_PT5_21rocsparse_index_base_b,"axG",@progbits,_ZN9rocsparseL20bsrxmvn_17_32_kernelILj29E21rocsparse_complex_numIfElifS2_S2_EEvT2_20rocsparse_direction_NS_24const_host_device_scalarIT0_EES3_PKS3_PKT1_SC_S9_PKT3_PKT4_S7_PT5_21rocsparse_index_base_b,comdat
.Lfunc_end412:
	.size	_ZN9rocsparseL20bsrxmvn_17_32_kernelILj29E21rocsparse_complex_numIfElifS2_S2_EEvT2_20rocsparse_direction_NS_24const_host_device_scalarIT0_EES3_PKS3_PKT1_SC_S9_PKT3_PKT4_S7_PT5_21rocsparse_index_base_b, .Lfunc_end412-_ZN9rocsparseL20bsrxmvn_17_32_kernelILj29E21rocsparse_complex_numIfElifS2_S2_EEvT2_20rocsparse_direction_NS_24const_host_device_scalarIT0_EES3_PKS3_PKT1_SC_S9_PKT3_PKT4_S7_PT5_21rocsparse_index_base_b
                                        ; -- End function
	.section	.AMDGPU.csdata,"",@progbits
; Kernel info:
; codeLenInByte = 1924
; NumSgprs: 22
; NumVgprs: 17
; ScratchSize: 0
; MemoryBound: 0
; FloatMode: 240
; IeeeMode: 1
; LDSByteSize: 6728 bytes/workgroup (compile time only)
; SGPRBlocks: 2
; VGPRBlocks: 2
; NumSGPRsForWavesPerEU: 22
; NumVGPRsForWavesPerEU: 17
; Occupancy: 14
; WaveLimiterHint : 1
; COMPUTE_PGM_RSRC2:SCRATCH_EN: 0
; COMPUTE_PGM_RSRC2:USER_SGPR: 15
; COMPUTE_PGM_RSRC2:TRAP_HANDLER: 0
; COMPUTE_PGM_RSRC2:TGID_X_EN: 1
; COMPUTE_PGM_RSRC2:TGID_Y_EN: 0
; COMPUTE_PGM_RSRC2:TGID_Z_EN: 0
; COMPUTE_PGM_RSRC2:TIDIG_COMP_CNT: 0
	.section	.text._ZN9rocsparseL20bsrxmvn_17_32_kernelILj30E21rocsparse_complex_numIfElifS2_S2_EEvT2_20rocsparse_direction_NS_24const_host_device_scalarIT0_EES3_PKS3_PKT1_SC_S9_PKT3_PKT4_S7_PT5_21rocsparse_index_base_b,"axG",@progbits,_ZN9rocsparseL20bsrxmvn_17_32_kernelILj30E21rocsparse_complex_numIfElifS2_S2_EEvT2_20rocsparse_direction_NS_24const_host_device_scalarIT0_EES3_PKS3_PKT1_SC_S9_PKT3_PKT4_S7_PT5_21rocsparse_index_base_b,comdat
	.globl	_ZN9rocsparseL20bsrxmvn_17_32_kernelILj30E21rocsparse_complex_numIfElifS2_S2_EEvT2_20rocsparse_direction_NS_24const_host_device_scalarIT0_EES3_PKS3_PKT1_SC_S9_PKT3_PKT4_S7_PT5_21rocsparse_index_base_b ; -- Begin function _ZN9rocsparseL20bsrxmvn_17_32_kernelILj30E21rocsparse_complex_numIfElifS2_S2_EEvT2_20rocsparse_direction_NS_24const_host_device_scalarIT0_EES3_PKS3_PKT1_SC_S9_PKT3_PKT4_S7_PT5_21rocsparse_index_base_b
	.p2align	8
	.type	_ZN9rocsparseL20bsrxmvn_17_32_kernelILj30E21rocsparse_complex_numIfElifS2_S2_EEvT2_20rocsparse_direction_NS_24const_host_device_scalarIT0_EES3_PKS3_PKT1_SC_S9_PKT3_PKT4_S7_PT5_21rocsparse_index_base_b,@function
_ZN9rocsparseL20bsrxmvn_17_32_kernelILj30E21rocsparse_complex_numIfElifS2_S2_EEvT2_20rocsparse_direction_NS_24const_host_device_scalarIT0_EES3_PKS3_PKT1_SC_S9_PKT3_PKT4_S7_PT5_21rocsparse_index_base_b: ; @_ZN9rocsparseL20bsrxmvn_17_32_kernelILj30E21rocsparse_complex_numIfElifS2_S2_EEvT2_20rocsparse_direction_NS_24const_host_device_scalarIT0_EES3_PKS3_PKT1_SC_S9_PKT3_PKT4_S7_PT5_21rocsparse_index_base_b
; %bb.0:
	s_clause 0x2
	s_load_b64 s[12:13], s[0:1], 0x58
	s_load_b64 s[4:5], s[0:1], 0x8
	;; [unrolled: 1-line block ×3, first 2 shown]
	s_mov_b32 s8, s15
	s_waitcnt lgkmcnt(0)
	s_bitcmp1_b32 s13, 0
	v_mov_b32_e32 v10, s4
	s_cselect_b32 s6, -1, 0
	s_delay_alu instid0(SALU_CYCLE_1)
	s_and_b32 vcc_lo, exec_lo, s6
	s_xor_b32 s6, s6, -1
	s_cbranch_vccz .LBB413_15
; %bb.1:
	v_cndmask_b32_e64 v1, 0, 1, s6
	v_mov_b32_e32 v11, s5
	s_and_not1_b32 vcc_lo, exec_lo, s6
	s_cbranch_vccz .LBB413_16
.LBB413_2:
	s_delay_alu instid0(VALU_DEP_2)
	v_cmp_ne_u32_e32 vcc_lo, 1, v1
	v_mov_b32_e32 v8, s2
	s_cbranch_vccz .LBB413_17
.LBB413_3:
	v_cmp_ne_u32_e32 vcc_lo, 1, v1
	v_mov_b32_e32 v9, s3
	s_cbranch_vccnz .LBB413_5
.LBB413_4:
	v_dual_mov_b32 v1, s2 :: v_dual_mov_b32 v2, s3
	flat_load_b32 v9, v[1:2] offset:4
.LBB413_5:
	s_waitcnt vmcnt(0) lgkmcnt(0)
	v_cmp_eq_f32_e32 vcc_lo, 0, v10
	v_cmp_eq_f32_e64 s2, 0, v11
	s_delay_alu instid0(VALU_DEP_1)
	s_and_b32 s4, vcc_lo, s2
	s_mov_b32 s2, -1
	s_and_saveexec_b32 s3, s4
; %bb.6:
	v_cmp_neq_f32_e32 vcc_lo, 1.0, v8
	v_cmp_neq_f32_e64 s2, 0, v9
	s_delay_alu instid0(VALU_DEP_1) | instskip(NEXT) | instid1(SALU_CYCLE_1)
	s_or_b32 s2, vcc_lo, s2
	s_or_not1_b32 s2, s2, exec_lo
; %bb.7:
	s_or_b32 exec_lo, exec_lo, s3
	s_and_saveexec_b32 s3, s2
	s_cbranch_execz .LBB413_44
; %bb.8:
	s_clause 0x1
	s_load_b128 s[4:7], s[0:1], 0x18
	s_load_b64 s[10:11], s[0:1], 0x28
	s_waitcnt lgkmcnt(0)
	s_cmp_eq_u64 s[4:5], 0
	s_cbranch_scc1 .LBB413_10
; %bb.9:
	s_ashr_i32 s9, s8, 31
	s_delay_alu instid0(SALU_CYCLE_1) | instskip(NEXT) | instid1(SALU_CYCLE_1)
	s_lshl_b64 s[2:3], s[8:9], 2
	s_add_u32 s2, s4, s2
	s_addc_u32 s3, s5, s3
	s_load_b32 s2, s[2:3], 0x0
	s_waitcnt lgkmcnt(0)
	s_sub_i32 s8, s2, s12
.LBB413_10:
	s_load_b32 s3, s[0:1], 0x4
	v_mul_u32_u24_e32 v1, 0x889, v0
	v_mov_b32_e32 v2, 0
	s_delay_alu instid0(VALU_DEP_2) | instskip(NEXT) | instid1(VALU_DEP_1)
	v_lshrrev_b32_e32 v3, 16, v1
	v_mul_lo_u16 v1, v3, 30
	s_delay_alu instid0(VALU_DEP_1)
	v_sub_nc_u16 v12, v0, v1
	v_mov_b32_e32 v1, 0
	s_waitcnt lgkmcnt(0)
	s_cmp_eq_u32 s3, 1
	s_cselect_b32 s2, -1, 0
	s_cmp_lg_u32 s3, 1
	s_cselect_b32 s3, -1, 0
	s_ashr_i32 s9, s8, 31
	s_delay_alu instid0(SALU_CYCLE_1) | instskip(NEXT) | instid1(SALU_CYCLE_1)
	s_lshl_b64 s[4:5], s[8:9], 3
	s_add_u32 s6, s6, s4
	s_addc_u32 s7, s7, s5
	s_add_u32 s9, s6, 8
	s_addc_u32 s13, s7, 0
	;; [unrolled: 2-line block ×3, first 2 shown]
	s_cmp_eq_u64 s[10:11], 0
	s_load_b64 s[10:11], s[0:1], 0x50
	s_cselect_b32 s5, s13, s5
	s_cselect_b32 s4, s9, s4
	s_load_b64 s[18:19], s[6:7], 0x0
	s_load_b64 s[14:15], s[4:5], 0x0
	s_waitcnt lgkmcnt(0)
	v_cmp_ge_i64_e64 s4, s[18:19], s[14:15]
	s_delay_alu instid0(VALU_DEP_1)
	s_and_b32 vcc_lo, exec_lo, s4
	s_cbranch_vccnz .LBB413_18
; %bb.11:
	v_and_b32_e32 v1, 0xffff, v3
	v_cmp_lt_u32_e32 vcc_lo, 0x383, v0
	s_clause 0x1
	s_load_b128 s[4:7], s[0:1], 0x30
	s_load_b64 s[0:1], s[0:1], 0x40
	s_sub_u32 s14, s14, s12
	s_subb_u32 s15, s15, 0
	v_subrev_nc_u32_e32 v3, 30, v1
	v_cndmask_b32_e64 v13, 0, 1, vcc_lo
	v_cmp_gt_u32_e32 vcc_lo, 0x384, v0
	v_and_b32_e32 v2, 0xffff, v12
	s_sub_u32 s16, s18, s12
	s_subb_u32 s17, s19, 0
	s_mul_hi_u32 s9, s16, 0xe10
	v_cndmask_b32_e32 v1, v3, v1, vcc_lo
	s_mul_i32 s13, s17, 0xe10
	s_delay_alu instid0(SALU_CYCLE_1) | instskip(NEXT) | instid1(VALU_DEP_1)
	s_add_i32 s9, s9, s13
	v_cndmask_b32_e64 v3, v2, v1, s2
	v_add_co_u32 v1, s2, s18, v13
	s_delay_alu instid0(VALU_DEP_1) | instskip(SKIP_1) | instid1(VALU_DEP_2)
	v_add_co_ci_u32_e64 v2, null, s19, 0, s2
	s_mul_i32 s2, s16, 0xe10
	v_sub_co_u32 v1, vcc_lo, v1, s12
	s_delay_alu instid0(VALU_DEP_2) | instskip(SKIP_3) | instid1(VALU_DEP_1)
	v_subrev_co_ci_u32_e32 v2, vcc_lo, 0, v2, vcc_lo
	s_waitcnt lgkmcnt(0)
	s_add_u32 s2, s6, s2
	s_addc_u32 s6, s7, s9
	v_lshlrev_b64 v[6:7], 2, v[1:2]
	v_mov_b32_e32 v2, 0
	s_delay_alu instid0(VALU_DEP_1) | instskip(NEXT) | instid1(VALU_DEP_1)
	v_dual_mov_b32 v1, v2 :: v_dual_lshlrev_b32 v4, 2, v0
	v_add_co_u32 v4, s2, s2, v4
	s_delay_alu instid0(VALU_DEP_4)
	v_add_co_u32 v6, vcc_lo, s4, v6
	v_add_co_ci_u32_e64 v5, null, s6, 0, s2
	v_add_co_ci_u32_e32 v7, vcc_lo, s5, v7, vcc_lo
	s_set_inst_prefetch_distance 0x1
	s_branch .LBB413_13
	.p2align	6
.LBB413_12:                             ;   in Loop: Header=BB413_13 Depth=1
	s_or_b32 exec_lo, exec_lo, s2
	s_add_u32 s16, s16, 1
	s_addc_u32 s17, s17, 0
	v_add_co_u32 v6, vcc_lo, v6, 4
	v_cmp_lt_i64_e64 s2, s[16:17], s[14:15]
	v_add_co_ci_u32_e32 v7, vcc_lo, 0, v7, vcc_lo
	s_delay_alu instid0(VALU_DEP_2)
	s_and_b32 vcc_lo, exec_lo, s2
	s_cbranch_vccz .LBB413_18
.LBB413_13:                             ; =>This Inner Loop Header: Depth=1
	v_add_co_u32 v14, s2, v13, s16
	s_delay_alu instid0(VALU_DEP_1) | instskip(SKIP_1) | instid1(VALU_DEP_1)
	v_add_co_ci_u32_e64 v15, null, 0, s17, s2
	s_mov_b32 s2, exec_lo
	v_cmpx_gt_i64_e64 s[14:15], v[14:15]
	s_cbranch_execz .LBB413_12
; %bb.14:                               ;   in Loop: Header=BB413_13 Depth=1
	global_load_b32 v14, v[6:7], off
	s_waitcnt vmcnt(0)
	v_subrev_nc_u32_e32 v16, s12, v14
	s_delay_alu instid0(VALU_DEP_1) | instskip(NEXT) | instid1(VALU_DEP_1)
	v_mad_u64_u32 v[14:15], null, v16, 30, v[3:4]
	v_ashrrev_i32_e32 v15, 31, v14
	s_delay_alu instid0(VALU_DEP_1) | instskip(NEXT) | instid1(VALU_DEP_1)
	v_lshlrev_b64 v[14:15], 3, v[14:15]
	v_add_co_u32 v14, vcc_lo, s0, v14
	s_delay_alu instid0(VALU_DEP_2)
	v_add_co_ci_u32_e32 v15, vcc_lo, s1, v15, vcc_lo
	global_load_b32 v16, v[4:5], off
	global_load_b64 v[14:15], v[14:15], off
	v_add_co_u32 v4, vcc_lo, 0xe10, v4
	v_add_co_ci_u32_e32 v5, vcc_lo, 0, v5, vcc_lo
	s_waitcnt vmcnt(0)
	v_fmac_f32_e32 v1, v16, v14
	s_delay_alu instid0(VALU_DEP_1) | instskip(NEXT) | instid1(VALU_DEP_1)
	v_dual_fmac_f32 v2, 0, v14 :: v_dual_fmac_f32 v1, 0x80000000, v15
	v_fmac_f32_e32 v2, v16, v15
	s_branch .LBB413_12
.LBB413_15:
	v_dual_mov_b32 v1, s4 :: v_dual_mov_b32 v2, s5
	flat_load_b32 v10, v[1:2]
	v_cndmask_b32_e64 v1, 0, 1, s6
	v_mov_b32_e32 v11, s5
	s_and_not1_b32 vcc_lo, exec_lo, s6
	s_cbranch_vccnz .LBB413_2
.LBB413_16:
	v_dual_mov_b32 v2, s4 :: v_dual_mov_b32 v3, s5
	flat_load_b32 v11, v[2:3] offset:4
	v_cmp_ne_u32_e32 vcc_lo, 1, v1
	v_mov_b32_e32 v8, s2
	s_cbranch_vccnz .LBB413_3
.LBB413_17:
	v_dual_mov_b32 v2, s2 :: v_dual_mov_b32 v3, s3
	flat_load_b32 v8, v[2:3]
	v_cmp_ne_u32_e32 vcc_lo, 1, v1
	v_mov_b32_e32 v9, s3
	s_cbranch_vccz .LBB413_4
	s_branch .LBB413_5
.LBB413_18:
	s_set_inst_prefetch_distance 0x2
	v_lshlrev_b32_e32 v3, 3, v0
	s_and_b32 vcc_lo, exec_lo, s3
	ds_store_b64 v3, v[1:2]
	s_waitcnt lgkmcnt(0)
	s_barrier
	buffer_gl0_inv
	s_cbranch_vccz .LBB413_30
; %bb.19:
	s_mov_b32 s0, exec_lo
	v_cmpx_gt_u16_e32 14, v12
	s_cbranch_execz .LBB413_21
; %bb.20:
	ds_load_2addr_b64 v[4:7], v3 offset1:16
	s_waitcnt lgkmcnt(0)
	v_dual_add_f32 v4, v6, v4 :: v_dual_add_f32 v5, v7, v5
	ds_store_b64 v3, v[4:5]
.LBB413_21:
	s_or_b32 exec_lo, exec_lo, s0
	s_delay_alu instid0(SALU_CYCLE_1)
	s_mov_b32 s0, exec_lo
	s_waitcnt lgkmcnt(0)
	s_barrier
	buffer_gl0_inv
	v_cmpx_gt_u16_e32 8, v12
	s_cbranch_execz .LBB413_23
; %bb.22:
	ds_load_2addr_b64 v[4:7], v3 offset1:8
	s_waitcnt lgkmcnt(0)
	v_dual_add_f32 v4, v6, v4 :: v_dual_add_f32 v5, v7, v5
	ds_store_b64 v3, v[4:5]
.LBB413_23:
	s_or_b32 exec_lo, exec_lo, s0
	s_delay_alu instid0(SALU_CYCLE_1)
	s_mov_b32 s0, exec_lo
	s_waitcnt lgkmcnt(0)
	s_barrier
	buffer_gl0_inv
	;; [unrolled: 14-line block ×3, first 2 shown]
	v_cmpx_gt_u16_e32 2, v12
	s_cbranch_execz .LBB413_27
; %bb.26:
	ds_load_2addr_b64 v[4:7], v3 offset1:2
	s_waitcnt lgkmcnt(0)
	v_dual_add_f32 v4, v6, v4 :: v_dual_add_f32 v5, v7, v5
	ds_store_b64 v3, v[4:5]
.LBB413_27:
	s_or_b32 exec_lo, exec_lo, s0
	s_mov_b32 s1, 0
	s_mov_b32 s0, 0
	s_mov_b32 s2, exec_lo
	s_waitcnt lgkmcnt(0)
	s_barrier
	buffer_gl0_inv
                                        ; implicit-def: $vgpr5
                                        ; implicit-def: $vgpr4
	v_cmpx_gt_u32_e32 30, v0
	s_xor_b32 s2, exec_lo, s2
; %bb.28:
	v_mul_u32_u24_e32 v4, 30, v0
	s_mov_b32 s0, exec_lo
	s_delay_alu instid0(VALU_DEP_1)
	v_lshlrev_b32_e32 v5, 3, v4
	v_or_b32_e32 v4, 1, v4
; %bb.29:
	s_or_b32 exec_lo, exec_lo, s2
	s_delay_alu instid0(SALU_CYCLE_1)
	s_and_b32 vcc_lo, exec_lo, s1
	s_cbranch_vccnz .LBB413_31
	s_branch .LBB413_42
.LBB413_30:
	s_mov_b32 s0, 0
                                        ; implicit-def: $vgpr5
                                        ; implicit-def: $vgpr4
	s_cbranch_execz .LBB413_42
.LBB413_31:
	s_mov_b32 s1, exec_lo
	v_cmpx_gt_u32_e32 0x1a4, v0
	s_cbranch_execz .LBB413_33
; %bb.32:
	ds_load_b64 v[4:5], v3 offset:3840
	ds_load_b64 v[6:7], v3
	s_waitcnt lgkmcnt(0)
	v_dual_add_f32 v4, v4, v6 :: v_dual_add_f32 v5, v5, v7
	ds_store_b64 v3, v[4:5]
.LBB413_33:
	s_or_b32 exec_lo, exec_lo, s1
	s_delay_alu instid0(SALU_CYCLE_1)
	s_mov_b32 s1, exec_lo
	s_waitcnt lgkmcnt(0)
	s_barrier
	buffer_gl0_inv
	v_cmpx_gt_u32_e32 0xf0, v0
	s_cbranch_execz .LBB413_35
; %bb.34:
	ds_load_2addr_b64 v[4:7], v3 offset1:240
	s_waitcnt lgkmcnt(0)
	v_dual_add_f32 v4, v6, v4 :: v_dual_add_f32 v5, v7, v5
	ds_store_b64 v3, v[4:5]
.LBB413_35:
	s_or_b32 exec_lo, exec_lo, s1
	s_delay_alu instid0(SALU_CYCLE_1)
	s_mov_b32 s1, exec_lo
	s_waitcnt lgkmcnt(0)
	s_barrier
	buffer_gl0_inv
	v_cmpx_gt_u32_e32 0x78, v0
	s_cbranch_execz .LBB413_37
; %bb.36:
	ds_load_2addr_b64 v[4:7], v3 offset1:120
	s_waitcnt lgkmcnt(0)
	v_dual_add_f32 v4, v6, v4 :: v_dual_add_f32 v5, v7, v5
	ds_store_b64 v3, v[4:5]
.LBB413_37:
	;; [unrolled: 14-line block ×3, first 2 shown]
	s_or_b32 exec_lo, exec_lo, s1
	s_delay_alu instid0(SALU_CYCLE_1)
	s_mov_b32 s1, exec_lo
	s_waitcnt lgkmcnt(0)
	buffer_gl0_inv
                                        ; implicit-def: $vgpr4
	v_cmpx_gt_u32_e32 30, v0
; %bb.40:
	v_add_nc_u32_e32 v4, 30, v0
                                        ; kill: def $vgpr1 killed $sgpr0 killed $exec
	s_or_b32 s0, s0, exec_lo
                                        ; implicit-def: $vgpr2
; %bb.41:
	s_or_b32 exec_lo, exec_lo, s1
	v_mov_b32_e32 v5, v3
.LBB413_42:
	s_and_saveexec_b32 s1, s0
	s_cbranch_execnz .LBB413_45
; %bb.43:
	s_or_b32 exec_lo, exec_lo, s1
	v_cmp_gt_u32_e32 vcc_lo, 30, v0
	s_and_b32 exec_lo, exec_lo, vcc_lo
	s_cbranch_execnz .LBB413_46
.LBB413_44:
	s_nop 0
	s_sendmsg sendmsg(MSG_DEALLOC_VGPRS)
	s_endpgm
.LBB413_45:
	v_lshlrev_b32_e32 v3, 3, v4
	ds_load_2addr_b32 v[1:2], v5 offset1:1
	ds_load_b64 v[3:4], v3
	s_waitcnt lgkmcnt(0)
	v_dual_add_f32 v2, v4, v2 :: v_dual_add_f32 v1, v3, v1
	s_or_b32 exec_lo, exec_lo, s1
	v_cmp_gt_u32_e32 vcc_lo, 30, v0
	s_and_b32 exec_lo, exec_lo, vcc_lo
	s_cbranch_execz .LBB413_44
.LBB413_46:
	v_mul_f32_e64 v3, v2, -v11
	v_mul_f32_e32 v4, v2, v10
	v_cmp_eq_f32_e32 vcc_lo, 0, v8
	v_cmp_eq_f32_e64 s0, 0, v9
	s_delay_alu instid0(VALU_DEP_4) | instskip(NEXT) | instid1(VALU_DEP_4)
	v_fmac_f32_e32 v3, v10, v1
	v_fmac_f32_e32 v4, v11, v1
	s_delay_alu instid0(VALU_DEP_3) | instskip(NEXT) | instid1(SALU_CYCLE_1)
	s_and_b32 s0, vcc_lo, s0
	s_and_saveexec_b32 s1, s0
	s_delay_alu instid0(SALU_CYCLE_1)
	s_xor_b32 s0, exec_lo, s1
	s_cbranch_execz .LBB413_48
; %bb.47:
	v_mad_u64_u32 v[1:2], null, s8, 30, v[0:1]
	v_mov_b32_e32 v2, 0
                                        ; implicit-def: $vgpr8
                                        ; implicit-def: $vgpr9
	s_delay_alu instid0(VALU_DEP_1) | instskip(NEXT) | instid1(VALU_DEP_1)
	v_lshlrev_b64 v[0:1], 3, v[1:2]
	v_add_co_u32 v0, vcc_lo, s10, v0
	s_delay_alu instid0(VALU_DEP_2)
	v_add_co_ci_u32_e32 v1, vcc_lo, s11, v1, vcc_lo
	global_store_b64 v[0:1], v[3:4], off
                                        ; implicit-def: $vgpr0
                                        ; implicit-def: $vgpr3
.LBB413_48:
	s_and_not1_saveexec_b32 s0, s0
	s_cbranch_execz .LBB413_44
; %bb.49:
	v_mad_u64_u32 v[1:2], null, s8, 30, v[0:1]
	v_mov_b32_e32 v2, 0
	s_delay_alu instid0(VALU_DEP_1) | instskip(NEXT) | instid1(VALU_DEP_1)
	v_lshlrev_b64 v[0:1], 3, v[1:2]
	v_add_co_u32 v0, vcc_lo, s10, v0
	s_delay_alu instid0(VALU_DEP_2) | instskip(SKIP_4) | instid1(VALU_DEP_2)
	v_add_co_ci_u32_e32 v1, vcc_lo, s11, v1, vcc_lo
	global_load_b64 v[5:6], v[0:1], off
	s_waitcnt vmcnt(0)
	v_fmac_f32_e32 v3, v8, v5
	v_fmac_f32_e32 v4, v9, v5
	v_fma_f32 v3, -v9, v6, v3
	s_delay_alu instid0(VALU_DEP_2)
	v_fmac_f32_e32 v4, v8, v6
	global_store_b64 v[0:1], v[3:4], off
	s_nop 0
	s_sendmsg sendmsg(MSG_DEALLOC_VGPRS)
	s_endpgm
	.section	.rodata,"a",@progbits
	.p2align	6, 0x0
	.amdhsa_kernel _ZN9rocsparseL20bsrxmvn_17_32_kernelILj30E21rocsparse_complex_numIfElifS2_S2_EEvT2_20rocsparse_direction_NS_24const_host_device_scalarIT0_EES3_PKS3_PKT1_SC_S9_PKT3_PKT4_S7_PT5_21rocsparse_index_base_b
		.amdhsa_group_segment_fixed_size 7200
		.amdhsa_private_segment_fixed_size 0
		.amdhsa_kernarg_size 96
		.amdhsa_user_sgpr_count 15
		.amdhsa_user_sgpr_dispatch_ptr 0
		.amdhsa_user_sgpr_queue_ptr 0
		.amdhsa_user_sgpr_kernarg_segment_ptr 1
		.amdhsa_user_sgpr_dispatch_id 0
		.amdhsa_user_sgpr_private_segment_size 0
		.amdhsa_wavefront_size32 1
		.amdhsa_uses_dynamic_stack 0
		.amdhsa_enable_private_segment 0
		.amdhsa_system_sgpr_workgroup_id_x 1
		.amdhsa_system_sgpr_workgroup_id_y 0
		.amdhsa_system_sgpr_workgroup_id_z 0
		.amdhsa_system_sgpr_workgroup_info 0
		.amdhsa_system_vgpr_workitem_id 0
		.amdhsa_next_free_vgpr 17
		.amdhsa_next_free_sgpr 20
		.amdhsa_reserve_vcc 1
		.amdhsa_float_round_mode_32 0
		.amdhsa_float_round_mode_16_64 0
		.amdhsa_float_denorm_mode_32 3
		.amdhsa_float_denorm_mode_16_64 3
		.amdhsa_dx10_clamp 1
		.amdhsa_ieee_mode 1
		.amdhsa_fp16_overflow 0
		.amdhsa_workgroup_processor_mode 1
		.amdhsa_memory_ordered 1
		.amdhsa_forward_progress 0
		.amdhsa_shared_vgpr_count 0
		.amdhsa_exception_fp_ieee_invalid_op 0
		.amdhsa_exception_fp_denorm_src 0
		.amdhsa_exception_fp_ieee_div_zero 0
		.amdhsa_exception_fp_ieee_overflow 0
		.amdhsa_exception_fp_ieee_underflow 0
		.amdhsa_exception_fp_ieee_inexact 0
		.amdhsa_exception_int_div_zero 0
	.end_amdhsa_kernel
	.section	.text._ZN9rocsparseL20bsrxmvn_17_32_kernelILj30E21rocsparse_complex_numIfElifS2_S2_EEvT2_20rocsparse_direction_NS_24const_host_device_scalarIT0_EES3_PKS3_PKT1_SC_S9_PKT3_PKT4_S7_PT5_21rocsparse_index_base_b,"axG",@progbits,_ZN9rocsparseL20bsrxmvn_17_32_kernelILj30E21rocsparse_complex_numIfElifS2_S2_EEvT2_20rocsparse_direction_NS_24const_host_device_scalarIT0_EES3_PKS3_PKT1_SC_S9_PKT3_PKT4_S7_PT5_21rocsparse_index_base_b,comdat
.Lfunc_end413:
	.size	_ZN9rocsparseL20bsrxmvn_17_32_kernelILj30E21rocsparse_complex_numIfElifS2_S2_EEvT2_20rocsparse_direction_NS_24const_host_device_scalarIT0_EES3_PKS3_PKT1_SC_S9_PKT3_PKT4_S7_PT5_21rocsparse_index_base_b, .Lfunc_end413-_ZN9rocsparseL20bsrxmvn_17_32_kernelILj30E21rocsparse_complex_numIfElifS2_S2_EEvT2_20rocsparse_direction_NS_24const_host_device_scalarIT0_EES3_PKS3_PKT1_SC_S9_PKT3_PKT4_S7_PT5_21rocsparse_index_base_b
                                        ; -- End function
	.section	.AMDGPU.csdata,"",@progbits
; Kernel info:
; codeLenInByte = 1920
; NumSgprs: 22
; NumVgprs: 17
; ScratchSize: 0
; MemoryBound: 0
; FloatMode: 240
; IeeeMode: 1
; LDSByteSize: 7200 bytes/workgroup (compile time only)
; SGPRBlocks: 2
; VGPRBlocks: 2
; NumSGPRsForWavesPerEU: 22
; NumVGPRsForWavesPerEU: 17
; Occupancy: 15
; WaveLimiterHint : 1
; COMPUTE_PGM_RSRC2:SCRATCH_EN: 0
; COMPUTE_PGM_RSRC2:USER_SGPR: 15
; COMPUTE_PGM_RSRC2:TRAP_HANDLER: 0
; COMPUTE_PGM_RSRC2:TGID_X_EN: 1
; COMPUTE_PGM_RSRC2:TGID_Y_EN: 0
; COMPUTE_PGM_RSRC2:TGID_Z_EN: 0
; COMPUTE_PGM_RSRC2:TIDIG_COMP_CNT: 0
	.section	.text._ZN9rocsparseL20bsrxmvn_17_32_kernelILj31E21rocsparse_complex_numIfElifS2_S2_EEvT2_20rocsparse_direction_NS_24const_host_device_scalarIT0_EES3_PKS3_PKT1_SC_S9_PKT3_PKT4_S7_PT5_21rocsparse_index_base_b,"axG",@progbits,_ZN9rocsparseL20bsrxmvn_17_32_kernelILj31E21rocsparse_complex_numIfElifS2_S2_EEvT2_20rocsparse_direction_NS_24const_host_device_scalarIT0_EES3_PKS3_PKT1_SC_S9_PKT3_PKT4_S7_PT5_21rocsparse_index_base_b,comdat
	.globl	_ZN9rocsparseL20bsrxmvn_17_32_kernelILj31E21rocsparse_complex_numIfElifS2_S2_EEvT2_20rocsparse_direction_NS_24const_host_device_scalarIT0_EES3_PKS3_PKT1_SC_S9_PKT3_PKT4_S7_PT5_21rocsparse_index_base_b ; -- Begin function _ZN9rocsparseL20bsrxmvn_17_32_kernelILj31E21rocsparse_complex_numIfElifS2_S2_EEvT2_20rocsparse_direction_NS_24const_host_device_scalarIT0_EES3_PKS3_PKT1_SC_S9_PKT3_PKT4_S7_PT5_21rocsparse_index_base_b
	.p2align	8
	.type	_ZN9rocsparseL20bsrxmvn_17_32_kernelILj31E21rocsparse_complex_numIfElifS2_S2_EEvT2_20rocsparse_direction_NS_24const_host_device_scalarIT0_EES3_PKS3_PKT1_SC_S9_PKT3_PKT4_S7_PT5_21rocsparse_index_base_b,@function
_ZN9rocsparseL20bsrxmvn_17_32_kernelILj31E21rocsparse_complex_numIfElifS2_S2_EEvT2_20rocsparse_direction_NS_24const_host_device_scalarIT0_EES3_PKS3_PKT1_SC_S9_PKT3_PKT4_S7_PT5_21rocsparse_index_base_b: ; @_ZN9rocsparseL20bsrxmvn_17_32_kernelILj31E21rocsparse_complex_numIfElifS2_S2_EEvT2_20rocsparse_direction_NS_24const_host_device_scalarIT0_EES3_PKS3_PKT1_SC_S9_PKT3_PKT4_S7_PT5_21rocsparse_index_base_b
; %bb.0:
	s_clause 0x2
	s_load_b64 s[12:13], s[0:1], 0x58
	s_load_b64 s[4:5], s[0:1], 0x8
	;; [unrolled: 1-line block ×3, first 2 shown]
	s_mov_b32 s8, s15
	s_waitcnt lgkmcnt(0)
	s_bitcmp1_b32 s13, 0
	v_mov_b32_e32 v10, s4
	s_cselect_b32 s6, -1, 0
	s_delay_alu instid0(SALU_CYCLE_1)
	s_and_b32 vcc_lo, exec_lo, s6
	s_xor_b32 s6, s6, -1
	s_cbranch_vccz .LBB414_15
; %bb.1:
	v_cndmask_b32_e64 v1, 0, 1, s6
	v_mov_b32_e32 v11, s5
	s_and_not1_b32 vcc_lo, exec_lo, s6
	s_cbranch_vccz .LBB414_16
.LBB414_2:
	s_delay_alu instid0(VALU_DEP_2)
	v_cmp_ne_u32_e32 vcc_lo, 1, v1
	v_mov_b32_e32 v8, s2
	s_cbranch_vccz .LBB414_17
.LBB414_3:
	v_cmp_ne_u32_e32 vcc_lo, 1, v1
	v_mov_b32_e32 v9, s3
	s_cbranch_vccnz .LBB414_5
.LBB414_4:
	v_dual_mov_b32 v1, s2 :: v_dual_mov_b32 v2, s3
	flat_load_b32 v9, v[1:2] offset:4
.LBB414_5:
	s_waitcnt vmcnt(0) lgkmcnt(0)
	v_cmp_eq_f32_e32 vcc_lo, 0, v10
	v_cmp_eq_f32_e64 s2, 0, v11
	s_delay_alu instid0(VALU_DEP_1)
	s_and_b32 s4, vcc_lo, s2
	s_mov_b32 s2, -1
	s_and_saveexec_b32 s3, s4
; %bb.6:
	v_cmp_neq_f32_e32 vcc_lo, 1.0, v8
	v_cmp_neq_f32_e64 s2, 0, v9
	s_delay_alu instid0(VALU_DEP_1) | instskip(NEXT) | instid1(SALU_CYCLE_1)
	s_or_b32 s2, vcc_lo, s2
	s_or_not1_b32 s2, s2, exec_lo
; %bb.7:
	s_or_b32 exec_lo, exec_lo, s3
	s_and_saveexec_b32 s3, s2
	s_cbranch_execz .LBB414_44
; %bb.8:
	s_clause 0x1
	s_load_b128 s[4:7], s[0:1], 0x18
	s_load_b64 s[10:11], s[0:1], 0x28
	s_waitcnt lgkmcnt(0)
	s_cmp_eq_u64 s[4:5], 0
	s_cbranch_scc1 .LBB414_10
; %bb.9:
	s_ashr_i32 s9, s8, 31
	s_delay_alu instid0(SALU_CYCLE_1) | instskip(NEXT) | instid1(SALU_CYCLE_1)
	s_lshl_b64 s[2:3], s[8:9], 2
	s_add_u32 s2, s4, s2
	s_addc_u32 s3, s5, s3
	s_load_b32 s2, s[2:3], 0x0
	s_waitcnt lgkmcnt(0)
	s_sub_i32 s8, s2, s12
.LBB414_10:
	s_load_b32 s3, s[0:1], 0x4
	v_mul_u32_u24_e32 v1, 0x843, v0
	v_mov_b32_e32 v2, 0
	s_delay_alu instid0(VALU_DEP_2) | instskip(NEXT) | instid1(VALU_DEP_1)
	v_lshrrev_b32_e32 v3, 16, v1
	v_mul_lo_u16 v1, v3, 31
	s_delay_alu instid0(VALU_DEP_1)
	v_sub_nc_u16 v12, v0, v1
	v_mov_b32_e32 v1, 0
	s_waitcnt lgkmcnt(0)
	s_cmp_eq_u32 s3, 1
	s_cselect_b32 s2, -1, 0
	s_cmp_lg_u32 s3, 1
	s_cselect_b32 s3, -1, 0
	s_ashr_i32 s9, s8, 31
	s_delay_alu instid0(SALU_CYCLE_1) | instskip(NEXT) | instid1(SALU_CYCLE_1)
	s_lshl_b64 s[4:5], s[8:9], 3
	s_add_u32 s6, s6, s4
	s_addc_u32 s7, s7, s5
	s_add_u32 s9, s6, 8
	s_addc_u32 s13, s7, 0
	;; [unrolled: 2-line block ×3, first 2 shown]
	s_cmp_eq_u64 s[10:11], 0
	s_load_b64 s[10:11], s[0:1], 0x50
	s_cselect_b32 s5, s13, s5
	s_cselect_b32 s4, s9, s4
	s_load_b64 s[18:19], s[6:7], 0x0
	s_load_b64 s[14:15], s[4:5], 0x0
	s_waitcnt lgkmcnt(0)
	v_cmp_ge_i64_e64 s4, s[18:19], s[14:15]
	s_delay_alu instid0(VALU_DEP_1)
	s_and_b32 vcc_lo, exec_lo, s4
	s_cbranch_vccnz .LBB414_18
; %bb.11:
	v_and_b32_e32 v1, 0xffff, v3
	v_cmp_lt_u32_e32 vcc_lo, 0x3c0, v0
	s_clause 0x1
	s_load_b128 s[4:7], s[0:1], 0x30
	s_load_b64 s[0:1], s[0:1], 0x40
	s_sub_u32 s14, s14, s12
	s_subb_u32 s15, s15, 0
	v_subrev_nc_u32_e32 v3, 31, v1
	v_cndmask_b32_e64 v13, 0, 1, vcc_lo
	v_cmp_gt_u32_e32 vcc_lo, 0x3c1, v0
	v_and_b32_e32 v2, 0xffff, v12
	s_sub_u32 s16, s18, s12
	s_subb_u32 s17, s19, 0
	s_mul_hi_u32 s9, s16, 0xf04
	v_cndmask_b32_e32 v1, v3, v1, vcc_lo
	s_mul_i32 s13, s17, 0xf04
	s_delay_alu instid0(SALU_CYCLE_1) | instskip(NEXT) | instid1(VALU_DEP_1)
	s_add_i32 s9, s9, s13
	v_cndmask_b32_e64 v3, v2, v1, s2
	v_add_co_u32 v1, s2, s18, v13
	s_delay_alu instid0(VALU_DEP_1) | instskip(SKIP_1) | instid1(VALU_DEP_2)
	v_add_co_ci_u32_e64 v2, null, s19, 0, s2
	s_mul_i32 s2, s16, 0xf04
	v_sub_co_u32 v1, vcc_lo, v1, s12
	s_delay_alu instid0(VALU_DEP_2) | instskip(SKIP_3) | instid1(VALU_DEP_1)
	v_subrev_co_ci_u32_e32 v2, vcc_lo, 0, v2, vcc_lo
	s_waitcnt lgkmcnt(0)
	s_add_u32 s2, s6, s2
	s_addc_u32 s6, s7, s9
	v_lshlrev_b64 v[6:7], 2, v[1:2]
	v_mov_b32_e32 v2, 0
	s_delay_alu instid0(VALU_DEP_1) | instskip(NEXT) | instid1(VALU_DEP_1)
	v_dual_mov_b32 v1, v2 :: v_dual_lshlrev_b32 v4, 2, v0
	v_add_co_u32 v4, s2, s2, v4
	s_delay_alu instid0(VALU_DEP_4)
	v_add_co_u32 v6, vcc_lo, s4, v6
	v_add_co_ci_u32_e64 v5, null, s6, 0, s2
	v_add_co_ci_u32_e32 v7, vcc_lo, s5, v7, vcc_lo
	s_set_inst_prefetch_distance 0x1
	s_branch .LBB414_13
	.p2align	6
.LBB414_12:                             ;   in Loop: Header=BB414_13 Depth=1
	s_or_b32 exec_lo, exec_lo, s2
	s_add_u32 s16, s16, 1
	s_addc_u32 s17, s17, 0
	v_add_co_u32 v6, vcc_lo, v6, 4
	v_cmp_lt_i64_e64 s2, s[16:17], s[14:15]
	v_add_co_ci_u32_e32 v7, vcc_lo, 0, v7, vcc_lo
	s_delay_alu instid0(VALU_DEP_2)
	s_and_b32 vcc_lo, exec_lo, s2
	s_cbranch_vccz .LBB414_18
.LBB414_13:                             ; =>This Inner Loop Header: Depth=1
	v_add_co_u32 v14, s2, v13, s16
	s_delay_alu instid0(VALU_DEP_1) | instskip(SKIP_1) | instid1(VALU_DEP_1)
	v_add_co_ci_u32_e64 v15, null, 0, s17, s2
	s_mov_b32 s2, exec_lo
	v_cmpx_gt_i64_e64 s[14:15], v[14:15]
	s_cbranch_execz .LBB414_12
; %bb.14:                               ;   in Loop: Header=BB414_13 Depth=1
	global_load_b32 v14, v[6:7], off
	s_waitcnt vmcnt(0)
	v_subrev_nc_u32_e32 v16, s12, v14
	s_delay_alu instid0(VALU_DEP_1) | instskip(NEXT) | instid1(VALU_DEP_1)
	v_mad_u64_u32 v[14:15], null, v16, 31, v[3:4]
	v_ashrrev_i32_e32 v15, 31, v14
	s_delay_alu instid0(VALU_DEP_1) | instskip(NEXT) | instid1(VALU_DEP_1)
	v_lshlrev_b64 v[14:15], 3, v[14:15]
	v_add_co_u32 v14, vcc_lo, s0, v14
	s_delay_alu instid0(VALU_DEP_2)
	v_add_co_ci_u32_e32 v15, vcc_lo, s1, v15, vcc_lo
	global_load_b32 v16, v[4:5], off
	global_load_b64 v[14:15], v[14:15], off
	v_add_co_u32 v4, vcc_lo, 0xf04, v4
	v_add_co_ci_u32_e32 v5, vcc_lo, 0, v5, vcc_lo
	s_waitcnt vmcnt(0)
	v_fmac_f32_e32 v1, v16, v14
	s_delay_alu instid0(VALU_DEP_1) | instskip(NEXT) | instid1(VALU_DEP_1)
	v_dual_fmac_f32 v2, 0, v14 :: v_dual_fmac_f32 v1, 0x80000000, v15
	v_fmac_f32_e32 v2, v16, v15
	s_branch .LBB414_12
.LBB414_15:
	v_dual_mov_b32 v1, s4 :: v_dual_mov_b32 v2, s5
	flat_load_b32 v10, v[1:2]
	v_cndmask_b32_e64 v1, 0, 1, s6
	v_mov_b32_e32 v11, s5
	s_and_not1_b32 vcc_lo, exec_lo, s6
	s_cbranch_vccnz .LBB414_2
.LBB414_16:
	v_dual_mov_b32 v2, s4 :: v_dual_mov_b32 v3, s5
	flat_load_b32 v11, v[2:3] offset:4
	v_cmp_ne_u32_e32 vcc_lo, 1, v1
	v_mov_b32_e32 v8, s2
	s_cbranch_vccnz .LBB414_3
.LBB414_17:
	v_dual_mov_b32 v2, s2 :: v_dual_mov_b32 v3, s3
	flat_load_b32 v8, v[2:3]
	v_cmp_ne_u32_e32 vcc_lo, 1, v1
	v_mov_b32_e32 v9, s3
	s_cbranch_vccz .LBB414_4
	s_branch .LBB414_5
.LBB414_18:
	s_set_inst_prefetch_distance 0x2
	v_lshlrev_b32_e32 v3, 3, v0
	s_and_b32 vcc_lo, exec_lo, s3
	ds_store_b64 v3, v[1:2]
	s_waitcnt lgkmcnt(0)
	s_barrier
	buffer_gl0_inv
	s_cbranch_vccz .LBB414_30
; %bb.19:
	s_mov_b32 s0, exec_lo
	v_cmpx_gt_u16_e32 15, v12
	s_cbranch_execz .LBB414_21
; %bb.20:
	ds_load_2addr_b64 v[4:7], v3 offset1:16
	s_waitcnt lgkmcnt(0)
	v_dual_add_f32 v4, v6, v4 :: v_dual_add_f32 v5, v7, v5
	ds_store_b64 v3, v[4:5]
.LBB414_21:
	s_or_b32 exec_lo, exec_lo, s0
	s_delay_alu instid0(SALU_CYCLE_1)
	s_mov_b32 s0, exec_lo
	s_waitcnt lgkmcnt(0)
	s_barrier
	buffer_gl0_inv
	v_cmpx_gt_u16_e32 8, v12
	s_cbranch_execz .LBB414_23
; %bb.22:
	ds_load_2addr_b64 v[4:7], v3 offset1:8
	s_waitcnt lgkmcnt(0)
	v_dual_add_f32 v4, v6, v4 :: v_dual_add_f32 v5, v7, v5
	ds_store_b64 v3, v[4:5]
.LBB414_23:
	s_or_b32 exec_lo, exec_lo, s0
	s_delay_alu instid0(SALU_CYCLE_1)
	s_mov_b32 s0, exec_lo
	s_waitcnt lgkmcnt(0)
	s_barrier
	buffer_gl0_inv
	;; [unrolled: 14-line block ×3, first 2 shown]
	v_cmpx_gt_u16_e32 2, v12
	s_cbranch_execz .LBB414_27
; %bb.26:
	ds_load_2addr_b64 v[4:7], v3 offset1:2
	s_waitcnt lgkmcnt(0)
	v_dual_add_f32 v4, v6, v4 :: v_dual_add_f32 v5, v7, v5
	ds_store_b64 v3, v[4:5]
.LBB414_27:
	s_or_b32 exec_lo, exec_lo, s0
	s_mov_b32 s1, 0
	s_mov_b32 s0, 0
	s_mov_b32 s2, exec_lo
	s_waitcnt lgkmcnt(0)
	s_barrier
	buffer_gl0_inv
                                        ; implicit-def: $vgpr5
                                        ; implicit-def: $vgpr4
	v_cmpx_gt_u32_e32 31, v0
	s_xor_b32 s2, exec_lo, s2
; %bb.28:
	v_mul_u32_u24_e32 v5, 31, v0
	v_mad_u32_u24 v4, v0, 31, 1
	s_mov_b32 s0, exec_lo
	s_delay_alu instid0(VALU_DEP_2)
	v_lshlrev_b32_e32 v5, 3, v5
; %bb.29:
	s_or_b32 exec_lo, exec_lo, s2
	s_delay_alu instid0(SALU_CYCLE_1)
	s_and_b32 vcc_lo, exec_lo, s1
	s_cbranch_vccnz .LBB414_31
	s_branch .LBB414_42
.LBB414_30:
	s_mov_b32 s0, 0
                                        ; implicit-def: $vgpr5
                                        ; implicit-def: $vgpr4
	s_cbranch_execz .LBB414_42
.LBB414_31:
	s_mov_b32 s1, exec_lo
	v_cmpx_gt_u32_e32 0x1d1, v0
	s_cbranch_execz .LBB414_33
; %bb.32:
	ds_load_b64 v[4:5], v3 offset:3968
	ds_load_b64 v[6:7], v3
	s_waitcnt lgkmcnt(0)
	v_dual_add_f32 v4, v4, v6 :: v_dual_add_f32 v5, v5, v7
	ds_store_b64 v3, v[4:5]
.LBB414_33:
	s_or_b32 exec_lo, exec_lo, s1
	s_delay_alu instid0(SALU_CYCLE_1)
	s_mov_b32 s1, exec_lo
	s_waitcnt lgkmcnt(0)
	s_barrier
	buffer_gl0_inv
	v_cmpx_gt_u32_e32 0xf8, v0
	s_cbranch_execz .LBB414_35
; %bb.34:
	ds_load_2addr_b64 v[4:7], v3 offset1:248
	s_waitcnt lgkmcnt(0)
	v_dual_add_f32 v4, v6, v4 :: v_dual_add_f32 v5, v7, v5
	ds_store_b64 v3, v[4:5]
.LBB414_35:
	s_or_b32 exec_lo, exec_lo, s1
	s_delay_alu instid0(SALU_CYCLE_1)
	s_mov_b32 s1, exec_lo
	s_waitcnt lgkmcnt(0)
	s_barrier
	buffer_gl0_inv
	v_cmpx_gt_u32_e32 0x7c, v0
	s_cbranch_execz .LBB414_37
; %bb.36:
	ds_load_2addr_b64 v[4:7], v3 offset1:124
	s_waitcnt lgkmcnt(0)
	v_dual_add_f32 v4, v6, v4 :: v_dual_add_f32 v5, v7, v5
	ds_store_b64 v3, v[4:5]
.LBB414_37:
	;; [unrolled: 14-line block ×3, first 2 shown]
	s_or_b32 exec_lo, exec_lo, s1
	s_delay_alu instid0(SALU_CYCLE_1)
	s_mov_b32 s1, exec_lo
	s_waitcnt lgkmcnt(0)
	buffer_gl0_inv
                                        ; implicit-def: $vgpr4
	v_cmpx_gt_u32_e32 31, v0
; %bb.40:
	v_add_nc_u32_e32 v4, 31, v0
                                        ; kill: def $vgpr1 killed $sgpr0 killed $exec
	s_or_b32 s0, s0, exec_lo
                                        ; implicit-def: $vgpr2
; %bb.41:
	s_or_b32 exec_lo, exec_lo, s1
	v_mov_b32_e32 v5, v3
.LBB414_42:
	s_and_saveexec_b32 s1, s0
	s_cbranch_execnz .LBB414_45
; %bb.43:
	s_or_b32 exec_lo, exec_lo, s1
	v_cmp_gt_u32_e32 vcc_lo, 31, v0
	s_and_b32 exec_lo, exec_lo, vcc_lo
	s_cbranch_execnz .LBB414_46
.LBB414_44:
	s_nop 0
	s_sendmsg sendmsg(MSG_DEALLOC_VGPRS)
	s_endpgm
.LBB414_45:
	v_lshlrev_b32_e32 v3, 3, v4
	ds_load_2addr_b32 v[1:2], v5 offset1:1
	ds_load_b64 v[3:4], v3
	s_waitcnt lgkmcnt(0)
	v_dual_add_f32 v2, v4, v2 :: v_dual_add_f32 v1, v3, v1
	s_or_b32 exec_lo, exec_lo, s1
	v_cmp_gt_u32_e32 vcc_lo, 31, v0
	s_and_b32 exec_lo, exec_lo, vcc_lo
	s_cbranch_execz .LBB414_44
.LBB414_46:
	v_mul_f32_e64 v3, v2, -v11
	v_mul_f32_e32 v4, v2, v10
	v_cmp_eq_f32_e32 vcc_lo, 0, v8
	v_cmp_eq_f32_e64 s0, 0, v9
	s_delay_alu instid0(VALU_DEP_4) | instskip(NEXT) | instid1(VALU_DEP_4)
	v_fmac_f32_e32 v3, v10, v1
	v_fmac_f32_e32 v4, v11, v1
	s_delay_alu instid0(VALU_DEP_3) | instskip(NEXT) | instid1(SALU_CYCLE_1)
	s_and_b32 s0, vcc_lo, s0
	s_and_saveexec_b32 s1, s0
	s_delay_alu instid0(SALU_CYCLE_1)
	s_xor_b32 s0, exec_lo, s1
	s_cbranch_execz .LBB414_48
; %bb.47:
	v_mad_u64_u32 v[1:2], null, s8, 31, v[0:1]
	v_mov_b32_e32 v2, 0
                                        ; implicit-def: $vgpr8
                                        ; implicit-def: $vgpr9
	s_delay_alu instid0(VALU_DEP_1) | instskip(NEXT) | instid1(VALU_DEP_1)
	v_lshlrev_b64 v[0:1], 3, v[1:2]
	v_add_co_u32 v0, vcc_lo, s10, v0
	s_delay_alu instid0(VALU_DEP_2)
	v_add_co_ci_u32_e32 v1, vcc_lo, s11, v1, vcc_lo
	global_store_b64 v[0:1], v[3:4], off
                                        ; implicit-def: $vgpr0
                                        ; implicit-def: $vgpr3
.LBB414_48:
	s_and_not1_saveexec_b32 s0, s0
	s_cbranch_execz .LBB414_44
; %bb.49:
	v_mad_u64_u32 v[1:2], null, s8, 31, v[0:1]
	v_mov_b32_e32 v2, 0
	s_delay_alu instid0(VALU_DEP_1) | instskip(NEXT) | instid1(VALU_DEP_1)
	v_lshlrev_b64 v[0:1], 3, v[1:2]
	v_add_co_u32 v0, vcc_lo, s10, v0
	s_delay_alu instid0(VALU_DEP_2) | instskip(SKIP_4) | instid1(VALU_DEP_2)
	v_add_co_ci_u32_e32 v1, vcc_lo, s11, v1, vcc_lo
	global_load_b64 v[5:6], v[0:1], off
	s_waitcnt vmcnt(0)
	v_fmac_f32_e32 v3, v8, v5
	v_fmac_f32_e32 v4, v9, v5
	v_fma_f32 v3, -v9, v6, v3
	s_delay_alu instid0(VALU_DEP_2)
	v_fmac_f32_e32 v4, v8, v6
	global_store_b64 v[0:1], v[3:4], off
	s_nop 0
	s_sendmsg sendmsg(MSG_DEALLOC_VGPRS)
	s_endpgm
	.section	.rodata,"a",@progbits
	.p2align	6, 0x0
	.amdhsa_kernel _ZN9rocsparseL20bsrxmvn_17_32_kernelILj31E21rocsparse_complex_numIfElifS2_S2_EEvT2_20rocsparse_direction_NS_24const_host_device_scalarIT0_EES3_PKS3_PKT1_SC_S9_PKT3_PKT4_S7_PT5_21rocsparse_index_base_b
		.amdhsa_group_segment_fixed_size 7688
		.amdhsa_private_segment_fixed_size 0
		.amdhsa_kernarg_size 96
		.amdhsa_user_sgpr_count 15
		.amdhsa_user_sgpr_dispatch_ptr 0
		.amdhsa_user_sgpr_queue_ptr 0
		.amdhsa_user_sgpr_kernarg_segment_ptr 1
		.amdhsa_user_sgpr_dispatch_id 0
		.amdhsa_user_sgpr_private_segment_size 0
		.amdhsa_wavefront_size32 1
		.amdhsa_uses_dynamic_stack 0
		.amdhsa_enable_private_segment 0
		.amdhsa_system_sgpr_workgroup_id_x 1
		.amdhsa_system_sgpr_workgroup_id_y 0
		.amdhsa_system_sgpr_workgroup_id_z 0
		.amdhsa_system_sgpr_workgroup_info 0
		.amdhsa_system_vgpr_workitem_id 0
		.amdhsa_next_free_vgpr 17
		.amdhsa_next_free_sgpr 20
		.amdhsa_reserve_vcc 1
		.amdhsa_float_round_mode_32 0
		.amdhsa_float_round_mode_16_64 0
		.amdhsa_float_denorm_mode_32 3
		.amdhsa_float_denorm_mode_16_64 3
		.amdhsa_dx10_clamp 1
		.amdhsa_ieee_mode 1
		.amdhsa_fp16_overflow 0
		.amdhsa_workgroup_processor_mode 1
		.amdhsa_memory_ordered 1
		.amdhsa_forward_progress 0
		.amdhsa_shared_vgpr_count 0
		.amdhsa_exception_fp_ieee_invalid_op 0
		.amdhsa_exception_fp_denorm_src 0
		.amdhsa_exception_fp_ieee_div_zero 0
		.amdhsa_exception_fp_ieee_overflow 0
		.amdhsa_exception_fp_ieee_underflow 0
		.amdhsa_exception_fp_ieee_inexact 0
		.amdhsa_exception_int_div_zero 0
	.end_amdhsa_kernel
	.section	.text._ZN9rocsparseL20bsrxmvn_17_32_kernelILj31E21rocsparse_complex_numIfElifS2_S2_EEvT2_20rocsparse_direction_NS_24const_host_device_scalarIT0_EES3_PKS3_PKT1_SC_S9_PKT3_PKT4_S7_PT5_21rocsparse_index_base_b,"axG",@progbits,_ZN9rocsparseL20bsrxmvn_17_32_kernelILj31E21rocsparse_complex_numIfElifS2_S2_EEvT2_20rocsparse_direction_NS_24const_host_device_scalarIT0_EES3_PKS3_PKT1_SC_S9_PKT3_PKT4_S7_PT5_21rocsparse_index_base_b,comdat
.Lfunc_end414:
	.size	_ZN9rocsparseL20bsrxmvn_17_32_kernelILj31E21rocsparse_complex_numIfElifS2_S2_EEvT2_20rocsparse_direction_NS_24const_host_device_scalarIT0_EES3_PKS3_PKT1_SC_S9_PKT3_PKT4_S7_PT5_21rocsparse_index_base_b, .Lfunc_end414-_ZN9rocsparseL20bsrxmvn_17_32_kernelILj31E21rocsparse_complex_numIfElifS2_S2_EEvT2_20rocsparse_direction_NS_24const_host_device_scalarIT0_EES3_PKS3_PKT1_SC_S9_PKT3_PKT4_S7_PT5_21rocsparse_index_base_b
                                        ; -- End function
	.section	.AMDGPU.csdata,"",@progbits
; Kernel info:
; codeLenInByte = 1924
; NumSgprs: 22
; NumVgprs: 17
; ScratchSize: 0
; MemoryBound: 0
; FloatMode: 240
; IeeeMode: 1
; LDSByteSize: 7688 bytes/workgroup (compile time only)
; SGPRBlocks: 2
; VGPRBlocks: 2
; NumSGPRsForWavesPerEU: 22
; NumVGPRsForWavesPerEU: 17
; Occupancy: 16
; WaveLimiterHint : 1
; COMPUTE_PGM_RSRC2:SCRATCH_EN: 0
; COMPUTE_PGM_RSRC2:USER_SGPR: 15
; COMPUTE_PGM_RSRC2:TRAP_HANDLER: 0
; COMPUTE_PGM_RSRC2:TGID_X_EN: 1
; COMPUTE_PGM_RSRC2:TGID_Y_EN: 0
; COMPUTE_PGM_RSRC2:TGID_Z_EN: 0
; COMPUTE_PGM_RSRC2:TIDIG_COMP_CNT: 0
	.section	.text._ZN9rocsparseL20bsrxmvn_17_32_kernelILj32E21rocsparse_complex_numIfElifS2_S2_EEvT2_20rocsparse_direction_NS_24const_host_device_scalarIT0_EES3_PKS3_PKT1_SC_S9_PKT3_PKT4_S7_PT5_21rocsparse_index_base_b,"axG",@progbits,_ZN9rocsparseL20bsrxmvn_17_32_kernelILj32E21rocsparse_complex_numIfElifS2_S2_EEvT2_20rocsparse_direction_NS_24const_host_device_scalarIT0_EES3_PKS3_PKT1_SC_S9_PKT3_PKT4_S7_PT5_21rocsparse_index_base_b,comdat
	.globl	_ZN9rocsparseL20bsrxmvn_17_32_kernelILj32E21rocsparse_complex_numIfElifS2_S2_EEvT2_20rocsparse_direction_NS_24const_host_device_scalarIT0_EES3_PKS3_PKT1_SC_S9_PKT3_PKT4_S7_PT5_21rocsparse_index_base_b ; -- Begin function _ZN9rocsparseL20bsrxmvn_17_32_kernelILj32E21rocsparse_complex_numIfElifS2_S2_EEvT2_20rocsparse_direction_NS_24const_host_device_scalarIT0_EES3_PKS3_PKT1_SC_S9_PKT3_PKT4_S7_PT5_21rocsparse_index_base_b
	.p2align	8
	.type	_ZN9rocsparseL20bsrxmvn_17_32_kernelILj32E21rocsparse_complex_numIfElifS2_S2_EEvT2_20rocsparse_direction_NS_24const_host_device_scalarIT0_EES3_PKS3_PKT1_SC_S9_PKT3_PKT4_S7_PT5_21rocsparse_index_base_b,@function
_ZN9rocsparseL20bsrxmvn_17_32_kernelILj32E21rocsparse_complex_numIfElifS2_S2_EEvT2_20rocsparse_direction_NS_24const_host_device_scalarIT0_EES3_PKS3_PKT1_SC_S9_PKT3_PKT4_S7_PT5_21rocsparse_index_base_b: ; @_ZN9rocsparseL20bsrxmvn_17_32_kernelILj32E21rocsparse_complex_numIfElifS2_S2_EEvT2_20rocsparse_direction_NS_24const_host_device_scalarIT0_EES3_PKS3_PKT1_SC_S9_PKT3_PKT4_S7_PT5_21rocsparse_index_base_b
; %bb.0:
	s_clause 0x2
	s_load_b64 s[12:13], s[0:1], 0x58
	s_load_b64 s[4:5], s[0:1], 0x8
	;; [unrolled: 1-line block ×3, first 2 shown]
	s_mov_b32 s8, s15
	s_waitcnt lgkmcnt(0)
	s_bitcmp1_b32 s13, 0
	v_mov_b32_e32 v7, s4
	s_cselect_b32 s6, -1, 0
	s_delay_alu instid0(SALU_CYCLE_1)
	s_and_b32 vcc_lo, exec_lo, s6
	s_xor_b32 s6, s6, -1
	s_cbranch_vccz .LBB415_25
; %bb.1:
	v_cndmask_b32_e64 v1, 0, 1, s6
	v_mov_b32_e32 v8, s5
	s_and_not1_b32 vcc_lo, exec_lo, s6
	s_cbranch_vccz .LBB415_26
.LBB415_2:
	s_delay_alu instid0(VALU_DEP_2)
	v_cmp_ne_u32_e32 vcc_lo, 1, v1
	v_mov_b32_e32 v5, s2
	s_cbranch_vccz .LBB415_27
.LBB415_3:
	v_cmp_ne_u32_e32 vcc_lo, 1, v1
	v_mov_b32_e32 v6, s3
	s_cbranch_vccnz .LBB415_5
.LBB415_4:
	v_dual_mov_b32 v1, s2 :: v_dual_mov_b32 v2, s3
	flat_load_b32 v6, v[1:2] offset:4
.LBB415_5:
	s_waitcnt vmcnt(0) lgkmcnt(0)
	v_cmp_eq_f32_e32 vcc_lo, 0, v7
	v_cmp_eq_f32_e64 s2, 0, v8
	s_delay_alu instid0(VALU_DEP_1)
	s_and_b32 s4, vcc_lo, s2
	s_mov_b32 s2, -1
	s_and_saveexec_b32 s3, s4
; %bb.6:
	v_cmp_neq_f32_e32 vcc_lo, 1.0, v5
	v_cmp_neq_f32_e64 s2, 0, v6
	s_delay_alu instid0(VALU_DEP_1) | instskip(NEXT) | instid1(SALU_CYCLE_1)
	s_or_b32 s2, vcc_lo, s2
	s_or_not1_b32 s2, s2, exec_lo
; %bb.7:
	s_or_b32 exec_lo, exec_lo, s3
	s_and_saveexec_b32 s3, s2
	s_cbranch_execz .LBB415_42
; %bb.8:
	s_clause 0x1
	s_load_b128 s[4:7], s[0:1], 0x18
	s_load_b64 s[10:11], s[0:1], 0x28
	s_waitcnt lgkmcnt(0)
	s_cmp_eq_u64 s[4:5], 0
	s_cbranch_scc1 .LBB415_10
; %bb.9:
	s_ashr_i32 s9, s8, 31
	s_delay_alu instid0(SALU_CYCLE_1) | instskip(NEXT) | instid1(SALU_CYCLE_1)
	s_lshl_b64 s[2:3], s[8:9], 2
	s_add_u32 s2, s4, s2
	s_addc_u32 s3, s5, s3
	s_load_b32 s2, s[2:3], 0x0
	s_waitcnt lgkmcnt(0)
	s_sub_i32 s8, s2, s12
.LBB415_10:
	s_load_b32 s3, s[0:1], 0x4
	v_dual_mov_b32 v2, 0 :: v_dual_and_b32 v9, 31, v0
	v_mov_b32_e32 v1, 0
	s_mov_b32 s13, 0
	s_waitcnt lgkmcnt(0)
	s_cmp_eq_u32 s3, 1
	s_cselect_b32 s2, -1, 0
	s_cmp_lg_u32 s3, 1
	s_cselect_b32 s20, -1, 0
	s_ashr_i32 s9, s8, 31
	s_delay_alu instid0(SALU_CYCLE_1) | instskip(NEXT) | instid1(SALU_CYCLE_1)
	s_lshl_b64 s[4:5], s[8:9], 3
	s_add_u32 s6, s6, s4
	s_addc_u32 s7, s7, s5
	s_add_u32 s3, s6, 8
	s_addc_u32 s9, s7, 0
	;; [unrolled: 2-line block ×3, first 2 shown]
	s_cmp_eq_u64 s[10:11], 0
	s_cselect_b32 s5, s9, s5
	s_cselect_b32 s4, s3, s4
	s_load_b64 s[18:19], s[6:7], 0x0
	s_load_b64 s[14:15], s[4:5], 0x0
	;; [unrolled: 1-line block ×3, first 2 shown]
	s_waitcnt lgkmcnt(0)
	v_cmp_ge_i64_e64 s3, s[18:19], s[14:15]
	s_delay_alu instid0(VALU_DEP_1)
	s_and_b32 vcc_lo, exec_lo, s3
	s_cbranch_vccnz .LBB415_13
; %bb.11:
	s_clause 0x1
	s_load_b128 s[4:7], s[0:1], 0x30
	s_load_b64 s[0:1], s[0:1], 0x40
	s_sub_u32 s14, s14, s12
	s_subb_u32 s15, s15, 0
	s_sub_u32 s16, s18, s12
	s_subb_u32 s17, s19, 0
	v_lshrrev_b32_e32 v1, 5, v0
	s_lshl_b64 s[22:23], s[16:17], 12
	v_mov_b32_e32 v2, 0
	v_lshl_or_b32 v3, v0, 2, s22
	s_lshl_b64 s[18:19], s[18:19], 2
	v_cndmask_b32_e64 v10, v9, v1, s2
	v_mov_b32_e32 v1, s23
	s_lshl_b64 s[24:25], s[12:13], 2
	s_delay_alu instid0(SALU_CYCLE_1)
	s_sub_u32 s2, s18, s24
	s_subb_u32 s3, s19, s25
	s_waitcnt lgkmcnt(0)
	v_add_co_u32 v3, vcc_lo, s6, v3
	v_add_co_ci_u32_e32 v4, vcc_lo, s7, v1, vcc_lo
	v_mov_b32_e32 v1, v2
	s_add_u32 s2, s4, s2
	s_addc_u32 s3, s5, s3
	.p2align	6
.LBB415_12:                             ; =>This Inner Loop Header: Depth=1
	s_load_b32 s4, s[2:3], 0x0
	s_waitcnt lgkmcnt(0)
	s_sub_i32 s4, s4, s12
	s_add_u32 s16, s16, 1
	v_lshl_or_b32 v11, s4, 5, v10
	s_addc_u32 s17, s17, 0
	s_add_u32 s2, s2, 4
	v_cmp_lt_i64_e64 s4, s[16:17], s[14:15]
	s_addc_u32 s3, s3, 0
	v_ashrrev_i32_e32 v12, 31, v11
	s_delay_alu instid0(VALU_DEP_1) | instskip(NEXT) | instid1(VALU_DEP_1)
	v_lshlrev_b64 v[11:12], 3, v[11:12]
	v_add_co_u32 v11, vcc_lo, s0, v11
	s_delay_alu instid0(VALU_DEP_2)
	v_add_co_ci_u32_e32 v12, vcc_lo, s1, v12, vcc_lo
	global_load_b32 v13, v[3:4], off
	global_load_b64 v[11:12], v[11:12], off
	v_add_co_u32 v3, vcc_lo, 0x1000, v3
	v_add_co_ci_u32_e32 v4, vcc_lo, 0, v4, vcc_lo
	s_and_b32 vcc_lo, exec_lo, s4
	s_waitcnt vmcnt(0)
	v_fmac_f32_e32 v1, v13, v11
	s_delay_alu instid0(VALU_DEP_1) | instskip(NEXT) | instid1(VALU_DEP_1)
	v_dual_fmac_f32 v2, 0, v11 :: v_dual_fmac_f32 v1, 0x80000000, v12
	v_fmac_f32_e32 v2, v13, v12
	s_cbranch_vccnz .LBB415_12
.LBB415_13:
	v_lshlrev_b32_e32 v3, 3, v0
	s_and_b32 vcc_lo, exec_lo, s20
	ds_store_b64 v3, v[1:2]
	s_waitcnt lgkmcnt(0)
	s_barrier
	buffer_gl0_inv
	s_cbranch_vccz .LBB415_28
; %bb.14:
	s_mov_b32 s0, exec_lo
	v_cmpx_gt_u32_e32 16, v9
	s_cbranch_execz .LBB415_16
; %bb.15:
	ds_load_2addr_b64 v[10:13], v3 offset1:16
	s_waitcnt lgkmcnt(0)
	v_dual_add_f32 v10, v12, v10 :: v_dual_add_f32 v11, v13, v11
	ds_store_b64 v3, v[10:11]
.LBB415_16:
	s_or_b32 exec_lo, exec_lo, s0
	s_delay_alu instid0(SALU_CYCLE_1)
	s_mov_b32 s0, exec_lo
	s_waitcnt lgkmcnt(0)
	s_barrier
	buffer_gl0_inv
	v_cmpx_gt_u32_e32 8, v9
	s_cbranch_execz .LBB415_18
; %bb.17:
	ds_load_2addr_b64 v[10:13], v3 offset1:8
	s_waitcnt lgkmcnt(0)
	v_dual_add_f32 v10, v12, v10 :: v_dual_add_f32 v11, v13, v11
	ds_store_b64 v3, v[10:11]
.LBB415_18:
	s_or_b32 exec_lo, exec_lo, s0
	s_delay_alu instid0(SALU_CYCLE_1)
	s_mov_b32 s0, exec_lo
	s_waitcnt lgkmcnt(0)
	s_barrier
	buffer_gl0_inv
	;; [unrolled: 14-line block ×3, first 2 shown]
	v_cmpx_gt_u32_e32 2, v9
	s_cbranch_execz .LBB415_22
; %bb.21:
	ds_load_2addr_b64 v[9:12], v3 offset1:2
	s_waitcnt lgkmcnt(0)
	v_dual_add_f32 v9, v11, v9 :: v_dual_add_f32 v10, v12, v10
	ds_store_b64 v3, v[9:10]
.LBB415_22:
	s_or_b32 exec_lo, exec_lo, s0
	s_mov_b32 s1, 0
	s_mov_b32 s0, 0
	s_mov_b32 s2, exec_lo
	s_waitcnt lgkmcnt(0)
	s_barrier
	buffer_gl0_inv
                                        ; implicit-def: $vgpr9
                                        ; implicit-def: $vgpr4
	v_cmpx_gt_u32_e32 32, v0
	s_xor_b32 s2, exec_lo, s2
; %bb.23:
	v_mad_u32_u24 v9, 0xf8, v0, v3
	v_lshl_or_b32 v4, v0, 5, 1
	s_mov_b32 s0, exec_lo
; %bb.24:
	s_or_b32 exec_lo, exec_lo, s2
	s_delay_alu instid0(SALU_CYCLE_1)
	s_and_b32 vcc_lo, exec_lo, s1
	s_cbranch_vccnz .LBB415_29
	s_branch .LBB415_40
.LBB415_25:
	v_dual_mov_b32 v1, s4 :: v_dual_mov_b32 v2, s5
	flat_load_b32 v7, v[1:2]
	v_cndmask_b32_e64 v1, 0, 1, s6
	v_mov_b32_e32 v8, s5
	s_and_not1_b32 vcc_lo, exec_lo, s6
	s_cbranch_vccnz .LBB415_2
.LBB415_26:
	v_dual_mov_b32 v2, s4 :: v_dual_mov_b32 v3, s5
	flat_load_b32 v8, v[2:3] offset:4
	v_cmp_ne_u32_e32 vcc_lo, 1, v1
	v_mov_b32_e32 v5, s2
	s_cbranch_vccnz .LBB415_3
.LBB415_27:
	v_dual_mov_b32 v2, s2 :: v_dual_mov_b32 v3, s3
	flat_load_b32 v5, v[2:3]
	v_cmp_ne_u32_e32 vcc_lo, 1, v1
	v_mov_b32_e32 v6, s3
	s_cbranch_vccz .LBB415_4
	s_branch .LBB415_5
.LBB415_28:
	s_mov_b32 s0, 0
                                        ; implicit-def: $vgpr9
                                        ; implicit-def: $vgpr4
	s_cbranch_execz .LBB415_40
.LBB415_29:
	s_mov_b32 s1, exec_lo
	v_cmpx_gt_u32_e32 0x200, v0
	s_cbranch_execz .LBB415_31
; %bb.30:
	ds_load_2addr_stride64_b64 v[9:12], v3 offset1:8
	s_waitcnt lgkmcnt(0)
	v_dual_add_f32 v9, v11, v9 :: v_dual_add_f32 v10, v12, v10
	ds_store_b64 v3, v[9:10]
.LBB415_31:
	s_or_b32 exec_lo, exec_lo, s1
	s_delay_alu instid0(SALU_CYCLE_1)
	s_mov_b32 s1, exec_lo
	s_waitcnt lgkmcnt(0)
	s_barrier
	buffer_gl0_inv
	v_cmpx_gt_u32_e32 0x100, v0
	s_cbranch_execz .LBB415_33
; %bb.32:
	ds_load_2addr_stride64_b64 v[9:12], v3 offset1:4
	s_waitcnt lgkmcnt(0)
	v_dual_add_f32 v9, v11, v9 :: v_dual_add_f32 v10, v12, v10
	ds_store_b64 v3, v[9:10]
.LBB415_33:
	s_or_b32 exec_lo, exec_lo, s1
	s_delay_alu instid0(SALU_CYCLE_1)
	s_mov_b32 s1, exec_lo
	s_waitcnt lgkmcnt(0)
	s_barrier
	buffer_gl0_inv
	;; [unrolled: 14-line block ×3, first 2 shown]
	v_cmpx_gt_u32_e32 64, v0
	s_cbranch_execz .LBB415_37
; %bb.36:
	ds_load_2addr_stride64_b64 v[9:12], v3 offset1:1
	s_waitcnt lgkmcnt(0)
	v_dual_add_f32 v9, v11, v9 :: v_dual_add_f32 v10, v12, v10
	ds_store_b64 v3, v[9:10]
.LBB415_37:
	s_or_b32 exec_lo, exec_lo, s1
	s_delay_alu instid0(SALU_CYCLE_1)
	s_mov_b32 s1, exec_lo
	s_waitcnt lgkmcnt(0)
	buffer_gl0_inv
                                        ; implicit-def: $vgpr4
	v_cmpx_gt_u32_e32 32, v0
; %bb.38:
	v_or_b32_e32 v4, 32, v0
	s_or_b32 s0, s0, exec_lo
                                        ; implicit-def: $vgpr2
; %bb.39:
	s_or_b32 exec_lo, exec_lo, s1
	v_mov_b32_e32 v9, v3
.LBB415_40:
	s_and_saveexec_b32 s1, s0
	s_cbranch_execnz .LBB415_43
; %bb.41:
	s_or_b32 exec_lo, exec_lo, s1
	v_cmp_gt_u32_e32 vcc_lo, 32, v0
	s_and_b32 exec_lo, exec_lo, vcc_lo
	s_cbranch_execnz .LBB415_44
.LBB415_42:
	s_nop 0
	s_sendmsg sendmsg(MSG_DEALLOC_VGPRS)
	s_endpgm
.LBB415_43:
	v_lshlrev_b32_e32 v3, 3, v4
	ds_load_2addr_b32 v[1:2], v9 offset1:1
	ds_load_b64 v[3:4], v3
	s_waitcnt lgkmcnt(0)
	v_dual_add_f32 v2, v4, v2 :: v_dual_add_f32 v1, v3, v1
	s_or_b32 exec_lo, exec_lo, s1
	v_cmp_gt_u32_e32 vcc_lo, 32, v0
	s_and_b32 exec_lo, exec_lo, vcc_lo
	s_cbranch_execz .LBB415_42
.LBB415_44:
	v_mul_f32_e64 v3, v2, -v8
	v_mul_f32_e32 v4, v2, v7
	v_cmp_eq_f32_e32 vcc_lo, 0, v5
	v_cmp_eq_f32_e64 s0, 0, v6
	v_lshl_or_b32 v0, s8, 5, v0
	v_fmac_f32_e32 v3, v7, v1
	v_fmac_f32_e32 v4, v8, v1
	s_delay_alu instid0(VALU_DEP_4) | instskip(NEXT) | instid1(SALU_CYCLE_1)
	s_and_b32 s0, vcc_lo, s0
	s_and_saveexec_b32 s1, s0
	s_delay_alu instid0(SALU_CYCLE_1)
	s_xor_b32 s0, exec_lo, s1
	s_cbranch_execz .LBB415_46
; %bb.45:
	v_mov_b32_e32 v1, 0
                                        ; implicit-def: $vgpr5
                                        ; implicit-def: $vgpr6
	s_delay_alu instid0(VALU_DEP_1) | instskip(NEXT) | instid1(VALU_DEP_1)
	v_lshlrev_b64 v[0:1], 3, v[0:1]
	v_add_co_u32 v0, vcc_lo, s10, v0
	s_delay_alu instid0(VALU_DEP_2)
	v_add_co_ci_u32_e32 v1, vcc_lo, s11, v1, vcc_lo
	global_store_b64 v[0:1], v[3:4], off
                                        ; implicit-def: $vgpr0
                                        ; implicit-def: $vgpr3
.LBB415_46:
	s_and_not1_saveexec_b32 s0, s0
	s_cbranch_execz .LBB415_42
; %bb.47:
	v_mov_b32_e32 v1, 0
	s_delay_alu instid0(VALU_DEP_1) | instskip(NEXT) | instid1(VALU_DEP_1)
	v_lshlrev_b64 v[0:1], 3, v[0:1]
	v_add_co_u32 v0, vcc_lo, s10, v0
	s_delay_alu instid0(VALU_DEP_2) | instskip(SKIP_4) | instid1(VALU_DEP_2)
	v_add_co_ci_u32_e32 v1, vcc_lo, s11, v1, vcc_lo
	global_load_b64 v[7:8], v[0:1], off
	s_waitcnt vmcnt(0)
	v_fmac_f32_e32 v4, v6, v7
	v_fmac_f32_e32 v3, v5, v7
	;; [unrolled: 1-line block ×3, first 2 shown]
	s_delay_alu instid0(VALU_DEP_2)
	v_fma_f32 v3, -v6, v8, v3
	global_store_b64 v[0:1], v[3:4], off
	s_nop 0
	s_sendmsg sendmsg(MSG_DEALLOC_VGPRS)
	s_endpgm
	.section	.rodata,"a",@progbits
	.p2align	6, 0x0
	.amdhsa_kernel _ZN9rocsparseL20bsrxmvn_17_32_kernelILj32E21rocsparse_complex_numIfElifS2_S2_EEvT2_20rocsparse_direction_NS_24const_host_device_scalarIT0_EES3_PKS3_PKT1_SC_S9_PKT3_PKT4_S7_PT5_21rocsparse_index_base_b
		.amdhsa_group_segment_fixed_size 8192
		.amdhsa_private_segment_fixed_size 0
		.amdhsa_kernarg_size 96
		.amdhsa_user_sgpr_count 15
		.amdhsa_user_sgpr_dispatch_ptr 0
		.amdhsa_user_sgpr_queue_ptr 0
		.amdhsa_user_sgpr_kernarg_segment_ptr 1
		.amdhsa_user_sgpr_dispatch_id 0
		.amdhsa_user_sgpr_private_segment_size 0
		.amdhsa_wavefront_size32 1
		.amdhsa_uses_dynamic_stack 0
		.amdhsa_enable_private_segment 0
		.amdhsa_system_sgpr_workgroup_id_x 1
		.amdhsa_system_sgpr_workgroup_id_y 0
		.amdhsa_system_sgpr_workgroup_id_z 0
		.amdhsa_system_sgpr_workgroup_info 0
		.amdhsa_system_vgpr_workitem_id 0
		.amdhsa_next_free_vgpr 14
		.amdhsa_next_free_sgpr 26
		.amdhsa_reserve_vcc 1
		.amdhsa_float_round_mode_32 0
		.amdhsa_float_round_mode_16_64 0
		.amdhsa_float_denorm_mode_32 3
		.amdhsa_float_denorm_mode_16_64 3
		.amdhsa_dx10_clamp 1
		.amdhsa_ieee_mode 1
		.amdhsa_fp16_overflow 0
		.amdhsa_workgroup_processor_mode 1
		.amdhsa_memory_ordered 1
		.amdhsa_forward_progress 0
		.amdhsa_shared_vgpr_count 0
		.amdhsa_exception_fp_ieee_invalid_op 0
		.amdhsa_exception_fp_denorm_src 0
		.amdhsa_exception_fp_ieee_div_zero 0
		.amdhsa_exception_fp_ieee_overflow 0
		.amdhsa_exception_fp_ieee_underflow 0
		.amdhsa_exception_fp_ieee_inexact 0
		.amdhsa_exception_int_div_zero 0
	.end_amdhsa_kernel
	.section	.text._ZN9rocsparseL20bsrxmvn_17_32_kernelILj32E21rocsparse_complex_numIfElifS2_S2_EEvT2_20rocsparse_direction_NS_24const_host_device_scalarIT0_EES3_PKS3_PKT1_SC_S9_PKT3_PKT4_S7_PT5_21rocsparse_index_base_b,"axG",@progbits,_ZN9rocsparseL20bsrxmvn_17_32_kernelILj32E21rocsparse_complex_numIfElifS2_S2_EEvT2_20rocsparse_direction_NS_24const_host_device_scalarIT0_EES3_PKS3_PKT1_SC_S9_PKT3_PKT4_S7_PT5_21rocsparse_index_base_b,comdat
.Lfunc_end415:
	.size	_ZN9rocsparseL20bsrxmvn_17_32_kernelILj32E21rocsparse_complex_numIfElifS2_S2_EEvT2_20rocsparse_direction_NS_24const_host_device_scalarIT0_EES3_PKS3_PKT1_SC_S9_PKT3_PKT4_S7_PT5_21rocsparse_index_base_b, .Lfunc_end415-_ZN9rocsparseL20bsrxmvn_17_32_kernelILj32E21rocsparse_complex_numIfElifS2_S2_EEvT2_20rocsparse_direction_NS_24const_host_device_scalarIT0_EES3_PKS3_PKT1_SC_S9_PKT3_PKT4_S7_PT5_21rocsparse_index_base_b
                                        ; -- End function
	.section	.AMDGPU.csdata,"",@progbits
; Kernel info:
; codeLenInByte = 1696
; NumSgprs: 28
; NumVgprs: 14
; ScratchSize: 0
; MemoryBound: 0
; FloatMode: 240
; IeeeMode: 1
; LDSByteSize: 8192 bytes/workgroup (compile time only)
; SGPRBlocks: 3
; VGPRBlocks: 1
; NumSGPRsForWavesPerEU: 28
; NumVGPRsForWavesPerEU: 14
; Occupancy: 16
; WaveLimiterHint : 1
; COMPUTE_PGM_RSRC2:SCRATCH_EN: 0
; COMPUTE_PGM_RSRC2:USER_SGPR: 15
; COMPUTE_PGM_RSRC2:TRAP_HANDLER: 0
; COMPUTE_PGM_RSRC2:TGID_X_EN: 1
; COMPUTE_PGM_RSRC2:TGID_Y_EN: 0
; COMPUTE_PGM_RSRC2:TGID_Z_EN: 0
; COMPUTE_PGM_RSRC2:TIDIG_COMP_CNT: 0
	.section	.text._ZN9rocsparseL20bsrxmvn_17_32_kernelILj17E21rocsparse_complex_numIfEllfS2_S2_EEvT2_20rocsparse_direction_NS_24const_host_device_scalarIT0_EES3_PKS3_PKT1_SC_S9_PKT3_PKT4_S7_PT5_21rocsparse_index_base_b,"axG",@progbits,_ZN9rocsparseL20bsrxmvn_17_32_kernelILj17E21rocsparse_complex_numIfEllfS2_S2_EEvT2_20rocsparse_direction_NS_24const_host_device_scalarIT0_EES3_PKS3_PKT1_SC_S9_PKT3_PKT4_S7_PT5_21rocsparse_index_base_b,comdat
	.globl	_ZN9rocsparseL20bsrxmvn_17_32_kernelILj17E21rocsparse_complex_numIfEllfS2_S2_EEvT2_20rocsparse_direction_NS_24const_host_device_scalarIT0_EES3_PKS3_PKT1_SC_S9_PKT3_PKT4_S7_PT5_21rocsparse_index_base_b ; -- Begin function _ZN9rocsparseL20bsrxmvn_17_32_kernelILj17E21rocsparse_complex_numIfEllfS2_S2_EEvT2_20rocsparse_direction_NS_24const_host_device_scalarIT0_EES3_PKS3_PKT1_SC_S9_PKT3_PKT4_S7_PT5_21rocsparse_index_base_b
	.p2align	8
	.type	_ZN9rocsparseL20bsrxmvn_17_32_kernelILj17E21rocsparse_complex_numIfEllfS2_S2_EEvT2_20rocsparse_direction_NS_24const_host_device_scalarIT0_EES3_PKS3_PKT1_SC_S9_PKT3_PKT4_S7_PT5_21rocsparse_index_base_b,@function
_ZN9rocsparseL20bsrxmvn_17_32_kernelILj17E21rocsparse_complex_numIfEllfS2_S2_EEvT2_20rocsparse_direction_NS_24const_host_device_scalarIT0_EES3_PKS3_PKT1_SC_S9_PKT3_PKT4_S7_PT5_21rocsparse_index_base_b: ; @_ZN9rocsparseL20bsrxmvn_17_32_kernelILj17E21rocsparse_complex_numIfEllfS2_S2_EEvT2_20rocsparse_direction_NS_24const_host_device_scalarIT0_EES3_PKS3_PKT1_SC_S9_PKT3_PKT4_S7_PT5_21rocsparse_index_base_b
; %bb.0:
	s_clause 0x2
	s_load_b64 s[12:13], s[0:1], 0x60
	s_load_b64 s[4:5], s[0:1], 0x10
	;; [unrolled: 1-line block ×3, first 2 shown]
	s_mov_b32 s8, s15
	s_waitcnt lgkmcnt(0)
	s_bitcmp1_b32 s13, 0
	v_mov_b32_e32 v11, s4
	s_cselect_b32 s6, -1, 0
	s_delay_alu instid0(SALU_CYCLE_1)
	s_and_b32 vcc_lo, exec_lo, s6
	s_xor_b32 s6, s6, -1
	s_cbranch_vccz .LBB416_15
; %bb.1:
	v_cndmask_b32_e64 v1, 0, 1, s6
	v_mov_b32_e32 v12, s5
	s_and_not1_b32 vcc_lo, exec_lo, s6
	s_cbranch_vccz .LBB416_16
.LBB416_2:
	s_delay_alu instid0(VALU_DEP_2)
	v_cmp_ne_u32_e32 vcc_lo, 1, v1
	v_mov_b32_e32 v9, s2
	s_cbranch_vccz .LBB416_17
.LBB416_3:
	v_cmp_ne_u32_e32 vcc_lo, 1, v1
	v_mov_b32_e32 v10, s3
	s_cbranch_vccnz .LBB416_5
.LBB416_4:
	v_dual_mov_b32 v1, s2 :: v_dual_mov_b32 v2, s3
	flat_load_b32 v10, v[1:2] offset:4
.LBB416_5:
	s_waitcnt vmcnt(0) lgkmcnt(0)
	v_cmp_eq_f32_e32 vcc_lo, 0, v11
	v_cmp_eq_f32_e64 s2, 0, v12
	s_delay_alu instid0(VALU_DEP_1)
	s_and_b32 s4, vcc_lo, s2
	s_mov_b32 s2, -1
	s_and_saveexec_b32 s3, s4
; %bb.6:
	v_cmp_neq_f32_e32 vcc_lo, 1.0, v9
	v_cmp_neq_f32_e64 s2, 0, v10
	s_delay_alu instid0(VALU_DEP_1) | instskip(NEXT) | instid1(SALU_CYCLE_1)
	s_or_b32 s2, vcc_lo, s2
	s_or_not1_b32 s2, s2, exec_lo
; %bb.7:
	s_or_b32 exec_lo, exec_lo, s3
	s_and_saveexec_b32 s3, s2
	s_cbranch_execz .LBB416_44
; %bb.8:
	s_clause 0x1
	s_load_b128 s[4:7], s[0:1], 0x20
	s_load_b64 s[10:11], s[0:1], 0x30
	s_mov_b32 s9, 0
	s_waitcnt lgkmcnt(0)
	s_cmp_eq_u64 s[4:5], 0
	s_cbranch_scc1 .LBB416_10
; %bb.9:
	s_lshl_b64 s[2:3], s[8:9], 3
	s_delay_alu instid0(SALU_CYCLE_1)
	s_add_u32 s2, s4, s2
	s_addc_u32 s3, s5, s3
	s_load_b64 s[2:3], s[2:3], 0x0
	s_waitcnt lgkmcnt(0)
	s_sub_u32 s8, s2, s12
	s_subb_u32 s9, s3, 0
.LBB416_10:
	s_load_b32 s3, s[0:1], 0x8
	v_mul_u32_u24_e32 v1, 0xf10, v0
	v_mov_b32_e32 v2, 0
	s_delay_alu instid0(VALU_DEP_2) | instskip(NEXT) | instid1(VALU_DEP_1)
	v_lshrrev_b32_e32 v3, 16, v1
	v_mul_lo_u16 v1, v3, 17
	s_delay_alu instid0(VALU_DEP_1)
	v_sub_nc_u16 v13, v0, v1
	v_mov_b32_e32 v1, 0
	s_waitcnt lgkmcnt(0)
	s_cmp_eq_u32 s3, 1
	s_cselect_b32 s2, -1, 0
	s_cmp_lg_u32 s3, 1
	s_cselect_b32 s3, -1, 0
	s_lshl_b64 s[4:5], s[8:9], 3
	s_delay_alu instid0(SALU_CYCLE_1)
	s_add_u32 s6, s6, s4
	s_addc_u32 s7, s7, s5
	s_add_u32 s13, s6, 8
	s_addc_u32 s14, s7, 0
	;; [unrolled: 2-line block ×3, first 2 shown]
	s_cmp_eq_u64 s[10:11], 0
	s_load_b64 s[10:11], s[0:1], 0x58
	s_cselect_b32 s5, s14, s5
	s_cselect_b32 s4, s13, s4
	s_load_b64 s[16:17], s[6:7], 0x0
	s_load_b64 s[14:15], s[4:5], 0x0
	s_waitcnt lgkmcnt(0)
	v_cmp_ge_i64_e64 s4, s[16:17], s[14:15]
	s_delay_alu instid0(VALU_DEP_1)
	s_and_b32 vcc_lo, exec_lo, s4
	s_cbranch_vccnz .LBB416_18
; %bb.11:
	v_mul_lo_u16 v1, v3, 31
	v_dual_mov_b32 v2, 0 :: v_dual_and_b32 v5, 0xffff, v0
	v_and_b32_e32 v4, 0xffff, v13
	s_clause 0x1
	s_load_b128 s[4:7], s[0:1], 0x38
	s_load_b64 s[18:19], s[0:1], 0x48
	v_lshrrev_b16 v1, 9, v1
	s_sub_u32 s0, s14, s12
	s_subb_u32 s1, s15, 0
	s_sub_u32 s14, s16, s12
	s_subb_u32 s15, s17, 0
	v_mul_lo_u16 v1, v1, 17
	v_lshlrev_b32_e32 v15, 2, v0
	s_mul_hi_u32 s13, s14, 0x484
	s_mul_i32 s20, s15, 0x484
	s_mul_i32 s21, s14, 0x484
	v_sub_nc_u16 v1, v3, v1
	v_mul_u32_u24_e32 v3, 0xe3, v5
	s_add_i32 s13, s13, s20
	s_delay_alu instid0(VALU_DEP_2) | instskip(NEXT) | instid1(VALU_DEP_2)
	v_and_b32_e32 v1, 0xff, v1
	v_lshrrev_b32_e32 v14, 16, v3
	s_delay_alu instid0(VALU_DEP_2) | instskip(NEXT) | instid1(VALU_DEP_2)
	v_cndmask_b32_e64 v1, v4, v1, s2
	v_add_co_u32 v3, s2, s16, v14
	s_delay_alu instid0(VALU_DEP_1) | instskip(NEXT) | instid1(VALU_DEP_3)
	v_add_co_ci_u32_e64 v4, null, s17, 0, s2
	v_lshlrev_b32_e32 v1, 3, v1
	s_delay_alu instid0(VALU_DEP_3) | instskip(NEXT) | instid1(VALU_DEP_3)
	v_sub_co_u32 v5, vcc_lo, v3, s12
	v_subrev_co_ci_u32_e32 v6, vcc_lo, 0, v4, vcc_lo
	s_waitcnt lgkmcnt(0)
	s_add_u32 s2, s6, s21
	v_add_co_u32 v3, s6, s18, v1
	v_mov_b32_e32 v1, v2
	v_lshlrev_b64 v[7:8], 3, v[5:6]
	v_add_co_ci_u32_e64 v4, null, s19, 0, s6
	s_addc_u32 s6, s7, s13
	v_add_co_u32 v5, s2, s2, v15
	s_delay_alu instid0(VALU_DEP_3)
	v_add_co_u32 v7, vcc_lo, s4, v7
	v_add_co_ci_u32_e64 v6, null, s6, 0, s2
	v_add_co_ci_u32_e32 v8, vcc_lo, s5, v8, vcc_lo
	s_set_inst_prefetch_distance 0x1
	s_branch .LBB416_13
	.p2align	6
.LBB416_12:                             ;   in Loop: Header=BB416_13 Depth=1
	s_or_b32 exec_lo, exec_lo, s2
	s_add_u32 s14, s14, 1
	s_addc_u32 s15, s15, 0
	v_add_co_u32 v7, vcc_lo, v7, 8
	v_cmp_lt_i64_e64 s2, s[14:15], s[0:1]
	v_add_co_ci_u32_e32 v8, vcc_lo, 0, v8, vcc_lo
	s_delay_alu instid0(VALU_DEP_2)
	s_and_b32 vcc_lo, exec_lo, s2
	s_cbranch_vccz .LBB416_18
.LBB416_13:                             ; =>This Inner Loop Header: Depth=1
	v_add_co_u32 v15, s2, v14, s14
	s_delay_alu instid0(VALU_DEP_1) | instskip(SKIP_1) | instid1(VALU_DEP_1)
	v_add_co_ci_u32_e64 v16, null, 0, s15, s2
	s_mov_b32 s2, exec_lo
	v_cmpx_gt_i64_e64 s[0:1], v[15:16]
	s_cbranch_execz .LBB416_12
; %bb.14:                               ;   in Loop: Header=BB416_13 Depth=1
	global_load_b64 v[15:16], v[7:8], off
	s_waitcnt vmcnt(0)
	v_sub_co_u32 v17, vcc_lo, v15, s12
	v_subrev_co_ci_u32_e32 v19, vcc_lo, 0, v16, vcc_lo
	s_delay_alu instid0(VALU_DEP_2) | instskip(NEXT) | instid1(VALU_DEP_1)
	v_mad_u64_u32 v[15:16], null, 0x88, v17, v[3:4]
	v_mad_u64_u32 v[17:18], null, 0x88, v19, v[16:17]
	s_delay_alu instid0(VALU_DEP_1)
	v_mov_b32_e32 v16, v17
	global_load_b32 v17, v[5:6], off
	global_load_b64 v[15:16], v[15:16], off
	v_add_co_u32 v5, vcc_lo, 0x484, v5
	v_add_co_ci_u32_e32 v6, vcc_lo, 0, v6, vcc_lo
	s_waitcnt vmcnt(0)
	v_fmac_f32_e32 v1, v17, v15
	s_delay_alu instid0(VALU_DEP_1) | instskip(NEXT) | instid1(VALU_DEP_1)
	v_dual_fmac_f32 v2, 0, v15 :: v_dual_fmac_f32 v1, 0x80000000, v16
	v_fmac_f32_e32 v2, v17, v16
	s_branch .LBB416_12
.LBB416_15:
	v_dual_mov_b32 v1, s4 :: v_dual_mov_b32 v2, s5
	flat_load_b32 v11, v[1:2]
	v_cndmask_b32_e64 v1, 0, 1, s6
	v_mov_b32_e32 v12, s5
	s_and_not1_b32 vcc_lo, exec_lo, s6
	s_cbranch_vccnz .LBB416_2
.LBB416_16:
	v_dual_mov_b32 v2, s4 :: v_dual_mov_b32 v3, s5
	flat_load_b32 v12, v[2:3] offset:4
	v_cmp_ne_u32_e32 vcc_lo, 1, v1
	v_mov_b32_e32 v9, s2
	s_cbranch_vccnz .LBB416_3
.LBB416_17:
	v_dual_mov_b32 v2, s2 :: v_dual_mov_b32 v3, s3
	flat_load_b32 v9, v[2:3]
	v_cmp_ne_u32_e32 vcc_lo, 1, v1
	v_mov_b32_e32 v10, s3
	s_cbranch_vccz .LBB416_4
	s_branch .LBB416_5
.LBB416_18:
	s_set_inst_prefetch_distance 0x2
	v_lshlrev_b32_e32 v3, 3, v0
	s_and_b32 vcc_lo, exec_lo, s3
	ds_store_b64 v3, v[1:2]
	s_waitcnt lgkmcnt(0)
	s_barrier
	buffer_gl0_inv
	s_cbranch_vccz .LBB416_30
; %bb.19:
	s_mov_b32 s0, exec_lo
	v_cmpx_eq_u16_e32 0, v13
	s_cbranch_execz .LBB416_21
; %bb.20:
	ds_load_2addr_b64 v[4:7], v3 offset1:16
	s_waitcnt lgkmcnt(0)
	v_dual_add_f32 v4, v6, v4 :: v_dual_add_f32 v5, v7, v5
	ds_store_b64 v3, v[4:5]
.LBB416_21:
	s_or_b32 exec_lo, exec_lo, s0
	s_delay_alu instid0(SALU_CYCLE_1)
	s_mov_b32 s0, exec_lo
	s_waitcnt lgkmcnt(0)
	s_barrier
	buffer_gl0_inv
	v_cmpx_gt_u16_e32 8, v13
	s_cbranch_execz .LBB416_23
; %bb.22:
	ds_load_2addr_b64 v[4:7], v3 offset1:8
	s_waitcnt lgkmcnt(0)
	v_dual_add_f32 v4, v6, v4 :: v_dual_add_f32 v5, v7, v5
	ds_store_b64 v3, v[4:5]
.LBB416_23:
	s_or_b32 exec_lo, exec_lo, s0
	s_delay_alu instid0(SALU_CYCLE_1)
	s_mov_b32 s0, exec_lo
	s_waitcnt lgkmcnt(0)
	s_barrier
	buffer_gl0_inv
	v_cmpx_gt_u16_e32 4, v13
	;; [unrolled: 14-line block ×3, first 2 shown]
	s_cbranch_execz .LBB416_27
; %bb.26:
	ds_load_2addr_b64 v[4:7], v3 offset1:2
	s_waitcnt lgkmcnt(0)
	v_dual_add_f32 v4, v6, v4 :: v_dual_add_f32 v5, v7, v5
	ds_store_b64 v3, v[4:5]
.LBB416_27:
	s_or_b32 exec_lo, exec_lo, s0
	s_mov_b32 s0, 0
	s_mov_b32 s1, 0
	s_mov_b32 s2, exec_lo
	s_waitcnt lgkmcnt(0)
	s_barrier
	buffer_gl0_inv
                                        ; implicit-def: $vgpr5
                                        ; implicit-def: $vgpr4
	v_cmpx_gt_u32_e32 17, v0
	s_xor_b32 s2, exec_lo, s2
; %bb.28:
	v_mul_u32_u24_e32 v4, 17, v0
	s_mov_b32 s1, exec_lo
	s_delay_alu instid0(VALU_DEP_1)
	v_lshlrev_b32_e32 v5, 3, v4
	v_mad_u32_u24 v4, v0, 17, 1
; %bb.29:
	s_or_b32 exec_lo, exec_lo, s2
	s_delay_alu instid0(SALU_CYCLE_1)
	s_and_b32 vcc_lo, exec_lo, s0
	v_cmp_gt_u32_e64 s0, 17, v0
	s_cbranch_vccnz .LBB416_31
	s_branch .LBB416_42
.LBB416_30:
	s_mov_b32 s1, 0
                                        ; implicit-def: $vgpr5
                                        ; implicit-def: $vgpr4
	v_cmp_gt_u32_e64 s0, 17, v0
	s_cbranch_execz .LBB416_42
.LBB416_31:
	s_delay_alu instid0(VALU_DEP_1)
	s_and_saveexec_b32 s2, s0
	s_cbranch_execz .LBB416_33
; %bb.32:
	ds_load_b64 v[4:5], v3 offset:2176
	ds_load_b64 v[6:7], v3
	s_waitcnt lgkmcnt(0)
	v_dual_add_f32 v4, v4, v6 :: v_dual_add_f32 v5, v5, v7
	ds_store_b64 v3, v[4:5]
.LBB416_33:
	s_or_b32 exec_lo, exec_lo, s2
	s_delay_alu instid0(SALU_CYCLE_1)
	s_mov_b32 s2, exec_lo
	s_waitcnt lgkmcnt(0)
	s_barrier
	buffer_gl0_inv
	v_cmpx_gt_u32_e32 0x88, v0
	s_cbranch_execz .LBB416_35
; %bb.34:
	ds_load_2addr_b64 v[4:7], v3 offset1:136
	s_waitcnt lgkmcnt(0)
	v_dual_add_f32 v4, v6, v4 :: v_dual_add_f32 v5, v7, v5
	ds_store_b64 v3, v[4:5]
.LBB416_35:
	s_or_b32 exec_lo, exec_lo, s2
	s_delay_alu instid0(SALU_CYCLE_1)
	s_mov_b32 s2, exec_lo
	s_waitcnt lgkmcnt(0)
	s_barrier
	buffer_gl0_inv
	v_cmpx_gt_u32_e32 0x44, v0
	s_cbranch_execz .LBB416_37
; %bb.36:
	ds_load_2addr_b64 v[4:7], v3 offset1:68
	s_waitcnt lgkmcnt(0)
	v_dual_add_f32 v4, v6, v4 :: v_dual_add_f32 v5, v7, v5
	ds_store_b64 v3, v[4:5]
.LBB416_37:
	s_or_b32 exec_lo, exec_lo, s2
	s_delay_alu instid0(SALU_CYCLE_1)
	s_mov_b32 s2, exec_lo
	s_waitcnt lgkmcnt(0)
	s_barrier
	buffer_gl0_inv
	v_cmpx_gt_u32_e32 34, v0
	s_cbranch_execz .LBB416_39
; %bb.38:
	ds_load_2addr_b64 v[4:7], v3 offset1:34
	s_waitcnt lgkmcnt(0)
	v_dual_add_f32 v4, v6, v4 :: v_dual_add_f32 v5, v7, v5
	ds_store_b64 v3, v[4:5]
.LBB416_39:
	s_or_b32 exec_lo, exec_lo, s2
	s_waitcnt lgkmcnt(0)
	buffer_gl0_inv
                                        ; implicit-def: $vgpr4
	s_and_saveexec_b32 s2, s0
; %bb.40:
	v_add_nc_u32_e32 v4, 17, v0
	s_or_b32 s1, s1, exec_lo
                                        ; implicit-def: $vgpr2
; %bb.41:
	s_or_b32 exec_lo, exec_lo, s2
	v_mov_b32_e32 v5, v3
.LBB416_42:
	s_and_saveexec_b32 s0, s1
	s_cbranch_execnz .LBB416_45
; %bb.43:
	s_or_b32 exec_lo, exec_lo, s0
	v_cmp_gt_u32_e32 vcc_lo, 17, v0
	s_and_b32 exec_lo, exec_lo, vcc_lo
	s_cbranch_execnz .LBB416_46
.LBB416_44:
	s_nop 0
	s_sendmsg sendmsg(MSG_DEALLOC_VGPRS)
	s_endpgm
.LBB416_45:
	v_lshlrev_b32_e32 v3, 3, v4
	ds_load_2addr_b32 v[1:2], v5 offset1:1
	ds_load_b64 v[3:4], v3
	s_waitcnt lgkmcnt(0)
	v_dual_add_f32 v2, v4, v2 :: v_dual_add_f32 v1, v3, v1
	s_or_b32 exec_lo, exec_lo, s0
	v_cmp_gt_u32_e32 vcc_lo, 17, v0
	s_and_b32 exec_lo, exec_lo, vcc_lo
	s_cbranch_execz .LBB416_44
.LBB416_46:
	v_mul_f32_e64 v3, v2, -v12
	v_mul_f32_e32 v4, v2, v11
	v_cmp_eq_f32_e32 vcc_lo, 0, v9
	v_cmp_eq_f32_e64 s0, 0, v10
	s_mul_hi_u32 s1, s8, 0x88
	v_fmac_f32_e32 v3, v11, v1
	v_fmac_f32_e32 v4, v12, v1
	s_mul_i32 s2, s8, 0x88
	s_and_b32 s3, vcc_lo, s0
	s_mul_i32 s0, s9, 0x88
	s_and_saveexec_b32 s4, s3
	s_delay_alu instid0(SALU_CYCLE_1)
	s_xor_b32 s3, exec_lo, s4
	s_cbranch_execz .LBB416_48
; %bb.47:
	v_lshlrev_b32_e32 v0, 3, v0
	s_add_i32 s5, s1, s0
	s_add_u32 s4, s10, s2
	s_addc_u32 s5, s11, s5
                                        ; implicit-def: $vgpr9
                                        ; implicit-def: $vgpr10
	global_store_b64 v0, v[3:4], s[4:5]
                                        ; implicit-def: $vgpr0
                                        ; implicit-def: $vgpr3
.LBB416_48:
	s_and_not1_saveexec_b32 s3, s3
	s_cbranch_execz .LBB416_44
; %bb.49:
	v_lshlrev_b32_e32 v2, 3, v0
	s_add_i32 s1, s1, s0
	s_add_u32 s0, s10, s2
	s_addc_u32 s1, s11, s1
	global_load_b64 v[0:1], v2, s[0:1]
	s_waitcnt vmcnt(0)
	v_fmac_f32_e32 v3, v9, v0
	v_fmac_f32_e32 v4, v10, v0
	s_delay_alu instid0(VALU_DEP_2) | instskip(NEXT) | instid1(VALU_DEP_2)
	v_fma_f32 v3, -v10, v1, v3
	v_fmac_f32_e32 v4, v9, v1
	global_store_b64 v2, v[3:4], s[0:1]
	s_nop 0
	s_sendmsg sendmsg(MSG_DEALLOC_VGPRS)
	s_endpgm
	.section	.rodata,"a",@progbits
	.p2align	6, 0x0
	.amdhsa_kernel _ZN9rocsparseL20bsrxmvn_17_32_kernelILj17E21rocsparse_complex_numIfEllfS2_S2_EEvT2_20rocsparse_direction_NS_24const_host_device_scalarIT0_EES3_PKS3_PKT1_SC_S9_PKT3_PKT4_S7_PT5_21rocsparse_index_base_b
		.amdhsa_group_segment_fixed_size 2312
		.amdhsa_private_segment_fixed_size 0
		.amdhsa_kernarg_size 104
		.amdhsa_user_sgpr_count 15
		.amdhsa_user_sgpr_dispatch_ptr 0
		.amdhsa_user_sgpr_queue_ptr 0
		.amdhsa_user_sgpr_kernarg_segment_ptr 1
		.amdhsa_user_sgpr_dispatch_id 0
		.amdhsa_user_sgpr_private_segment_size 0
		.amdhsa_wavefront_size32 1
		.amdhsa_uses_dynamic_stack 0
		.amdhsa_enable_private_segment 0
		.amdhsa_system_sgpr_workgroup_id_x 1
		.amdhsa_system_sgpr_workgroup_id_y 0
		.amdhsa_system_sgpr_workgroup_id_z 0
		.amdhsa_system_sgpr_workgroup_info 0
		.amdhsa_system_vgpr_workitem_id 0
		.amdhsa_next_free_vgpr 20
		.amdhsa_next_free_sgpr 22
		.amdhsa_reserve_vcc 1
		.amdhsa_float_round_mode_32 0
		.amdhsa_float_round_mode_16_64 0
		.amdhsa_float_denorm_mode_32 3
		.amdhsa_float_denorm_mode_16_64 3
		.amdhsa_dx10_clamp 1
		.amdhsa_ieee_mode 1
		.amdhsa_fp16_overflow 0
		.amdhsa_workgroup_processor_mode 1
		.amdhsa_memory_ordered 1
		.amdhsa_forward_progress 0
		.amdhsa_shared_vgpr_count 0
		.amdhsa_exception_fp_ieee_invalid_op 0
		.amdhsa_exception_fp_denorm_src 0
		.amdhsa_exception_fp_ieee_div_zero 0
		.amdhsa_exception_fp_ieee_overflow 0
		.amdhsa_exception_fp_ieee_underflow 0
		.amdhsa_exception_fp_ieee_inexact 0
		.amdhsa_exception_int_div_zero 0
	.end_amdhsa_kernel
	.section	.text._ZN9rocsparseL20bsrxmvn_17_32_kernelILj17E21rocsparse_complex_numIfEllfS2_S2_EEvT2_20rocsparse_direction_NS_24const_host_device_scalarIT0_EES3_PKS3_PKT1_SC_S9_PKT3_PKT4_S7_PT5_21rocsparse_index_base_b,"axG",@progbits,_ZN9rocsparseL20bsrxmvn_17_32_kernelILj17E21rocsparse_complex_numIfEllfS2_S2_EEvT2_20rocsparse_direction_NS_24const_host_device_scalarIT0_EES3_PKS3_PKT1_SC_S9_PKT3_PKT4_S7_PT5_21rocsparse_index_base_b,comdat
.Lfunc_end416:
	.size	_ZN9rocsparseL20bsrxmvn_17_32_kernelILj17E21rocsparse_complex_numIfEllfS2_S2_EEvT2_20rocsparse_direction_NS_24const_host_device_scalarIT0_EES3_PKS3_PKT1_SC_S9_PKT3_PKT4_S7_PT5_21rocsparse_index_base_b, .Lfunc_end416-_ZN9rocsparseL20bsrxmvn_17_32_kernelILj17E21rocsparse_complex_numIfEllfS2_S2_EEvT2_20rocsparse_direction_NS_24const_host_device_scalarIT0_EES3_PKS3_PKT1_SC_S9_PKT3_PKT4_S7_PT5_21rocsparse_index_base_b
                                        ; -- End function
	.section	.AMDGPU.csdata,"",@progbits
; Kernel info:
; codeLenInByte = 1936
; NumSgprs: 24
; NumVgprs: 20
; ScratchSize: 0
; MemoryBound: 0
; FloatMode: 240
; IeeeMode: 1
; LDSByteSize: 2312 bytes/workgroup (compile time only)
; SGPRBlocks: 2
; VGPRBlocks: 2
; NumSGPRsForWavesPerEU: 24
; NumVGPRsForWavesPerEU: 20
; Occupancy: 15
; WaveLimiterHint : 1
; COMPUTE_PGM_RSRC2:SCRATCH_EN: 0
; COMPUTE_PGM_RSRC2:USER_SGPR: 15
; COMPUTE_PGM_RSRC2:TRAP_HANDLER: 0
; COMPUTE_PGM_RSRC2:TGID_X_EN: 1
; COMPUTE_PGM_RSRC2:TGID_Y_EN: 0
; COMPUTE_PGM_RSRC2:TGID_Z_EN: 0
; COMPUTE_PGM_RSRC2:TIDIG_COMP_CNT: 0
	.section	.text._ZN9rocsparseL20bsrxmvn_17_32_kernelILj18E21rocsparse_complex_numIfEllfS2_S2_EEvT2_20rocsparse_direction_NS_24const_host_device_scalarIT0_EES3_PKS3_PKT1_SC_S9_PKT3_PKT4_S7_PT5_21rocsparse_index_base_b,"axG",@progbits,_ZN9rocsparseL20bsrxmvn_17_32_kernelILj18E21rocsparse_complex_numIfEllfS2_S2_EEvT2_20rocsparse_direction_NS_24const_host_device_scalarIT0_EES3_PKS3_PKT1_SC_S9_PKT3_PKT4_S7_PT5_21rocsparse_index_base_b,comdat
	.globl	_ZN9rocsparseL20bsrxmvn_17_32_kernelILj18E21rocsparse_complex_numIfEllfS2_S2_EEvT2_20rocsparse_direction_NS_24const_host_device_scalarIT0_EES3_PKS3_PKT1_SC_S9_PKT3_PKT4_S7_PT5_21rocsparse_index_base_b ; -- Begin function _ZN9rocsparseL20bsrxmvn_17_32_kernelILj18E21rocsparse_complex_numIfEllfS2_S2_EEvT2_20rocsparse_direction_NS_24const_host_device_scalarIT0_EES3_PKS3_PKT1_SC_S9_PKT3_PKT4_S7_PT5_21rocsparse_index_base_b
	.p2align	8
	.type	_ZN9rocsparseL20bsrxmvn_17_32_kernelILj18E21rocsparse_complex_numIfEllfS2_S2_EEvT2_20rocsparse_direction_NS_24const_host_device_scalarIT0_EES3_PKS3_PKT1_SC_S9_PKT3_PKT4_S7_PT5_21rocsparse_index_base_b,@function
_ZN9rocsparseL20bsrxmvn_17_32_kernelILj18E21rocsparse_complex_numIfEllfS2_S2_EEvT2_20rocsparse_direction_NS_24const_host_device_scalarIT0_EES3_PKS3_PKT1_SC_S9_PKT3_PKT4_S7_PT5_21rocsparse_index_base_b: ; @_ZN9rocsparseL20bsrxmvn_17_32_kernelILj18E21rocsparse_complex_numIfEllfS2_S2_EEvT2_20rocsparse_direction_NS_24const_host_device_scalarIT0_EES3_PKS3_PKT1_SC_S9_PKT3_PKT4_S7_PT5_21rocsparse_index_base_b
; %bb.0:
	s_clause 0x2
	s_load_b64 s[12:13], s[0:1], 0x60
	s_load_b64 s[4:5], s[0:1], 0x10
	;; [unrolled: 1-line block ×3, first 2 shown]
	s_mov_b32 s8, s15
	s_waitcnt lgkmcnt(0)
	s_bitcmp1_b32 s13, 0
	v_mov_b32_e32 v11, s4
	s_cselect_b32 s6, -1, 0
	s_delay_alu instid0(SALU_CYCLE_1)
	s_and_b32 vcc_lo, exec_lo, s6
	s_xor_b32 s6, s6, -1
	s_cbranch_vccz .LBB417_15
; %bb.1:
	v_cndmask_b32_e64 v1, 0, 1, s6
	v_mov_b32_e32 v12, s5
	s_and_not1_b32 vcc_lo, exec_lo, s6
	s_cbranch_vccz .LBB417_16
.LBB417_2:
	s_delay_alu instid0(VALU_DEP_2)
	v_cmp_ne_u32_e32 vcc_lo, 1, v1
	v_mov_b32_e32 v9, s2
	s_cbranch_vccz .LBB417_17
.LBB417_3:
	v_cmp_ne_u32_e32 vcc_lo, 1, v1
	v_mov_b32_e32 v10, s3
	s_cbranch_vccnz .LBB417_5
.LBB417_4:
	v_dual_mov_b32 v1, s2 :: v_dual_mov_b32 v2, s3
	flat_load_b32 v10, v[1:2] offset:4
.LBB417_5:
	s_waitcnt vmcnt(0) lgkmcnt(0)
	v_cmp_eq_f32_e32 vcc_lo, 0, v11
	v_cmp_eq_f32_e64 s2, 0, v12
	s_delay_alu instid0(VALU_DEP_1)
	s_and_b32 s4, vcc_lo, s2
	s_mov_b32 s2, -1
	s_and_saveexec_b32 s3, s4
; %bb.6:
	v_cmp_neq_f32_e32 vcc_lo, 1.0, v9
	v_cmp_neq_f32_e64 s2, 0, v10
	s_delay_alu instid0(VALU_DEP_1) | instskip(NEXT) | instid1(SALU_CYCLE_1)
	s_or_b32 s2, vcc_lo, s2
	s_or_not1_b32 s2, s2, exec_lo
; %bb.7:
	s_or_b32 exec_lo, exec_lo, s3
	s_and_saveexec_b32 s3, s2
	s_cbranch_execz .LBB417_44
; %bb.8:
	s_clause 0x1
	s_load_b128 s[4:7], s[0:1], 0x20
	s_load_b64 s[10:11], s[0:1], 0x30
	s_mov_b32 s9, 0
	s_waitcnt lgkmcnt(0)
	s_cmp_eq_u64 s[4:5], 0
	s_cbranch_scc1 .LBB417_10
; %bb.9:
	s_lshl_b64 s[2:3], s[8:9], 3
	s_delay_alu instid0(SALU_CYCLE_1)
	s_add_u32 s2, s4, s2
	s_addc_u32 s3, s5, s3
	s_load_b64 s[2:3], s[2:3], 0x0
	s_waitcnt lgkmcnt(0)
	s_sub_u32 s8, s2, s12
	s_subb_u32 s9, s3, 0
.LBB417_10:
	s_load_b32 s3, s[0:1], 0x8
	v_mul_u32_u24_e32 v1, 0xe39, v0
	v_mov_b32_e32 v2, 0
	s_delay_alu instid0(VALU_DEP_2) | instskip(NEXT) | instid1(VALU_DEP_1)
	v_lshrrev_b32_e32 v3, 16, v1
	v_mul_lo_u16 v1, v3, 18
	s_delay_alu instid0(VALU_DEP_1)
	v_sub_nc_u16 v13, v0, v1
	v_mov_b32_e32 v1, 0
	s_waitcnt lgkmcnt(0)
	s_cmp_eq_u32 s3, 1
	s_cselect_b32 s2, -1, 0
	s_cmp_lg_u32 s3, 1
	s_cselect_b32 s3, -1, 0
	s_lshl_b64 s[4:5], s[8:9], 3
	s_delay_alu instid0(SALU_CYCLE_1)
	s_add_u32 s6, s6, s4
	s_addc_u32 s7, s7, s5
	s_add_u32 s13, s6, 8
	s_addc_u32 s14, s7, 0
	;; [unrolled: 2-line block ×3, first 2 shown]
	s_cmp_eq_u64 s[10:11], 0
	s_load_b64 s[10:11], s[0:1], 0x58
	s_cselect_b32 s5, s14, s5
	s_cselect_b32 s4, s13, s4
	s_load_b64 s[16:17], s[6:7], 0x0
	s_load_b64 s[14:15], s[4:5], 0x0
	s_waitcnt lgkmcnt(0)
	v_cmp_ge_i64_e64 s4, s[16:17], s[14:15]
	s_delay_alu instid0(VALU_DEP_1)
	s_and_b32 vcc_lo, exec_lo, s4
	s_cbranch_vccnz .LBB417_18
; %bb.11:
	v_mul_lo_u16 v1, v3, 15
	v_dual_mov_b32 v2, 0 :: v_dual_and_b32 v5, 0xffff, v0
	v_and_b32_e32 v4, 0xffff, v13
	s_clause 0x1
	s_load_b128 s[4:7], s[0:1], 0x38
	s_load_b64 s[18:19], s[0:1], 0x48
	v_lshrrev_b16 v1, 8, v1
	s_sub_u32 s0, s14, s12
	s_subb_u32 s1, s15, 0
	s_sub_u32 s14, s16, s12
	s_subb_u32 s15, s17, 0
	v_mul_lo_u16 v1, v1, 18
	v_lshlrev_b32_e32 v15, 2, v0
	s_mul_hi_u32 s13, s14, 0x510
	s_mul_i32 s20, s15, 0x510
	s_mul_i32 s21, s14, 0x510
	v_sub_nc_u16 v1, v3, v1
	v_mul_u32_u24_e32 v3, 0x195, v5
	s_add_i32 s13, s13, s20
	s_delay_alu instid0(VALU_DEP_2) | instskip(NEXT) | instid1(VALU_DEP_2)
	v_and_b32_e32 v1, 0xff, v1
	v_lshrrev_b32_e32 v14, 17, v3
	s_delay_alu instid0(VALU_DEP_2) | instskip(NEXT) | instid1(VALU_DEP_2)
	v_cndmask_b32_e64 v1, v4, v1, s2
	v_add_co_u32 v3, s2, s16, v14
	s_delay_alu instid0(VALU_DEP_1) | instskip(NEXT) | instid1(VALU_DEP_3)
	v_add_co_ci_u32_e64 v4, null, s17, 0, s2
	v_lshlrev_b32_e32 v1, 3, v1
	s_delay_alu instid0(VALU_DEP_3) | instskip(NEXT) | instid1(VALU_DEP_3)
	v_sub_co_u32 v5, vcc_lo, v3, s12
	v_subrev_co_ci_u32_e32 v6, vcc_lo, 0, v4, vcc_lo
	s_waitcnt lgkmcnt(0)
	s_add_u32 s2, s6, s21
	v_add_co_u32 v3, s6, s18, v1
	v_mov_b32_e32 v1, v2
	v_lshlrev_b64 v[7:8], 3, v[5:6]
	v_add_co_ci_u32_e64 v4, null, s19, 0, s6
	s_addc_u32 s6, s7, s13
	v_add_co_u32 v5, s2, s2, v15
	s_delay_alu instid0(VALU_DEP_3)
	v_add_co_u32 v7, vcc_lo, s4, v7
	v_add_co_ci_u32_e64 v6, null, s6, 0, s2
	v_add_co_ci_u32_e32 v8, vcc_lo, s5, v8, vcc_lo
	s_set_inst_prefetch_distance 0x1
	s_branch .LBB417_13
	.p2align	6
.LBB417_12:                             ;   in Loop: Header=BB417_13 Depth=1
	s_or_b32 exec_lo, exec_lo, s2
	s_add_u32 s14, s14, 1
	s_addc_u32 s15, s15, 0
	v_add_co_u32 v7, vcc_lo, v7, 8
	v_cmp_lt_i64_e64 s2, s[14:15], s[0:1]
	v_add_co_ci_u32_e32 v8, vcc_lo, 0, v8, vcc_lo
	s_delay_alu instid0(VALU_DEP_2)
	s_and_b32 vcc_lo, exec_lo, s2
	s_cbranch_vccz .LBB417_18
.LBB417_13:                             ; =>This Inner Loop Header: Depth=1
	v_add_co_u32 v15, s2, v14, s14
	s_delay_alu instid0(VALU_DEP_1) | instskip(SKIP_1) | instid1(VALU_DEP_1)
	v_add_co_ci_u32_e64 v16, null, 0, s15, s2
	s_mov_b32 s2, exec_lo
	v_cmpx_gt_i64_e64 s[0:1], v[15:16]
	s_cbranch_execz .LBB417_12
; %bb.14:                               ;   in Loop: Header=BB417_13 Depth=1
	global_load_b64 v[15:16], v[7:8], off
	s_waitcnt vmcnt(0)
	v_sub_co_u32 v17, vcc_lo, v15, s12
	v_subrev_co_ci_u32_e32 v19, vcc_lo, 0, v16, vcc_lo
	s_delay_alu instid0(VALU_DEP_2) | instskip(NEXT) | instid1(VALU_DEP_1)
	v_mad_u64_u32 v[15:16], null, 0x90, v17, v[3:4]
	v_mad_u64_u32 v[17:18], null, 0x90, v19, v[16:17]
	s_delay_alu instid0(VALU_DEP_1)
	v_mov_b32_e32 v16, v17
	global_load_b32 v17, v[5:6], off
	global_load_b64 v[15:16], v[15:16], off
	v_add_co_u32 v5, vcc_lo, 0x510, v5
	v_add_co_ci_u32_e32 v6, vcc_lo, 0, v6, vcc_lo
	s_waitcnt vmcnt(0)
	v_fmac_f32_e32 v1, v17, v15
	s_delay_alu instid0(VALU_DEP_1) | instskip(NEXT) | instid1(VALU_DEP_1)
	v_dual_fmac_f32 v2, 0, v15 :: v_dual_fmac_f32 v1, 0x80000000, v16
	v_fmac_f32_e32 v2, v17, v16
	s_branch .LBB417_12
.LBB417_15:
	v_dual_mov_b32 v1, s4 :: v_dual_mov_b32 v2, s5
	flat_load_b32 v11, v[1:2]
	v_cndmask_b32_e64 v1, 0, 1, s6
	v_mov_b32_e32 v12, s5
	s_and_not1_b32 vcc_lo, exec_lo, s6
	s_cbranch_vccnz .LBB417_2
.LBB417_16:
	v_dual_mov_b32 v2, s4 :: v_dual_mov_b32 v3, s5
	flat_load_b32 v12, v[2:3] offset:4
	v_cmp_ne_u32_e32 vcc_lo, 1, v1
	v_mov_b32_e32 v9, s2
	s_cbranch_vccnz .LBB417_3
.LBB417_17:
	v_dual_mov_b32 v2, s2 :: v_dual_mov_b32 v3, s3
	flat_load_b32 v9, v[2:3]
	v_cmp_ne_u32_e32 vcc_lo, 1, v1
	v_mov_b32_e32 v10, s3
	s_cbranch_vccz .LBB417_4
	s_branch .LBB417_5
.LBB417_18:
	s_set_inst_prefetch_distance 0x2
	v_lshlrev_b32_e32 v3, 3, v0
	s_and_b32 vcc_lo, exec_lo, s3
	ds_store_b64 v3, v[1:2]
	s_waitcnt lgkmcnt(0)
	s_barrier
	buffer_gl0_inv
	s_cbranch_vccz .LBB417_30
; %bb.19:
	v_cmp_gt_u16_e32 vcc_lo, 2, v13
	s_and_saveexec_b32 s0, vcc_lo
	s_cbranch_execz .LBB417_21
; %bb.20:
	ds_load_2addr_b64 v[4:7], v3 offset1:16
	s_waitcnt lgkmcnt(0)
	v_dual_add_f32 v4, v6, v4 :: v_dual_add_f32 v5, v7, v5
	ds_store_b64 v3, v[4:5]
.LBB417_21:
	s_or_b32 exec_lo, exec_lo, s0
	s_delay_alu instid0(SALU_CYCLE_1)
	s_mov_b32 s1, exec_lo
	s_waitcnt lgkmcnt(0)
	s_barrier
	buffer_gl0_inv
	v_cmpx_gt_u16_e32 8, v13
	s_cbranch_execz .LBB417_23
; %bb.22:
	ds_load_2addr_b64 v[4:7], v3 offset1:8
	s_waitcnt lgkmcnt(0)
	v_dual_add_f32 v4, v6, v4 :: v_dual_add_f32 v5, v7, v5
	ds_store_b64 v3, v[4:5]
.LBB417_23:
	s_or_b32 exec_lo, exec_lo, s1
	s_delay_alu instid0(SALU_CYCLE_1)
	s_mov_b32 s1, exec_lo
	s_waitcnt lgkmcnt(0)
	s_barrier
	buffer_gl0_inv
	v_cmpx_gt_u16_e32 4, v13
	s_cbranch_execz .LBB417_25
; %bb.24:
	ds_load_2addr_b64 v[4:7], v3 offset1:4
	s_waitcnt lgkmcnt(0)
	v_dual_add_f32 v4, v6, v4 :: v_dual_add_f32 v5, v7, v5
	ds_store_b64 v3, v[4:5]
.LBB417_25:
	s_or_b32 exec_lo, exec_lo, s1
	s_waitcnt lgkmcnt(0)
	s_barrier
	buffer_gl0_inv
	s_and_saveexec_b32 s0, vcc_lo
	s_cbranch_execz .LBB417_27
; %bb.26:
	ds_load_2addr_b64 v[4:7], v3 offset1:2
	s_waitcnt lgkmcnt(0)
	v_dual_add_f32 v4, v6, v4 :: v_dual_add_f32 v5, v7, v5
	ds_store_b64 v3, v[4:5]
.LBB417_27:
	s_or_b32 exec_lo, exec_lo, s0
	s_mov_b32 s0, 0
	s_mov_b32 s1, 0
	s_mov_b32 s2, exec_lo
	s_waitcnt lgkmcnt(0)
	s_barrier
	buffer_gl0_inv
                                        ; implicit-def: $vgpr5
                                        ; implicit-def: $vgpr4
	v_cmpx_gt_u32_e32 18, v0
	s_xor_b32 s2, exec_lo, s2
; %bb.28:
	v_mul_u32_u24_e32 v4, 18, v0
	s_mov_b32 s1, exec_lo
	s_delay_alu instid0(VALU_DEP_1)
	v_lshlrev_b32_e32 v5, 3, v4
	v_or_b32_e32 v4, 1, v4
; %bb.29:
	s_or_b32 exec_lo, exec_lo, s2
	s_delay_alu instid0(SALU_CYCLE_1)
	s_and_b32 vcc_lo, exec_lo, s0
	s_cbranch_vccnz .LBB417_31
	s_branch .LBB417_42
.LBB417_30:
	s_mov_b32 s1, 0
                                        ; implicit-def: $vgpr5
                                        ; implicit-def: $vgpr4
	s_cbranch_execz .LBB417_42
.LBB417_31:
	v_cmp_gt_u32_e32 vcc_lo, 36, v0
	s_and_saveexec_b32 s0, vcc_lo
	s_cbranch_execz .LBB417_33
; %bb.32:
	ds_load_b64 v[4:5], v3 offset:2304
	ds_load_b64 v[6:7], v3
	s_waitcnt lgkmcnt(0)
	v_dual_add_f32 v4, v4, v6 :: v_dual_add_f32 v5, v5, v7
	ds_store_b64 v3, v[4:5]
.LBB417_33:
	s_or_b32 exec_lo, exec_lo, s0
	s_delay_alu instid0(SALU_CYCLE_1)
	s_mov_b32 s2, exec_lo
	s_waitcnt lgkmcnt(0)
	s_barrier
	buffer_gl0_inv
	v_cmpx_gt_u32_e32 0x90, v0
	s_cbranch_execz .LBB417_35
; %bb.34:
	ds_load_2addr_b64 v[4:7], v3 offset1:144
	s_waitcnt lgkmcnt(0)
	v_dual_add_f32 v4, v6, v4 :: v_dual_add_f32 v5, v7, v5
	ds_store_b64 v3, v[4:5]
.LBB417_35:
	s_or_b32 exec_lo, exec_lo, s2
	s_delay_alu instid0(SALU_CYCLE_1)
	s_mov_b32 s2, exec_lo
	s_waitcnt lgkmcnt(0)
	s_barrier
	buffer_gl0_inv
	v_cmpx_gt_u32_e32 0x48, v0
	s_cbranch_execz .LBB417_37
; %bb.36:
	ds_load_2addr_b64 v[4:7], v3 offset1:72
	s_waitcnt lgkmcnt(0)
	v_dual_add_f32 v4, v6, v4 :: v_dual_add_f32 v5, v7, v5
	ds_store_b64 v3, v[4:5]
.LBB417_37:
	s_or_b32 exec_lo, exec_lo, s2
	s_waitcnt lgkmcnt(0)
	s_barrier
	buffer_gl0_inv
	s_and_saveexec_b32 s0, vcc_lo
	s_cbranch_execz .LBB417_39
; %bb.38:
	ds_load_2addr_b64 v[4:7], v3 offset1:36
	s_waitcnt lgkmcnt(0)
	v_dual_add_f32 v4, v6, v4 :: v_dual_add_f32 v5, v7, v5
	ds_store_b64 v3, v[4:5]
.LBB417_39:
	s_or_b32 exec_lo, exec_lo, s0
	s_delay_alu instid0(SALU_CYCLE_1)
	s_mov_b32 s0, exec_lo
	s_waitcnt lgkmcnt(0)
	buffer_gl0_inv
                                        ; implicit-def: $vgpr4
	v_cmpx_gt_u32_e32 18, v0
; %bb.40:
	v_add_nc_u32_e32 v4, 18, v0
	s_or_b32 s1, s1, exec_lo
                                        ; implicit-def: $vgpr2
; %bb.41:
	s_or_b32 exec_lo, exec_lo, s0
	v_mov_b32_e32 v5, v3
.LBB417_42:
	s_and_saveexec_b32 s0, s1
	s_cbranch_execnz .LBB417_45
; %bb.43:
	s_or_b32 exec_lo, exec_lo, s0
	v_cmp_gt_u32_e32 vcc_lo, 18, v0
	s_and_b32 exec_lo, exec_lo, vcc_lo
	s_cbranch_execnz .LBB417_46
.LBB417_44:
	s_nop 0
	s_sendmsg sendmsg(MSG_DEALLOC_VGPRS)
	s_endpgm
.LBB417_45:
	v_lshlrev_b32_e32 v3, 3, v4
	ds_load_2addr_b32 v[1:2], v5 offset1:1
	ds_load_b64 v[3:4], v3
	s_waitcnt lgkmcnt(0)
	v_dual_add_f32 v2, v4, v2 :: v_dual_add_f32 v1, v3, v1
	s_or_b32 exec_lo, exec_lo, s0
	v_cmp_gt_u32_e32 vcc_lo, 18, v0
	s_and_b32 exec_lo, exec_lo, vcc_lo
	s_cbranch_execz .LBB417_44
.LBB417_46:
	v_mul_f32_e64 v3, v2, -v12
	v_mul_f32_e32 v4, v2, v11
	v_cmp_eq_f32_e32 vcc_lo, 0, v9
	v_cmp_eq_f32_e64 s0, 0, v10
	s_mul_hi_u32 s1, s8, 0x90
	v_fmac_f32_e32 v3, v11, v1
	v_fmac_f32_e32 v4, v12, v1
	s_mul_i32 s2, s8, 0x90
	s_and_b32 s3, vcc_lo, s0
	s_mul_i32 s0, s9, 0x90
	s_and_saveexec_b32 s4, s3
	s_delay_alu instid0(SALU_CYCLE_1)
	s_xor_b32 s3, exec_lo, s4
	s_cbranch_execz .LBB417_48
; %bb.47:
	v_lshlrev_b32_e32 v0, 3, v0
	s_add_i32 s5, s1, s0
	s_add_u32 s4, s10, s2
	s_addc_u32 s5, s11, s5
                                        ; implicit-def: $vgpr9
                                        ; implicit-def: $vgpr10
	global_store_b64 v0, v[3:4], s[4:5]
                                        ; implicit-def: $vgpr0
                                        ; implicit-def: $vgpr3
.LBB417_48:
	s_and_not1_saveexec_b32 s3, s3
	s_cbranch_execz .LBB417_44
; %bb.49:
	v_lshlrev_b32_e32 v2, 3, v0
	s_add_i32 s1, s1, s0
	s_add_u32 s0, s10, s2
	s_addc_u32 s1, s11, s1
	global_load_b64 v[0:1], v2, s[0:1]
	s_waitcnt vmcnt(0)
	v_fmac_f32_e32 v3, v9, v0
	v_fmac_f32_e32 v4, v10, v0
	s_delay_alu instid0(VALU_DEP_2) | instskip(NEXT) | instid1(VALU_DEP_2)
	v_fma_f32 v3, -v10, v1, v3
	v_fmac_f32_e32 v4, v9, v1
	global_store_b64 v2, v[3:4], s[0:1]
	s_nop 0
	s_sendmsg sendmsg(MSG_DEALLOC_VGPRS)
	s_endpgm
	.section	.rodata,"a",@progbits
	.p2align	6, 0x0
	.amdhsa_kernel _ZN9rocsparseL20bsrxmvn_17_32_kernelILj18E21rocsparse_complex_numIfEllfS2_S2_EEvT2_20rocsparse_direction_NS_24const_host_device_scalarIT0_EES3_PKS3_PKT1_SC_S9_PKT3_PKT4_S7_PT5_21rocsparse_index_base_b
		.amdhsa_group_segment_fixed_size 2592
		.amdhsa_private_segment_fixed_size 0
		.amdhsa_kernarg_size 104
		.amdhsa_user_sgpr_count 15
		.amdhsa_user_sgpr_dispatch_ptr 0
		.amdhsa_user_sgpr_queue_ptr 0
		.amdhsa_user_sgpr_kernarg_segment_ptr 1
		.amdhsa_user_sgpr_dispatch_id 0
		.amdhsa_user_sgpr_private_segment_size 0
		.amdhsa_wavefront_size32 1
		.amdhsa_uses_dynamic_stack 0
		.amdhsa_enable_private_segment 0
		.amdhsa_system_sgpr_workgroup_id_x 1
		.amdhsa_system_sgpr_workgroup_id_y 0
		.amdhsa_system_sgpr_workgroup_id_z 0
		.amdhsa_system_sgpr_workgroup_info 0
		.amdhsa_system_vgpr_workitem_id 0
		.amdhsa_next_free_vgpr 20
		.amdhsa_next_free_sgpr 22
		.amdhsa_reserve_vcc 1
		.amdhsa_float_round_mode_32 0
		.amdhsa_float_round_mode_16_64 0
		.amdhsa_float_denorm_mode_32 3
		.amdhsa_float_denorm_mode_16_64 3
		.amdhsa_dx10_clamp 1
		.amdhsa_ieee_mode 1
		.amdhsa_fp16_overflow 0
		.amdhsa_workgroup_processor_mode 1
		.amdhsa_memory_ordered 1
		.amdhsa_forward_progress 0
		.amdhsa_shared_vgpr_count 0
		.amdhsa_exception_fp_ieee_invalid_op 0
		.amdhsa_exception_fp_denorm_src 0
		.amdhsa_exception_fp_ieee_div_zero 0
		.amdhsa_exception_fp_ieee_overflow 0
		.amdhsa_exception_fp_ieee_underflow 0
		.amdhsa_exception_fp_ieee_inexact 0
		.amdhsa_exception_int_div_zero 0
	.end_amdhsa_kernel
	.section	.text._ZN9rocsparseL20bsrxmvn_17_32_kernelILj18E21rocsparse_complex_numIfEllfS2_S2_EEvT2_20rocsparse_direction_NS_24const_host_device_scalarIT0_EES3_PKS3_PKT1_SC_S9_PKT3_PKT4_S7_PT5_21rocsparse_index_base_b,"axG",@progbits,_ZN9rocsparseL20bsrxmvn_17_32_kernelILj18E21rocsparse_complex_numIfEllfS2_S2_EEvT2_20rocsparse_direction_NS_24const_host_device_scalarIT0_EES3_PKS3_PKT1_SC_S9_PKT3_PKT4_S7_PT5_21rocsparse_index_base_b,comdat
.Lfunc_end417:
	.size	_ZN9rocsparseL20bsrxmvn_17_32_kernelILj18E21rocsparse_complex_numIfEllfS2_S2_EEvT2_20rocsparse_direction_NS_24const_host_device_scalarIT0_EES3_PKS3_PKT1_SC_S9_PKT3_PKT4_S7_PT5_21rocsparse_index_base_b, .Lfunc_end417-_ZN9rocsparseL20bsrxmvn_17_32_kernelILj18E21rocsparse_complex_numIfEllfS2_S2_EEvT2_20rocsparse_direction_NS_24const_host_device_scalarIT0_EES3_PKS3_PKT1_SC_S9_PKT3_PKT4_S7_PT5_21rocsparse_index_base_b
                                        ; -- End function
	.section	.AMDGPU.csdata,"",@progbits
; Kernel info:
; codeLenInByte = 1908
; NumSgprs: 24
; NumVgprs: 20
; ScratchSize: 0
; MemoryBound: 0
; FloatMode: 240
; IeeeMode: 1
; LDSByteSize: 2592 bytes/workgroup (compile time only)
; SGPRBlocks: 2
; VGPRBlocks: 2
; NumSGPRsForWavesPerEU: 24
; NumVGPRsForWavesPerEU: 20
; Occupancy: 14
; WaveLimiterHint : 1
; COMPUTE_PGM_RSRC2:SCRATCH_EN: 0
; COMPUTE_PGM_RSRC2:USER_SGPR: 15
; COMPUTE_PGM_RSRC2:TRAP_HANDLER: 0
; COMPUTE_PGM_RSRC2:TGID_X_EN: 1
; COMPUTE_PGM_RSRC2:TGID_Y_EN: 0
; COMPUTE_PGM_RSRC2:TGID_Z_EN: 0
; COMPUTE_PGM_RSRC2:TIDIG_COMP_CNT: 0
	.section	.text._ZN9rocsparseL20bsrxmvn_17_32_kernelILj19E21rocsparse_complex_numIfEllfS2_S2_EEvT2_20rocsparse_direction_NS_24const_host_device_scalarIT0_EES3_PKS3_PKT1_SC_S9_PKT3_PKT4_S7_PT5_21rocsparse_index_base_b,"axG",@progbits,_ZN9rocsparseL20bsrxmvn_17_32_kernelILj19E21rocsparse_complex_numIfEllfS2_S2_EEvT2_20rocsparse_direction_NS_24const_host_device_scalarIT0_EES3_PKS3_PKT1_SC_S9_PKT3_PKT4_S7_PT5_21rocsparse_index_base_b,comdat
	.globl	_ZN9rocsparseL20bsrxmvn_17_32_kernelILj19E21rocsparse_complex_numIfEllfS2_S2_EEvT2_20rocsparse_direction_NS_24const_host_device_scalarIT0_EES3_PKS3_PKT1_SC_S9_PKT3_PKT4_S7_PT5_21rocsparse_index_base_b ; -- Begin function _ZN9rocsparseL20bsrxmvn_17_32_kernelILj19E21rocsparse_complex_numIfEllfS2_S2_EEvT2_20rocsparse_direction_NS_24const_host_device_scalarIT0_EES3_PKS3_PKT1_SC_S9_PKT3_PKT4_S7_PT5_21rocsparse_index_base_b
	.p2align	8
	.type	_ZN9rocsparseL20bsrxmvn_17_32_kernelILj19E21rocsparse_complex_numIfEllfS2_S2_EEvT2_20rocsparse_direction_NS_24const_host_device_scalarIT0_EES3_PKS3_PKT1_SC_S9_PKT3_PKT4_S7_PT5_21rocsparse_index_base_b,@function
_ZN9rocsparseL20bsrxmvn_17_32_kernelILj19E21rocsparse_complex_numIfEllfS2_S2_EEvT2_20rocsparse_direction_NS_24const_host_device_scalarIT0_EES3_PKS3_PKT1_SC_S9_PKT3_PKT4_S7_PT5_21rocsparse_index_base_b: ; @_ZN9rocsparseL20bsrxmvn_17_32_kernelILj19E21rocsparse_complex_numIfEllfS2_S2_EEvT2_20rocsparse_direction_NS_24const_host_device_scalarIT0_EES3_PKS3_PKT1_SC_S9_PKT3_PKT4_S7_PT5_21rocsparse_index_base_b
; %bb.0:
	s_clause 0x2
	s_load_b64 s[12:13], s[0:1], 0x60
	s_load_b64 s[4:5], s[0:1], 0x10
	;; [unrolled: 1-line block ×3, first 2 shown]
	s_mov_b32 s8, s15
	s_waitcnt lgkmcnt(0)
	s_bitcmp1_b32 s13, 0
	v_mov_b32_e32 v11, s4
	s_cselect_b32 s6, -1, 0
	s_delay_alu instid0(SALU_CYCLE_1)
	s_and_b32 vcc_lo, exec_lo, s6
	s_xor_b32 s6, s6, -1
	s_cbranch_vccz .LBB418_15
; %bb.1:
	v_cndmask_b32_e64 v1, 0, 1, s6
	v_mov_b32_e32 v12, s5
	s_and_not1_b32 vcc_lo, exec_lo, s6
	s_cbranch_vccz .LBB418_16
.LBB418_2:
	s_delay_alu instid0(VALU_DEP_2)
	v_cmp_ne_u32_e32 vcc_lo, 1, v1
	v_mov_b32_e32 v9, s2
	s_cbranch_vccz .LBB418_17
.LBB418_3:
	v_cmp_ne_u32_e32 vcc_lo, 1, v1
	v_mov_b32_e32 v10, s3
	s_cbranch_vccnz .LBB418_5
.LBB418_4:
	v_dual_mov_b32 v1, s2 :: v_dual_mov_b32 v2, s3
	flat_load_b32 v10, v[1:2] offset:4
.LBB418_5:
	s_waitcnt vmcnt(0) lgkmcnt(0)
	v_cmp_eq_f32_e32 vcc_lo, 0, v11
	v_cmp_eq_f32_e64 s2, 0, v12
	s_delay_alu instid0(VALU_DEP_1)
	s_and_b32 s4, vcc_lo, s2
	s_mov_b32 s2, -1
	s_and_saveexec_b32 s3, s4
; %bb.6:
	v_cmp_neq_f32_e32 vcc_lo, 1.0, v9
	v_cmp_neq_f32_e64 s2, 0, v10
	s_delay_alu instid0(VALU_DEP_1) | instskip(NEXT) | instid1(SALU_CYCLE_1)
	s_or_b32 s2, vcc_lo, s2
	s_or_not1_b32 s2, s2, exec_lo
; %bb.7:
	s_or_b32 exec_lo, exec_lo, s3
	s_and_saveexec_b32 s3, s2
	s_cbranch_execz .LBB418_44
; %bb.8:
	s_clause 0x1
	s_load_b128 s[4:7], s[0:1], 0x20
	s_load_b64 s[10:11], s[0:1], 0x30
	s_mov_b32 s9, 0
	s_waitcnt lgkmcnt(0)
	s_cmp_eq_u64 s[4:5], 0
	s_cbranch_scc1 .LBB418_10
; %bb.9:
	s_lshl_b64 s[2:3], s[8:9], 3
	s_delay_alu instid0(SALU_CYCLE_1)
	s_add_u32 s2, s4, s2
	s_addc_u32 s3, s5, s3
	s_load_b64 s[2:3], s[2:3], 0x0
	s_waitcnt lgkmcnt(0)
	s_sub_u32 s8, s2, s12
	s_subb_u32 s9, s3, 0
.LBB418_10:
	s_load_b32 s3, s[0:1], 0x8
	v_mul_u32_u24_e32 v1, 0xd7a, v0
	v_mov_b32_e32 v2, 0
	s_delay_alu instid0(VALU_DEP_2) | instskip(NEXT) | instid1(VALU_DEP_1)
	v_lshrrev_b32_e32 v3, 16, v1
	v_mul_lo_u16 v1, v3, 19
	s_delay_alu instid0(VALU_DEP_1)
	v_sub_nc_u16 v13, v0, v1
	v_mov_b32_e32 v1, 0
	s_waitcnt lgkmcnt(0)
	s_cmp_eq_u32 s3, 1
	s_cselect_b32 s2, -1, 0
	s_cmp_lg_u32 s3, 1
	s_cselect_b32 s3, -1, 0
	s_lshl_b64 s[4:5], s[8:9], 3
	s_delay_alu instid0(SALU_CYCLE_1)
	s_add_u32 s6, s6, s4
	s_addc_u32 s7, s7, s5
	s_add_u32 s13, s6, 8
	s_addc_u32 s14, s7, 0
	s_add_u32 s4, s10, s4
	s_addc_u32 s5, s11, s5
	s_cmp_eq_u64 s[10:11], 0
	s_load_b64 s[10:11], s[0:1], 0x58
	s_cselect_b32 s5, s14, s5
	s_cselect_b32 s4, s13, s4
	s_load_b64 s[16:17], s[6:7], 0x0
	s_load_b64 s[14:15], s[4:5], 0x0
	s_waitcnt lgkmcnt(0)
	v_cmp_ge_i64_e64 s4, s[16:17], s[14:15]
	s_delay_alu instid0(VALU_DEP_1)
	s_and_b32 vcc_lo, exec_lo, s4
	s_cbranch_vccnz .LBB418_18
; %bb.11:
	v_mul_lo_u16 v1, v3, 14
	v_dual_mov_b32 v2, 0 :: v_dual_and_b32 v5, 0xffff, v0
	v_and_b32_e32 v4, 0xffff, v13
	s_clause 0x1
	s_load_b128 s[4:7], s[0:1], 0x38
	s_load_b64 s[18:19], s[0:1], 0x48
	v_lshrrev_b16 v1, 8, v1
	s_sub_u32 s0, s14, s12
	s_subb_u32 s1, s15, 0
	s_sub_u32 s14, s16, s12
	s_subb_u32 s15, s17, 0
	v_mul_lo_u16 v1, v1, 19
	v_lshlrev_b32_e32 v15, 2, v0
	s_mul_hi_u32 s13, s14, 0x5a4
	s_mul_i32 s20, s15, 0x5a4
	s_mul_i32 s21, s14, 0x5a4
	v_sub_nc_u16 v1, v3, v1
	v_mul_u32_u24_e32 v3, 0xb6, v5
	s_add_i32 s13, s13, s20
	s_delay_alu instid0(VALU_DEP_2) | instskip(NEXT) | instid1(VALU_DEP_2)
	v_and_b32_e32 v1, 0xff, v1
	v_lshrrev_b32_e32 v14, 16, v3
	s_delay_alu instid0(VALU_DEP_2) | instskip(NEXT) | instid1(VALU_DEP_2)
	v_cndmask_b32_e64 v1, v4, v1, s2
	v_add_co_u32 v3, s2, s16, v14
	s_delay_alu instid0(VALU_DEP_1) | instskip(NEXT) | instid1(VALU_DEP_3)
	v_add_co_ci_u32_e64 v4, null, s17, 0, s2
	v_lshlrev_b32_e32 v1, 3, v1
	s_delay_alu instid0(VALU_DEP_3) | instskip(NEXT) | instid1(VALU_DEP_3)
	v_sub_co_u32 v5, vcc_lo, v3, s12
	v_subrev_co_ci_u32_e32 v6, vcc_lo, 0, v4, vcc_lo
	s_waitcnt lgkmcnt(0)
	s_add_u32 s2, s6, s21
	v_add_co_u32 v3, s6, s18, v1
	v_mov_b32_e32 v1, v2
	v_lshlrev_b64 v[7:8], 3, v[5:6]
	v_add_co_ci_u32_e64 v4, null, s19, 0, s6
	s_addc_u32 s6, s7, s13
	v_add_co_u32 v5, s2, s2, v15
	s_delay_alu instid0(VALU_DEP_3)
	v_add_co_u32 v7, vcc_lo, s4, v7
	v_add_co_ci_u32_e64 v6, null, s6, 0, s2
	v_add_co_ci_u32_e32 v8, vcc_lo, s5, v8, vcc_lo
	s_set_inst_prefetch_distance 0x1
	s_branch .LBB418_13
	.p2align	6
.LBB418_12:                             ;   in Loop: Header=BB418_13 Depth=1
	s_or_b32 exec_lo, exec_lo, s2
	s_add_u32 s14, s14, 1
	s_addc_u32 s15, s15, 0
	v_add_co_u32 v7, vcc_lo, v7, 8
	v_cmp_lt_i64_e64 s2, s[14:15], s[0:1]
	v_add_co_ci_u32_e32 v8, vcc_lo, 0, v8, vcc_lo
	s_delay_alu instid0(VALU_DEP_2)
	s_and_b32 vcc_lo, exec_lo, s2
	s_cbranch_vccz .LBB418_18
.LBB418_13:                             ; =>This Inner Loop Header: Depth=1
	v_add_co_u32 v15, s2, v14, s14
	s_delay_alu instid0(VALU_DEP_1) | instskip(SKIP_1) | instid1(VALU_DEP_1)
	v_add_co_ci_u32_e64 v16, null, 0, s15, s2
	s_mov_b32 s2, exec_lo
	v_cmpx_gt_i64_e64 s[0:1], v[15:16]
	s_cbranch_execz .LBB418_12
; %bb.14:                               ;   in Loop: Header=BB418_13 Depth=1
	global_load_b64 v[15:16], v[7:8], off
	s_waitcnt vmcnt(0)
	v_sub_co_u32 v17, vcc_lo, v15, s12
	v_subrev_co_ci_u32_e32 v19, vcc_lo, 0, v16, vcc_lo
	s_delay_alu instid0(VALU_DEP_2) | instskip(NEXT) | instid1(VALU_DEP_1)
	v_mad_u64_u32 v[15:16], null, 0x98, v17, v[3:4]
	v_mad_u64_u32 v[17:18], null, 0x98, v19, v[16:17]
	s_delay_alu instid0(VALU_DEP_1)
	v_mov_b32_e32 v16, v17
	global_load_b32 v17, v[5:6], off
	global_load_b64 v[15:16], v[15:16], off
	v_add_co_u32 v5, vcc_lo, 0x5a4, v5
	v_add_co_ci_u32_e32 v6, vcc_lo, 0, v6, vcc_lo
	s_waitcnt vmcnt(0)
	v_fmac_f32_e32 v1, v17, v15
	s_delay_alu instid0(VALU_DEP_1) | instskip(NEXT) | instid1(VALU_DEP_1)
	v_dual_fmac_f32 v2, 0, v15 :: v_dual_fmac_f32 v1, 0x80000000, v16
	v_fmac_f32_e32 v2, v17, v16
	s_branch .LBB418_12
.LBB418_15:
	v_dual_mov_b32 v1, s4 :: v_dual_mov_b32 v2, s5
	flat_load_b32 v11, v[1:2]
	v_cndmask_b32_e64 v1, 0, 1, s6
	v_mov_b32_e32 v12, s5
	s_and_not1_b32 vcc_lo, exec_lo, s6
	s_cbranch_vccnz .LBB418_2
.LBB418_16:
	v_dual_mov_b32 v2, s4 :: v_dual_mov_b32 v3, s5
	flat_load_b32 v12, v[2:3] offset:4
	v_cmp_ne_u32_e32 vcc_lo, 1, v1
	v_mov_b32_e32 v9, s2
	s_cbranch_vccnz .LBB418_3
.LBB418_17:
	v_dual_mov_b32 v2, s2 :: v_dual_mov_b32 v3, s3
	flat_load_b32 v9, v[2:3]
	v_cmp_ne_u32_e32 vcc_lo, 1, v1
	v_mov_b32_e32 v10, s3
	s_cbranch_vccz .LBB418_4
	s_branch .LBB418_5
.LBB418_18:
	s_set_inst_prefetch_distance 0x2
	v_lshlrev_b32_e32 v3, 3, v0
	s_and_b32 vcc_lo, exec_lo, s3
	ds_store_b64 v3, v[1:2]
	s_waitcnt lgkmcnt(0)
	s_barrier
	buffer_gl0_inv
	s_cbranch_vccz .LBB418_30
; %bb.19:
	s_mov_b32 s0, exec_lo
	v_cmpx_gt_u16_e32 3, v13
	s_cbranch_execz .LBB418_21
; %bb.20:
	ds_load_2addr_b64 v[4:7], v3 offset1:16
	s_waitcnt lgkmcnt(0)
	v_dual_add_f32 v4, v6, v4 :: v_dual_add_f32 v5, v7, v5
	ds_store_b64 v3, v[4:5]
.LBB418_21:
	s_or_b32 exec_lo, exec_lo, s0
	s_delay_alu instid0(SALU_CYCLE_1)
	s_mov_b32 s0, exec_lo
	s_waitcnt lgkmcnt(0)
	s_barrier
	buffer_gl0_inv
	v_cmpx_gt_u16_e32 8, v13
	s_cbranch_execz .LBB418_23
; %bb.22:
	ds_load_2addr_b64 v[4:7], v3 offset1:8
	s_waitcnt lgkmcnt(0)
	v_dual_add_f32 v4, v6, v4 :: v_dual_add_f32 v5, v7, v5
	ds_store_b64 v3, v[4:5]
.LBB418_23:
	s_or_b32 exec_lo, exec_lo, s0
	s_delay_alu instid0(SALU_CYCLE_1)
	s_mov_b32 s0, exec_lo
	s_waitcnt lgkmcnt(0)
	s_barrier
	buffer_gl0_inv
	;; [unrolled: 14-line block ×3, first 2 shown]
	v_cmpx_gt_u16_e32 2, v13
	s_cbranch_execz .LBB418_27
; %bb.26:
	ds_load_2addr_b64 v[4:7], v3 offset1:2
	s_waitcnt lgkmcnt(0)
	v_dual_add_f32 v4, v6, v4 :: v_dual_add_f32 v5, v7, v5
	ds_store_b64 v3, v[4:5]
.LBB418_27:
	s_or_b32 exec_lo, exec_lo, s0
	s_mov_b32 s1, 0
	s_mov_b32 s0, 0
	s_mov_b32 s2, exec_lo
	s_waitcnt lgkmcnt(0)
	s_barrier
	buffer_gl0_inv
                                        ; implicit-def: $vgpr5
                                        ; implicit-def: $vgpr4
	v_cmpx_gt_u32_e32 19, v0
	s_xor_b32 s2, exec_lo, s2
; %bb.28:
	v_mul_u32_u24_e32 v4, 19, v0
	s_mov_b32 s0, exec_lo
	s_delay_alu instid0(VALU_DEP_1)
	v_lshlrev_b32_e32 v5, 3, v4
	v_mad_u32_u24 v4, v0, 19, 1
; %bb.29:
	s_or_b32 exec_lo, exec_lo, s2
	s_delay_alu instid0(SALU_CYCLE_1)
	s_and_b32 vcc_lo, exec_lo, s1
	s_cbranch_vccnz .LBB418_31
	s_branch .LBB418_42
.LBB418_30:
	s_mov_b32 s0, 0
                                        ; implicit-def: $vgpr5
                                        ; implicit-def: $vgpr4
	s_cbranch_execz .LBB418_42
.LBB418_31:
	s_mov_b32 s1, exec_lo
	v_cmpx_gt_u32_e32 57, v0
	s_cbranch_execz .LBB418_33
; %bb.32:
	ds_load_b64 v[4:5], v3 offset:2432
	ds_load_b64 v[6:7], v3
	s_waitcnt lgkmcnt(0)
	v_dual_add_f32 v4, v4, v6 :: v_dual_add_f32 v5, v5, v7
	ds_store_b64 v3, v[4:5]
.LBB418_33:
	s_or_b32 exec_lo, exec_lo, s1
	s_delay_alu instid0(SALU_CYCLE_1)
	s_mov_b32 s1, exec_lo
	s_waitcnt lgkmcnt(0)
	s_barrier
	buffer_gl0_inv
	v_cmpx_gt_u32_e32 0x98, v0
	s_cbranch_execz .LBB418_35
; %bb.34:
	ds_load_2addr_b64 v[4:7], v3 offset1:152
	s_waitcnt lgkmcnt(0)
	v_dual_add_f32 v4, v6, v4 :: v_dual_add_f32 v5, v7, v5
	ds_store_b64 v3, v[4:5]
.LBB418_35:
	s_or_b32 exec_lo, exec_lo, s1
	s_delay_alu instid0(SALU_CYCLE_1)
	s_mov_b32 s1, exec_lo
	s_waitcnt lgkmcnt(0)
	s_barrier
	buffer_gl0_inv
	v_cmpx_gt_u32_e32 0x4c, v0
	s_cbranch_execz .LBB418_37
; %bb.36:
	ds_load_2addr_b64 v[4:7], v3 offset1:76
	s_waitcnt lgkmcnt(0)
	v_dual_add_f32 v4, v6, v4 :: v_dual_add_f32 v5, v7, v5
	ds_store_b64 v3, v[4:5]
.LBB418_37:
	;; [unrolled: 14-line block ×3, first 2 shown]
	s_or_b32 exec_lo, exec_lo, s1
	s_delay_alu instid0(SALU_CYCLE_1)
	s_mov_b32 s1, exec_lo
	s_waitcnt lgkmcnt(0)
	buffer_gl0_inv
                                        ; implicit-def: $vgpr4
	v_cmpx_gt_u32_e32 19, v0
; %bb.40:
	v_add_nc_u32_e32 v4, 19, v0
	s_or_b32 s0, s0, exec_lo
                                        ; implicit-def: $vgpr2
; %bb.41:
	s_or_b32 exec_lo, exec_lo, s1
	v_mov_b32_e32 v5, v3
.LBB418_42:
	s_and_saveexec_b32 s1, s0
	s_cbranch_execnz .LBB418_45
; %bb.43:
	s_or_b32 exec_lo, exec_lo, s1
	v_cmp_gt_u32_e32 vcc_lo, 19, v0
	s_and_b32 exec_lo, exec_lo, vcc_lo
	s_cbranch_execnz .LBB418_46
.LBB418_44:
	s_nop 0
	s_sendmsg sendmsg(MSG_DEALLOC_VGPRS)
	s_endpgm
.LBB418_45:
	v_lshlrev_b32_e32 v3, 3, v4
	ds_load_2addr_b32 v[1:2], v5 offset1:1
	ds_load_b64 v[3:4], v3
	s_waitcnt lgkmcnt(0)
	v_dual_add_f32 v2, v4, v2 :: v_dual_add_f32 v1, v3, v1
	s_or_b32 exec_lo, exec_lo, s1
	v_cmp_gt_u32_e32 vcc_lo, 19, v0
	s_and_b32 exec_lo, exec_lo, vcc_lo
	s_cbranch_execz .LBB418_44
.LBB418_46:
	v_mul_f32_e64 v3, v2, -v12
	v_mul_f32_e32 v4, v2, v11
	v_cmp_eq_f32_e32 vcc_lo, 0, v9
	v_cmp_eq_f32_e64 s0, 0, v10
	s_mul_hi_u32 s1, s8, 0x98
	v_fmac_f32_e32 v3, v11, v1
	v_fmac_f32_e32 v4, v12, v1
	s_mul_i32 s2, s8, 0x98
	s_and_b32 s3, vcc_lo, s0
	s_mul_i32 s0, s9, 0x98
	s_and_saveexec_b32 s4, s3
	s_delay_alu instid0(SALU_CYCLE_1)
	s_xor_b32 s3, exec_lo, s4
	s_cbranch_execz .LBB418_48
; %bb.47:
	v_lshlrev_b32_e32 v0, 3, v0
	s_add_i32 s5, s1, s0
	s_add_u32 s4, s10, s2
	s_addc_u32 s5, s11, s5
                                        ; implicit-def: $vgpr9
                                        ; implicit-def: $vgpr10
	global_store_b64 v0, v[3:4], s[4:5]
                                        ; implicit-def: $vgpr0
                                        ; implicit-def: $vgpr3
.LBB418_48:
	s_and_not1_saveexec_b32 s3, s3
	s_cbranch_execz .LBB418_44
; %bb.49:
	v_lshlrev_b32_e32 v2, 3, v0
	s_add_i32 s1, s1, s0
	s_add_u32 s0, s10, s2
	s_addc_u32 s1, s11, s1
	global_load_b64 v[0:1], v2, s[0:1]
	s_waitcnt vmcnt(0)
	v_fmac_f32_e32 v3, v9, v0
	v_fmac_f32_e32 v4, v10, v0
	s_delay_alu instid0(VALU_DEP_2) | instskip(NEXT) | instid1(VALU_DEP_2)
	v_fma_f32 v3, -v10, v1, v3
	v_fmac_f32_e32 v4, v9, v1
	global_store_b64 v2, v[3:4], s[0:1]
	s_nop 0
	s_sendmsg sendmsg(MSG_DEALLOC_VGPRS)
	s_endpgm
	.section	.rodata,"a",@progbits
	.p2align	6, 0x0
	.amdhsa_kernel _ZN9rocsparseL20bsrxmvn_17_32_kernelILj19E21rocsparse_complex_numIfEllfS2_S2_EEvT2_20rocsparse_direction_NS_24const_host_device_scalarIT0_EES3_PKS3_PKT1_SC_S9_PKT3_PKT4_S7_PT5_21rocsparse_index_base_b
		.amdhsa_group_segment_fixed_size 2888
		.amdhsa_private_segment_fixed_size 0
		.amdhsa_kernarg_size 104
		.amdhsa_user_sgpr_count 15
		.amdhsa_user_sgpr_dispatch_ptr 0
		.amdhsa_user_sgpr_queue_ptr 0
		.amdhsa_user_sgpr_kernarg_segment_ptr 1
		.amdhsa_user_sgpr_dispatch_id 0
		.amdhsa_user_sgpr_private_segment_size 0
		.amdhsa_wavefront_size32 1
		.amdhsa_uses_dynamic_stack 0
		.amdhsa_enable_private_segment 0
		.amdhsa_system_sgpr_workgroup_id_x 1
		.amdhsa_system_sgpr_workgroup_id_y 0
		.amdhsa_system_sgpr_workgroup_id_z 0
		.amdhsa_system_sgpr_workgroup_info 0
		.amdhsa_system_vgpr_workitem_id 0
		.amdhsa_next_free_vgpr 20
		.amdhsa_next_free_sgpr 22
		.amdhsa_reserve_vcc 1
		.amdhsa_float_round_mode_32 0
		.amdhsa_float_round_mode_16_64 0
		.amdhsa_float_denorm_mode_32 3
		.amdhsa_float_denorm_mode_16_64 3
		.amdhsa_dx10_clamp 1
		.amdhsa_ieee_mode 1
		.amdhsa_fp16_overflow 0
		.amdhsa_workgroup_processor_mode 1
		.amdhsa_memory_ordered 1
		.amdhsa_forward_progress 0
		.amdhsa_shared_vgpr_count 0
		.amdhsa_exception_fp_ieee_invalid_op 0
		.amdhsa_exception_fp_denorm_src 0
		.amdhsa_exception_fp_ieee_div_zero 0
		.amdhsa_exception_fp_ieee_overflow 0
		.amdhsa_exception_fp_ieee_underflow 0
		.amdhsa_exception_fp_ieee_inexact 0
		.amdhsa_exception_int_div_zero 0
	.end_amdhsa_kernel
	.section	.text._ZN9rocsparseL20bsrxmvn_17_32_kernelILj19E21rocsparse_complex_numIfEllfS2_S2_EEvT2_20rocsparse_direction_NS_24const_host_device_scalarIT0_EES3_PKS3_PKT1_SC_S9_PKT3_PKT4_S7_PT5_21rocsparse_index_base_b,"axG",@progbits,_ZN9rocsparseL20bsrxmvn_17_32_kernelILj19E21rocsparse_complex_numIfEllfS2_S2_EEvT2_20rocsparse_direction_NS_24const_host_device_scalarIT0_EES3_PKS3_PKT1_SC_S9_PKT3_PKT4_S7_PT5_21rocsparse_index_base_b,comdat
.Lfunc_end418:
	.size	_ZN9rocsparseL20bsrxmvn_17_32_kernelILj19E21rocsparse_complex_numIfEllfS2_S2_EEvT2_20rocsparse_direction_NS_24const_host_device_scalarIT0_EES3_PKS3_PKT1_SC_S9_PKT3_PKT4_S7_PT5_21rocsparse_index_base_b, .Lfunc_end418-_ZN9rocsparseL20bsrxmvn_17_32_kernelILj19E21rocsparse_complex_numIfEllfS2_S2_EEvT2_20rocsparse_direction_NS_24const_host_device_scalarIT0_EES3_PKS3_PKT1_SC_S9_PKT3_PKT4_S7_PT5_21rocsparse_index_base_b
                                        ; -- End function
	.section	.AMDGPU.csdata,"",@progbits
; Kernel info:
; codeLenInByte = 1928
; NumSgprs: 24
; NumVgprs: 20
; ScratchSize: 0
; MemoryBound: 0
; FloatMode: 240
; IeeeMode: 1
; LDSByteSize: 2888 bytes/workgroup (compile time only)
; SGPRBlocks: 2
; VGPRBlocks: 2
; NumSGPRsForWavesPerEU: 24
; NumVGPRsForWavesPerEU: 20
; Occupancy: 15
; WaveLimiterHint : 1
; COMPUTE_PGM_RSRC2:SCRATCH_EN: 0
; COMPUTE_PGM_RSRC2:USER_SGPR: 15
; COMPUTE_PGM_RSRC2:TRAP_HANDLER: 0
; COMPUTE_PGM_RSRC2:TGID_X_EN: 1
; COMPUTE_PGM_RSRC2:TGID_Y_EN: 0
; COMPUTE_PGM_RSRC2:TGID_Z_EN: 0
; COMPUTE_PGM_RSRC2:TIDIG_COMP_CNT: 0
	.section	.text._ZN9rocsparseL20bsrxmvn_17_32_kernelILj20E21rocsparse_complex_numIfEllfS2_S2_EEvT2_20rocsparse_direction_NS_24const_host_device_scalarIT0_EES3_PKS3_PKT1_SC_S9_PKT3_PKT4_S7_PT5_21rocsparse_index_base_b,"axG",@progbits,_ZN9rocsparseL20bsrxmvn_17_32_kernelILj20E21rocsparse_complex_numIfEllfS2_S2_EEvT2_20rocsparse_direction_NS_24const_host_device_scalarIT0_EES3_PKS3_PKT1_SC_S9_PKT3_PKT4_S7_PT5_21rocsparse_index_base_b,comdat
	.globl	_ZN9rocsparseL20bsrxmvn_17_32_kernelILj20E21rocsparse_complex_numIfEllfS2_S2_EEvT2_20rocsparse_direction_NS_24const_host_device_scalarIT0_EES3_PKS3_PKT1_SC_S9_PKT3_PKT4_S7_PT5_21rocsparse_index_base_b ; -- Begin function _ZN9rocsparseL20bsrxmvn_17_32_kernelILj20E21rocsparse_complex_numIfEllfS2_S2_EEvT2_20rocsparse_direction_NS_24const_host_device_scalarIT0_EES3_PKS3_PKT1_SC_S9_PKT3_PKT4_S7_PT5_21rocsparse_index_base_b
	.p2align	8
	.type	_ZN9rocsparseL20bsrxmvn_17_32_kernelILj20E21rocsparse_complex_numIfEllfS2_S2_EEvT2_20rocsparse_direction_NS_24const_host_device_scalarIT0_EES3_PKS3_PKT1_SC_S9_PKT3_PKT4_S7_PT5_21rocsparse_index_base_b,@function
_ZN9rocsparseL20bsrxmvn_17_32_kernelILj20E21rocsparse_complex_numIfEllfS2_S2_EEvT2_20rocsparse_direction_NS_24const_host_device_scalarIT0_EES3_PKS3_PKT1_SC_S9_PKT3_PKT4_S7_PT5_21rocsparse_index_base_b: ; @_ZN9rocsparseL20bsrxmvn_17_32_kernelILj20E21rocsparse_complex_numIfEllfS2_S2_EEvT2_20rocsparse_direction_NS_24const_host_device_scalarIT0_EES3_PKS3_PKT1_SC_S9_PKT3_PKT4_S7_PT5_21rocsparse_index_base_b
; %bb.0:
	s_clause 0x2
	s_load_b64 s[12:13], s[0:1], 0x60
	s_load_b64 s[4:5], s[0:1], 0x10
	;; [unrolled: 1-line block ×3, first 2 shown]
	s_mov_b32 s8, s15
	s_waitcnt lgkmcnt(0)
	s_bitcmp1_b32 s13, 0
	v_mov_b32_e32 v11, s4
	s_cselect_b32 s6, -1, 0
	s_delay_alu instid0(SALU_CYCLE_1)
	s_and_b32 vcc_lo, exec_lo, s6
	s_xor_b32 s6, s6, -1
	s_cbranch_vccz .LBB419_15
; %bb.1:
	v_cndmask_b32_e64 v1, 0, 1, s6
	v_mov_b32_e32 v12, s5
	s_and_not1_b32 vcc_lo, exec_lo, s6
	s_cbranch_vccz .LBB419_16
.LBB419_2:
	s_delay_alu instid0(VALU_DEP_2)
	v_cmp_ne_u32_e32 vcc_lo, 1, v1
	v_mov_b32_e32 v9, s2
	s_cbranch_vccz .LBB419_17
.LBB419_3:
	v_cmp_ne_u32_e32 vcc_lo, 1, v1
	v_mov_b32_e32 v10, s3
	s_cbranch_vccnz .LBB419_5
.LBB419_4:
	v_dual_mov_b32 v1, s2 :: v_dual_mov_b32 v2, s3
	flat_load_b32 v10, v[1:2] offset:4
.LBB419_5:
	s_waitcnt vmcnt(0) lgkmcnt(0)
	v_cmp_eq_f32_e32 vcc_lo, 0, v11
	v_cmp_eq_f32_e64 s2, 0, v12
	s_delay_alu instid0(VALU_DEP_1)
	s_and_b32 s4, vcc_lo, s2
	s_mov_b32 s2, -1
	s_and_saveexec_b32 s3, s4
; %bb.6:
	v_cmp_neq_f32_e32 vcc_lo, 1.0, v9
	v_cmp_neq_f32_e64 s2, 0, v10
	s_delay_alu instid0(VALU_DEP_1) | instskip(NEXT) | instid1(SALU_CYCLE_1)
	s_or_b32 s2, vcc_lo, s2
	s_or_not1_b32 s2, s2, exec_lo
; %bb.7:
	s_or_b32 exec_lo, exec_lo, s3
	s_and_saveexec_b32 s3, s2
	s_cbranch_execz .LBB419_44
; %bb.8:
	s_clause 0x1
	s_load_b128 s[4:7], s[0:1], 0x20
	s_load_b64 s[10:11], s[0:1], 0x30
	s_mov_b32 s9, 0
	s_waitcnt lgkmcnt(0)
	s_cmp_eq_u64 s[4:5], 0
	s_cbranch_scc1 .LBB419_10
; %bb.9:
	s_lshl_b64 s[2:3], s[8:9], 3
	s_delay_alu instid0(SALU_CYCLE_1)
	s_add_u32 s2, s4, s2
	s_addc_u32 s3, s5, s3
	s_load_b64 s[2:3], s[2:3], 0x0
	s_waitcnt lgkmcnt(0)
	s_sub_u32 s8, s2, s12
	s_subb_u32 s9, s3, 0
.LBB419_10:
	s_load_b32 s3, s[0:1], 0x8
	v_mul_u32_u24_e32 v1, 0xccd, v0
	v_mov_b32_e32 v2, 0
	s_delay_alu instid0(VALU_DEP_2) | instskip(NEXT) | instid1(VALU_DEP_1)
	v_lshrrev_b32_e32 v3, 16, v1
	v_mul_lo_u16 v1, v3, 20
	s_delay_alu instid0(VALU_DEP_1)
	v_sub_nc_u16 v13, v0, v1
	v_mov_b32_e32 v1, 0
	s_waitcnt lgkmcnt(0)
	s_cmp_eq_u32 s3, 1
	s_cselect_b32 s2, -1, 0
	s_cmp_lg_u32 s3, 1
	s_cselect_b32 s3, -1, 0
	s_lshl_b64 s[4:5], s[8:9], 3
	s_delay_alu instid0(SALU_CYCLE_1)
	s_add_u32 s6, s6, s4
	s_addc_u32 s7, s7, s5
	s_add_u32 s13, s6, 8
	s_addc_u32 s14, s7, 0
	;; [unrolled: 2-line block ×3, first 2 shown]
	s_cmp_eq_u64 s[10:11], 0
	s_load_b64 s[10:11], s[0:1], 0x58
	s_cselect_b32 s5, s14, s5
	s_cselect_b32 s4, s13, s4
	s_load_b64 s[16:17], s[6:7], 0x0
	s_load_b64 s[14:15], s[4:5], 0x0
	s_waitcnt lgkmcnt(0)
	v_cmp_ge_i64_e64 s4, s[16:17], s[14:15]
	s_delay_alu instid0(VALU_DEP_1)
	s_and_b32 vcc_lo, exec_lo, s4
	s_cbranch_vccnz .LBB419_18
; %bb.11:
	v_mul_lo_u16 v1, v3, 13
	v_dual_mov_b32 v2, 0 :: v_dual_and_b32 v5, 0xffff, v0
	v_and_b32_e32 v4, 0xffff, v13
	s_clause 0x1
	s_load_b128 s[4:7], s[0:1], 0x38
	s_load_b64 s[18:19], s[0:1], 0x48
	v_lshrrev_b16 v1, 8, v1
	s_sub_u32 s0, s14, s12
	s_subb_u32 s1, s15, 0
	s_sub_u32 s14, s16, s12
	s_subb_u32 s15, s17, 0
	v_mul_lo_u16 v1, v1, 20
	v_lshlrev_b32_e32 v15, 2, v0
	s_mul_hi_u32 s13, s14, 0x640
	s_mul_i32 s20, s15, 0x640
	s_mul_i32 s21, s14, 0x640
	v_sub_nc_u16 v1, v3, v1
	v_mul_u32_u24_e32 v3, 0xa4, v5
	s_add_i32 s13, s13, s20
	s_delay_alu instid0(VALU_DEP_2) | instskip(NEXT) | instid1(VALU_DEP_2)
	v_and_b32_e32 v1, 0xff, v1
	v_lshrrev_b32_e32 v14, 16, v3
	s_delay_alu instid0(VALU_DEP_2) | instskip(NEXT) | instid1(VALU_DEP_2)
	v_cndmask_b32_e64 v1, v4, v1, s2
	v_add_co_u32 v3, s2, s16, v14
	s_delay_alu instid0(VALU_DEP_1) | instskip(NEXT) | instid1(VALU_DEP_3)
	v_add_co_ci_u32_e64 v4, null, s17, 0, s2
	v_lshlrev_b32_e32 v1, 3, v1
	s_delay_alu instid0(VALU_DEP_3) | instskip(NEXT) | instid1(VALU_DEP_3)
	v_sub_co_u32 v5, vcc_lo, v3, s12
	v_subrev_co_ci_u32_e32 v6, vcc_lo, 0, v4, vcc_lo
	s_waitcnt lgkmcnt(0)
	s_add_u32 s2, s6, s21
	v_add_co_u32 v3, s6, s18, v1
	v_mov_b32_e32 v1, v2
	v_lshlrev_b64 v[7:8], 3, v[5:6]
	v_add_co_ci_u32_e64 v4, null, s19, 0, s6
	s_addc_u32 s6, s7, s13
	v_add_co_u32 v5, s2, s2, v15
	s_delay_alu instid0(VALU_DEP_3)
	v_add_co_u32 v7, vcc_lo, s4, v7
	v_add_co_ci_u32_e64 v6, null, s6, 0, s2
	v_add_co_ci_u32_e32 v8, vcc_lo, s5, v8, vcc_lo
	s_set_inst_prefetch_distance 0x1
	s_branch .LBB419_13
	.p2align	6
.LBB419_12:                             ;   in Loop: Header=BB419_13 Depth=1
	s_or_b32 exec_lo, exec_lo, s2
	s_add_u32 s14, s14, 1
	s_addc_u32 s15, s15, 0
	v_add_co_u32 v7, vcc_lo, v7, 8
	v_cmp_lt_i64_e64 s2, s[14:15], s[0:1]
	v_add_co_ci_u32_e32 v8, vcc_lo, 0, v8, vcc_lo
	s_delay_alu instid0(VALU_DEP_2)
	s_and_b32 vcc_lo, exec_lo, s2
	s_cbranch_vccz .LBB419_18
.LBB419_13:                             ; =>This Inner Loop Header: Depth=1
	v_add_co_u32 v15, s2, v14, s14
	s_delay_alu instid0(VALU_DEP_1) | instskip(SKIP_1) | instid1(VALU_DEP_1)
	v_add_co_ci_u32_e64 v16, null, 0, s15, s2
	s_mov_b32 s2, exec_lo
	v_cmpx_gt_i64_e64 s[0:1], v[15:16]
	s_cbranch_execz .LBB419_12
; %bb.14:                               ;   in Loop: Header=BB419_13 Depth=1
	global_load_b64 v[15:16], v[7:8], off
	s_waitcnt vmcnt(0)
	v_sub_co_u32 v17, vcc_lo, v15, s12
	v_subrev_co_ci_u32_e32 v19, vcc_lo, 0, v16, vcc_lo
	s_delay_alu instid0(VALU_DEP_2) | instskip(NEXT) | instid1(VALU_DEP_1)
	v_mad_u64_u32 v[15:16], null, 0xa0, v17, v[3:4]
	v_mad_u64_u32 v[17:18], null, 0xa0, v19, v[16:17]
	s_delay_alu instid0(VALU_DEP_1)
	v_mov_b32_e32 v16, v17
	global_load_b32 v17, v[5:6], off
	global_load_b64 v[15:16], v[15:16], off
	v_add_co_u32 v5, vcc_lo, 0x640, v5
	v_add_co_ci_u32_e32 v6, vcc_lo, 0, v6, vcc_lo
	s_waitcnt vmcnt(0)
	v_fmac_f32_e32 v1, v17, v15
	s_delay_alu instid0(VALU_DEP_1) | instskip(NEXT) | instid1(VALU_DEP_1)
	v_dual_fmac_f32 v2, 0, v15 :: v_dual_fmac_f32 v1, 0x80000000, v16
	v_fmac_f32_e32 v2, v17, v16
	s_branch .LBB419_12
.LBB419_15:
	v_dual_mov_b32 v1, s4 :: v_dual_mov_b32 v2, s5
	flat_load_b32 v11, v[1:2]
	v_cndmask_b32_e64 v1, 0, 1, s6
	v_mov_b32_e32 v12, s5
	s_and_not1_b32 vcc_lo, exec_lo, s6
	s_cbranch_vccnz .LBB419_2
.LBB419_16:
	v_dual_mov_b32 v2, s4 :: v_dual_mov_b32 v3, s5
	flat_load_b32 v12, v[2:3] offset:4
	v_cmp_ne_u32_e32 vcc_lo, 1, v1
	v_mov_b32_e32 v9, s2
	s_cbranch_vccnz .LBB419_3
.LBB419_17:
	v_dual_mov_b32 v2, s2 :: v_dual_mov_b32 v3, s3
	flat_load_b32 v9, v[2:3]
	v_cmp_ne_u32_e32 vcc_lo, 1, v1
	v_mov_b32_e32 v10, s3
	s_cbranch_vccz .LBB419_4
	s_branch .LBB419_5
.LBB419_18:
	s_set_inst_prefetch_distance 0x2
	v_lshlrev_b32_e32 v3, 3, v0
	s_and_b32 vcc_lo, exec_lo, s3
	ds_store_b64 v3, v[1:2]
	s_waitcnt lgkmcnt(0)
	s_barrier
	buffer_gl0_inv
	s_cbranch_vccz .LBB419_30
; %bb.19:
	v_cmp_gt_u16_e32 vcc_lo, 4, v13
	s_and_saveexec_b32 s0, vcc_lo
	s_cbranch_execz .LBB419_21
; %bb.20:
	ds_load_2addr_b64 v[4:7], v3 offset1:16
	s_waitcnt lgkmcnt(0)
	v_dual_add_f32 v4, v6, v4 :: v_dual_add_f32 v5, v7, v5
	ds_store_b64 v3, v[4:5]
.LBB419_21:
	s_or_b32 exec_lo, exec_lo, s0
	s_delay_alu instid0(SALU_CYCLE_1)
	s_mov_b32 s1, exec_lo
	s_waitcnt lgkmcnt(0)
	s_barrier
	buffer_gl0_inv
	v_cmpx_gt_u16_e32 8, v13
	s_cbranch_execz .LBB419_23
; %bb.22:
	ds_load_2addr_b64 v[4:7], v3 offset1:8
	s_waitcnt lgkmcnt(0)
	v_dual_add_f32 v4, v6, v4 :: v_dual_add_f32 v5, v7, v5
	ds_store_b64 v3, v[4:5]
.LBB419_23:
	s_or_b32 exec_lo, exec_lo, s1
	s_waitcnt lgkmcnt(0)
	s_barrier
	buffer_gl0_inv
	s_and_saveexec_b32 s0, vcc_lo
	s_cbranch_execz .LBB419_25
; %bb.24:
	ds_load_2addr_b64 v[4:7], v3 offset1:4
	s_waitcnt lgkmcnt(0)
	v_dual_add_f32 v4, v6, v4 :: v_dual_add_f32 v5, v7, v5
	ds_store_b64 v3, v[4:5]
.LBB419_25:
	s_or_b32 exec_lo, exec_lo, s0
	s_delay_alu instid0(SALU_CYCLE_1)
	s_mov_b32 s0, exec_lo
	s_waitcnt lgkmcnt(0)
	s_barrier
	buffer_gl0_inv
	v_cmpx_gt_u16_e32 2, v13
	s_cbranch_execz .LBB419_27
; %bb.26:
	ds_load_2addr_b64 v[4:7], v3 offset1:2
	s_waitcnt lgkmcnt(0)
	v_dual_add_f32 v4, v6, v4 :: v_dual_add_f32 v5, v7, v5
	ds_store_b64 v3, v[4:5]
.LBB419_27:
	s_or_b32 exec_lo, exec_lo, s0
	s_mov_b32 s0, 0
	s_mov_b32 s1, 0
	s_mov_b32 s2, exec_lo
	s_waitcnt lgkmcnt(0)
	s_barrier
	buffer_gl0_inv
                                        ; implicit-def: $vgpr5
                                        ; implicit-def: $vgpr4
	v_cmpx_gt_u32_e32 20, v0
	s_xor_b32 s2, exec_lo, s2
; %bb.28:
	v_mul_u32_u24_e32 v4, 20, v0
	s_mov_b32 s1, exec_lo
	s_delay_alu instid0(VALU_DEP_1)
	v_lshlrev_b32_e32 v5, 3, v4
	v_or_b32_e32 v4, 1, v4
; %bb.29:
	s_or_b32 exec_lo, exec_lo, s2
	s_delay_alu instid0(SALU_CYCLE_1)
	s_and_b32 vcc_lo, exec_lo, s0
	s_cbranch_vccnz .LBB419_31
	s_branch .LBB419_42
.LBB419_30:
	s_mov_b32 s1, 0
                                        ; implicit-def: $vgpr5
                                        ; implicit-def: $vgpr4
	s_cbranch_execz .LBB419_42
.LBB419_31:
	v_cmp_gt_u32_e32 vcc_lo, 0x50, v0
	s_and_saveexec_b32 s0, vcc_lo
	s_cbranch_execz .LBB419_33
; %bb.32:
	ds_load_2addr_stride64_b64 v[4:7], v3 offset1:5
	s_waitcnt lgkmcnt(0)
	v_dual_add_f32 v4, v6, v4 :: v_dual_add_f32 v5, v7, v5
	ds_store_b64 v3, v[4:5]
.LBB419_33:
	s_or_b32 exec_lo, exec_lo, s0
	s_delay_alu instid0(SALU_CYCLE_1)
	s_mov_b32 s2, exec_lo
	s_waitcnt lgkmcnt(0)
	s_barrier
	buffer_gl0_inv
	v_cmpx_gt_u32_e32 0xa0, v0
	s_cbranch_execz .LBB419_35
; %bb.34:
	ds_load_2addr_b64 v[4:7], v3 offset1:160
	s_waitcnt lgkmcnt(0)
	v_dual_add_f32 v4, v6, v4 :: v_dual_add_f32 v5, v7, v5
	ds_store_b64 v3, v[4:5]
.LBB419_35:
	s_or_b32 exec_lo, exec_lo, s2
	s_waitcnt lgkmcnt(0)
	s_barrier
	buffer_gl0_inv
	s_and_saveexec_b32 s0, vcc_lo
	s_cbranch_execz .LBB419_37
; %bb.36:
	ds_load_2addr_b64 v[4:7], v3 offset1:80
	s_waitcnt lgkmcnt(0)
	v_dual_add_f32 v4, v6, v4 :: v_dual_add_f32 v5, v7, v5
	ds_store_b64 v3, v[4:5]
.LBB419_37:
	s_or_b32 exec_lo, exec_lo, s0
	s_delay_alu instid0(SALU_CYCLE_1)
	s_mov_b32 s0, exec_lo
	s_waitcnt lgkmcnt(0)
	s_barrier
	buffer_gl0_inv
	v_cmpx_gt_u32_e32 40, v0
	s_cbranch_execz .LBB419_39
; %bb.38:
	ds_load_2addr_b64 v[4:7], v3 offset1:40
	s_waitcnt lgkmcnt(0)
	v_dual_add_f32 v4, v6, v4 :: v_dual_add_f32 v5, v7, v5
	ds_store_b64 v3, v[4:5]
.LBB419_39:
	s_or_b32 exec_lo, exec_lo, s0
	s_delay_alu instid0(SALU_CYCLE_1)
	s_mov_b32 s0, exec_lo
	s_waitcnt lgkmcnt(0)
	buffer_gl0_inv
                                        ; implicit-def: $vgpr4
	v_cmpx_gt_u32_e32 20, v0
; %bb.40:
	v_add_nc_u32_e32 v4, 20, v0
	s_or_b32 s1, s1, exec_lo
                                        ; implicit-def: $vgpr2
; %bb.41:
	s_or_b32 exec_lo, exec_lo, s0
	v_mov_b32_e32 v5, v3
.LBB419_42:
	s_and_saveexec_b32 s0, s1
	s_cbranch_execnz .LBB419_45
; %bb.43:
	s_or_b32 exec_lo, exec_lo, s0
	v_cmp_gt_u32_e32 vcc_lo, 20, v0
	s_and_b32 exec_lo, exec_lo, vcc_lo
	s_cbranch_execnz .LBB419_46
.LBB419_44:
	s_nop 0
	s_sendmsg sendmsg(MSG_DEALLOC_VGPRS)
	s_endpgm
.LBB419_45:
	v_lshlrev_b32_e32 v3, 3, v4
	ds_load_2addr_b32 v[1:2], v5 offset1:1
	ds_load_b64 v[3:4], v3
	s_waitcnt lgkmcnt(0)
	v_dual_add_f32 v2, v4, v2 :: v_dual_add_f32 v1, v3, v1
	s_or_b32 exec_lo, exec_lo, s0
	v_cmp_gt_u32_e32 vcc_lo, 20, v0
	s_and_b32 exec_lo, exec_lo, vcc_lo
	s_cbranch_execz .LBB419_44
.LBB419_46:
	v_mul_f32_e64 v3, v2, -v12
	v_mul_f32_e32 v4, v2, v11
	v_cmp_eq_f32_e32 vcc_lo, 0, v9
	v_cmp_eq_f32_e64 s0, 0, v10
	s_mul_hi_u32 s1, s8, 0xa0
	v_fmac_f32_e32 v3, v11, v1
	v_fmac_f32_e32 v4, v12, v1
	s_mul_i32 s2, s8, 0xa0
	s_and_b32 s3, vcc_lo, s0
	s_mul_i32 s0, s9, 0xa0
	s_and_saveexec_b32 s4, s3
	s_delay_alu instid0(SALU_CYCLE_1)
	s_xor_b32 s3, exec_lo, s4
	s_cbranch_execz .LBB419_48
; %bb.47:
	v_lshlrev_b32_e32 v0, 3, v0
	s_add_i32 s5, s1, s0
	s_add_u32 s4, s10, s2
	s_addc_u32 s5, s11, s5
                                        ; implicit-def: $vgpr9
                                        ; implicit-def: $vgpr10
	global_store_b64 v0, v[3:4], s[4:5]
                                        ; implicit-def: $vgpr0
                                        ; implicit-def: $vgpr3
.LBB419_48:
	s_and_not1_saveexec_b32 s3, s3
	s_cbranch_execz .LBB419_44
; %bb.49:
	v_lshlrev_b32_e32 v2, 3, v0
	s_add_i32 s1, s1, s0
	s_add_u32 s0, s10, s2
	s_addc_u32 s1, s11, s1
	global_load_b64 v[0:1], v2, s[0:1]
	s_waitcnt vmcnt(0)
	v_fmac_f32_e32 v3, v9, v0
	v_fmac_f32_e32 v4, v10, v0
	s_delay_alu instid0(VALU_DEP_2) | instskip(NEXT) | instid1(VALU_DEP_2)
	v_fma_f32 v3, -v10, v1, v3
	v_fmac_f32_e32 v4, v9, v1
	global_store_b64 v2, v[3:4], s[0:1]
	s_nop 0
	s_sendmsg sendmsg(MSG_DEALLOC_VGPRS)
	s_endpgm
	.section	.rodata,"a",@progbits
	.p2align	6, 0x0
	.amdhsa_kernel _ZN9rocsparseL20bsrxmvn_17_32_kernelILj20E21rocsparse_complex_numIfEllfS2_S2_EEvT2_20rocsparse_direction_NS_24const_host_device_scalarIT0_EES3_PKS3_PKT1_SC_S9_PKT3_PKT4_S7_PT5_21rocsparse_index_base_b
		.amdhsa_group_segment_fixed_size 3200
		.amdhsa_private_segment_fixed_size 0
		.amdhsa_kernarg_size 104
		.amdhsa_user_sgpr_count 15
		.amdhsa_user_sgpr_dispatch_ptr 0
		.amdhsa_user_sgpr_queue_ptr 0
		.amdhsa_user_sgpr_kernarg_segment_ptr 1
		.amdhsa_user_sgpr_dispatch_id 0
		.amdhsa_user_sgpr_private_segment_size 0
		.amdhsa_wavefront_size32 1
		.amdhsa_uses_dynamic_stack 0
		.amdhsa_enable_private_segment 0
		.amdhsa_system_sgpr_workgroup_id_x 1
		.amdhsa_system_sgpr_workgroup_id_y 0
		.amdhsa_system_sgpr_workgroup_id_z 0
		.amdhsa_system_sgpr_workgroup_info 0
		.amdhsa_system_vgpr_workitem_id 0
		.amdhsa_next_free_vgpr 20
		.amdhsa_next_free_sgpr 22
		.amdhsa_reserve_vcc 1
		.amdhsa_float_round_mode_32 0
		.amdhsa_float_round_mode_16_64 0
		.amdhsa_float_denorm_mode_32 3
		.amdhsa_float_denorm_mode_16_64 3
		.amdhsa_dx10_clamp 1
		.amdhsa_ieee_mode 1
		.amdhsa_fp16_overflow 0
		.amdhsa_workgroup_processor_mode 1
		.amdhsa_memory_ordered 1
		.amdhsa_forward_progress 0
		.amdhsa_shared_vgpr_count 0
		.amdhsa_exception_fp_ieee_invalid_op 0
		.amdhsa_exception_fp_denorm_src 0
		.amdhsa_exception_fp_ieee_div_zero 0
		.amdhsa_exception_fp_ieee_overflow 0
		.amdhsa_exception_fp_ieee_underflow 0
		.amdhsa_exception_fp_ieee_inexact 0
		.amdhsa_exception_int_div_zero 0
	.end_amdhsa_kernel
	.section	.text._ZN9rocsparseL20bsrxmvn_17_32_kernelILj20E21rocsparse_complex_numIfEllfS2_S2_EEvT2_20rocsparse_direction_NS_24const_host_device_scalarIT0_EES3_PKS3_PKT1_SC_S9_PKT3_PKT4_S7_PT5_21rocsparse_index_base_b,"axG",@progbits,_ZN9rocsparseL20bsrxmvn_17_32_kernelILj20E21rocsparse_complex_numIfEllfS2_S2_EEvT2_20rocsparse_direction_NS_24const_host_device_scalarIT0_EES3_PKS3_PKT1_SC_S9_PKT3_PKT4_S7_PT5_21rocsparse_index_base_b,comdat
.Lfunc_end419:
	.size	_ZN9rocsparseL20bsrxmvn_17_32_kernelILj20E21rocsparse_complex_numIfEllfS2_S2_EEvT2_20rocsparse_direction_NS_24const_host_device_scalarIT0_EES3_PKS3_PKT1_SC_S9_PKT3_PKT4_S7_PT5_21rocsparse_index_base_b, .Lfunc_end419-_ZN9rocsparseL20bsrxmvn_17_32_kernelILj20E21rocsparse_complex_numIfEllfS2_S2_EEvT2_20rocsparse_direction_NS_24const_host_device_scalarIT0_EES3_PKS3_PKT1_SC_S9_PKT3_PKT4_S7_PT5_21rocsparse_index_base_b
                                        ; -- End function
	.section	.AMDGPU.csdata,"",@progbits
; Kernel info:
; codeLenInByte = 1900
; NumSgprs: 24
; NumVgprs: 20
; ScratchSize: 0
; MemoryBound: 0
; FloatMode: 240
; IeeeMode: 1
; LDSByteSize: 3200 bytes/workgroup (compile time only)
; SGPRBlocks: 2
; VGPRBlocks: 2
; NumSGPRsForWavesPerEU: 24
; NumVGPRsForWavesPerEU: 20
; Occupancy: 13
; WaveLimiterHint : 1
; COMPUTE_PGM_RSRC2:SCRATCH_EN: 0
; COMPUTE_PGM_RSRC2:USER_SGPR: 15
; COMPUTE_PGM_RSRC2:TRAP_HANDLER: 0
; COMPUTE_PGM_RSRC2:TGID_X_EN: 1
; COMPUTE_PGM_RSRC2:TGID_Y_EN: 0
; COMPUTE_PGM_RSRC2:TGID_Z_EN: 0
; COMPUTE_PGM_RSRC2:TIDIG_COMP_CNT: 0
	.section	.text._ZN9rocsparseL20bsrxmvn_17_32_kernelILj21E21rocsparse_complex_numIfEllfS2_S2_EEvT2_20rocsparse_direction_NS_24const_host_device_scalarIT0_EES3_PKS3_PKT1_SC_S9_PKT3_PKT4_S7_PT5_21rocsparse_index_base_b,"axG",@progbits,_ZN9rocsparseL20bsrxmvn_17_32_kernelILj21E21rocsparse_complex_numIfEllfS2_S2_EEvT2_20rocsparse_direction_NS_24const_host_device_scalarIT0_EES3_PKS3_PKT1_SC_S9_PKT3_PKT4_S7_PT5_21rocsparse_index_base_b,comdat
	.globl	_ZN9rocsparseL20bsrxmvn_17_32_kernelILj21E21rocsparse_complex_numIfEllfS2_S2_EEvT2_20rocsparse_direction_NS_24const_host_device_scalarIT0_EES3_PKS3_PKT1_SC_S9_PKT3_PKT4_S7_PT5_21rocsparse_index_base_b ; -- Begin function _ZN9rocsparseL20bsrxmvn_17_32_kernelILj21E21rocsparse_complex_numIfEllfS2_S2_EEvT2_20rocsparse_direction_NS_24const_host_device_scalarIT0_EES3_PKS3_PKT1_SC_S9_PKT3_PKT4_S7_PT5_21rocsparse_index_base_b
	.p2align	8
	.type	_ZN9rocsparseL20bsrxmvn_17_32_kernelILj21E21rocsparse_complex_numIfEllfS2_S2_EEvT2_20rocsparse_direction_NS_24const_host_device_scalarIT0_EES3_PKS3_PKT1_SC_S9_PKT3_PKT4_S7_PT5_21rocsparse_index_base_b,@function
_ZN9rocsparseL20bsrxmvn_17_32_kernelILj21E21rocsparse_complex_numIfEllfS2_S2_EEvT2_20rocsparse_direction_NS_24const_host_device_scalarIT0_EES3_PKS3_PKT1_SC_S9_PKT3_PKT4_S7_PT5_21rocsparse_index_base_b: ; @_ZN9rocsparseL20bsrxmvn_17_32_kernelILj21E21rocsparse_complex_numIfEllfS2_S2_EEvT2_20rocsparse_direction_NS_24const_host_device_scalarIT0_EES3_PKS3_PKT1_SC_S9_PKT3_PKT4_S7_PT5_21rocsparse_index_base_b
; %bb.0:
	s_clause 0x2
	s_load_b64 s[12:13], s[0:1], 0x60
	s_load_b64 s[4:5], s[0:1], 0x10
	;; [unrolled: 1-line block ×3, first 2 shown]
	s_mov_b32 s8, s15
	s_waitcnt lgkmcnt(0)
	s_bitcmp1_b32 s13, 0
	v_mov_b32_e32 v11, s4
	s_cselect_b32 s6, -1, 0
	s_delay_alu instid0(SALU_CYCLE_1)
	s_and_b32 vcc_lo, exec_lo, s6
	s_xor_b32 s6, s6, -1
	s_cbranch_vccz .LBB420_15
; %bb.1:
	v_cndmask_b32_e64 v1, 0, 1, s6
	v_mov_b32_e32 v12, s5
	s_and_not1_b32 vcc_lo, exec_lo, s6
	s_cbranch_vccz .LBB420_16
.LBB420_2:
	s_delay_alu instid0(VALU_DEP_2)
	v_cmp_ne_u32_e32 vcc_lo, 1, v1
	v_mov_b32_e32 v9, s2
	s_cbranch_vccz .LBB420_17
.LBB420_3:
	v_cmp_ne_u32_e32 vcc_lo, 1, v1
	v_mov_b32_e32 v10, s3
	s_cbranch_vccnz .LBB420_5
.LBB420_4:
	v_dual_mov_b32 v1, s2 :: v_dual_mov_b32 v2, s3
	flat_load_b32 v10, v[1:2] offset:4
.LBB420_5:
	s_waitcnt vmcnt(0) lgkmcnt(0)
	v_cmp_eq_f32_e32 vcc_lo, 0, v11
	v_cmp_eq_f32_e64 s2, 0, v12
	s_delay_alu instid0(VALU_DEP_1)
	s_and_b32 s4, vcc_lo, s2
	s_mov_b32 s2, -1
	s_and_saveexec_b32 s3, s4
; %bb.6:
	v_cmp_neq_f32_e32 vcc_lo, 1.0, v9
	v_cmp_neq_f32_e64 s2, 0, v10
	s_delay_alu instid0(VALU_DEP_1) | instskip(NEXT) | instid1(SALU_CYCLE_1)
	s_or_b32 s2, vcc_lo, s2
	s_or_not1_b32 s2, s2, exec_lo
; %bb.7:
	s_or_b32 exec_lo, exec_lo, s3
	s_and_saveexec_b32 s3, s2
	s_cbranch_execz .LBB420_44
; %bb.8:
	s_clause 0x1
	s_load_b128 s[4:7], s[0:1], 0x20
	s_load_b64 s[10:11], s[0:1], 0x30
	s_mov_b32 s9, 0
	s_waitcnt lgkmcnt(0)
	s_cmp_eq_u64 s[4:5], 0
	s_cbranch_scc1 .LBB420_10
; %bb.9:
	s_lshl_b64 s[2:3], s[8:9], 3
	s_delay_alu instid0(SALU_CYCLE_1)
	s_add_u32 s2, s4, s2
	s_addc_u32 s3, s5, s3
	s_load_b64 s[2:3], s[2:3], 0x0
	s_waitcnt lgkmcnt(0)
	s_sub_u32 s8, s2, s12
	s_subb_u32 s9, s3, 0
.LBB420_10:
	s_load_b32 s3, s[0:1], 0x8
	v_mul_u32_u24_e32 v1, 0xc31, v0
	v_mov_b32_e32 v2, 0
	s_delay_alu instid0(VALU_DEP_2) | instskip(NEXT) | instid1(VALU_DEP_1)
	v_lshrrev_b32_e32 v3, 16, v1
	v_mul_lo_u16 v1, v3, 21
	s_delay_alu instid0(VALU_DEP_1)
	v_sub_nc_u16 v13, v0, v1
	v_mov_b32_e32 v1, 0
	s_waitcnt lgkmcnt(0)
	s_cmp_eq_u32 s3, 1
	s_cselect_b32 s2, -1, 0
	s_cmp_lg_u32 s3, 1
	s_cselect_b32 s3, -1, 0
	s_lshl_b64 s[4:5], s[8:9], 3
	s_delay_alu instid0(SALU_CYCLE_1)
	s_add_u32 s6, s6, s4
	s_addc_u32 s7, s7, s5
	s_add_u32 s13, s6, 8
	s_addc_u32 s14, s7, 0
	;; [unrolled: 2-line block ×3, first 2 shown]
	s_cmp_eq_u64 s[10:11], 0
	s_load_b64 s[10:11], s[0:1], 0x58
	s_cselect_b32 s5, s14, s5
	s_cselect_b32 s4, s13, s4
	s_load_b64 s[16:17], s[6:7], 0x0
	s_load_b64 s[14:15], s[4:5], 0x0
	s_waitcnt lgkmcnt(0)
	v_cmp_ge_i64_e64 s4, s[16:17], s[14:15]
	s_delay_alu instid0(VALU_DEP_1)
	s_and_b32 vcc_lo, exec_lo, s4
	s_cbranch_vccnz .LBB420_18
; %bb.11:
	v_mul_lo_u16 v1, v3, 25
	v_dual_mov_b32 v2, 0 :: v_dual_and_b32 v5, 0xffff, v0
	v_and_b32_e32 v4, 0xffff, v13
	s_clause 0x1
	s_load_b128 s[4:7], s[0:1], 0x38
	s_load_b64 s[18:19], s[0:1], 0x48
	v_lshrrev_b16 v1, 9, v1
	s_sub_u32 s0, s14, s12
	s_subb_u32 s1, s15, 0
	s_sub_u32 s14, s16, s12
	s_subb_u32 s15, s17, 0
	v_mul_lo_u16 v1, v1, 21
	v_lshlrev_b32_e32 v15, 2, v0
	s_mul_hi_u32 s13, s14, 0x6e4
	s_mul_i32 s20, s15, 0x6e4
	s_mul_i32 s21, s14, 0x6e4
	v_sub_nc_u16 v1, v3, v1
	v_mul_u32_u24_e32 v3, 0x253, v5
	s_add_i32 s13, s13, s20
	s_delay_alu instid0(VALU_DEP_2) | instskip(NEXT) | instid1(VALU_DEP_2)
	v_and_b32_e32 v1, 0xff, v1
	v_lshrrev_b32_e32 v14, 18, v3
	s_delay_alu instid0(VALU_DEP_2) | instskip(NEXT) | instid1(VALU_DEP_2)
	v_cndmask_b32_e64 v1, v4, v1, s2
	v_add_co_u32 v3, s2, s16, v14
	s_delay_alu instid0(VALU_DEP_1) | instskip(NEXT) | instid1(VALU_DEP_3)
	v_add_co_ci_u32_e64 v4, null, s17, 0, s2
	v_lshlrev_b32_e32 v1, 3, v1
	s_delay_alu instid0(VALU_DEP_3) | instskip(NEXT) | instid1(VALU_DEP_3)
	v_sub_co_u32 v5, vcc_lo, v3, s12
	v_subrev_co_ci_u32_e32 v6, vcc_lo, 0, v4, vcc_lo
	s_waitcnt lgkmcnt(0)
	s_add_u32 s2, s6, s21
	v_add_co_u32 v3, s6, s18, v1
	v_mov_b32_e32 v1, v2
	v_lshlrev_b64 v[7:8], 3, v[5:6]
	v_add_co_ci_u32_e64 v4, null, s19, 0, s6
	s_addc_u32 s6, s7, s13
	v_add_co_u32 v5, s2, s2, v15
	s_delay_alu instid0(VALU_DEP_3)
	v_add_co_u32 v7, vcc_lo, s4, v7
	v_add_co_ci_u32_e64 v6, null, s6, 0, s2
	v_add_co_ci_u32_e32 v8, vcc_lo, s5, v8, vcc_lo
	s_set_inst_prefetch_distance 0x1
	s_branch .LBB420_13
	.p2align	6
.LBB420_12:                             ;   in Loop: Header=BB420_13 Depth=1
	s_or_b32 exec_lo, exec_lo, s2
	s_add_u32 s14, s14, 1
	s_addc_u32 s15, s15, 0
	v_add_co_u32 v7, vcc_lo, v7, 8
	v_cmp_lt_i64_e64 s2, s[14:15], s[0:1]
	v_add_co_ci_u32_e32 v8, vcc_lo, 0, v8, vcc_lo
	s_delay_alu instid0(VALU_DEP_2)
	s_and_b32 vcc_lo, exec_lo, s2
	s_cbranch_vccz .LBB420_18
.LBB420_13:                             ; =>This Inner Loop Header: Depth=1
	v_add_co_u32 v15, s2, v14, s14
	s_delay_alu instid0(VALU_DEP_1) | instskip(SKIP_1) | instid1(VALU_DEP_1)
	v_add_co_ci_u32_e64 v16, null, 0, s15, s2
	s_mov_b32 s2, exec_lo
	v_cmpx_gt_i64_e64 s[0:1], v[15:16]
	s_cbranch_execz .LBB420_12
; %bb.14:                               ;   in Loop: Header=BB420_13 Depth=1
	global_load_b64 v[15:16], v[7:8], off
	s_waitcnt vmcnt(0)
	v_sub_co_u32 v17, vcc_lo, v15, s12
	v_subrev_co_ci_u32_e32 v19, vcc_lo, 0, v16, vcc_lo
	s_delay_alu instid0(VALU_DEP_2) | instskip(NEXT) | instid1(VALU_DEP_1)
	v_mad_u64_u32 v[15:16], null, 0xa8, v17, v[3:4]
	v_mad_u64_u32 v[17:18], null, 0xa8, v19, v[16:17]
	s_delay_alu instid0(VALU_DEP_1)
	v_mov_b32_e32 v16, v17
	global_load_b32 v17, v[5:6], off
	global_load_b64 v[15:16], v[15:16], off
	v_add_co_u32 v5, vcc_lo, 0x6e4, v5
	v_add_co_ci_u32_e32 v6, vcc_lo, 0, v6, vcc_lo
	s_waitcnt vmcnt(0)
	v_fmac_f32_e32 v1, v17, v15
	s_delay_alu instid0(VALU_DEP_1) | instskip(NEXT) | instid1(VALU_DEP_1)
	v_dual_fmac_f32 v2, 0, v15 :: v_dual_fmac_f32 v1, 0x80000000, v16
	v_fmac_f32_e32 v2, v17, v16
	s_branch .LBB420_12
.LBB420_15:
	v_dual_mov_b32 v1, s4 :: v_dual_mov_b32 v2, s5
	flat_load_b32 v11, v[1:2]
	v_cndmask_b32_e64 v1, 0, 1, s6
	v_mov_b32_e32 v12, s5
	s_and_not1_b32 vcc_lo, exec_lo, s6
	s_cbranch_vccnz .LBB420_2
.LBB420_16:
	v_dual_mov_b32 v2, s4 :: v_dual_mov_b32 v3, s5
	flat_load_b32 v12, v[2:3] offset:4
	v_cmp_ne_u32_e32 vcc_lo, 1, v1
	v_mov_b32_e32 v9, s2
	s_cbranch_vccnz .LBB420_3
.LBB420_17:
	v_dual_mov_b32 v2, s2 :: v_dual_mov_b32 v3, s3
	flat_load_b32 v9, v[2:3]
	v_cmp_ne_u32_e32 vcc_lo, 1, v1
	v_mov_b32_e32 v10, s3
	s_cbranch_vccz .LBB420_4
	s_branch .LBB420_5
.LBB420_18:
	s_set_inst_prefetch_distance 0x2
	v_lshlrev_b32_e32 v3, 3, v0
	s_and_b32 vcc_lo, exec_lo, s3
	ds_store_b64 v3, v[1:2]
	s_waitcnt lgkmcnt(0)
	s_barrier
	buffer_gl0_inv
	s_cbranch_vccz .LBB420_30
; %bb.19:
	s_mov_b32 s0, exec_lo
	v_cmpx_gt_u16_e32 5, v13
	s_cbranch_execz .LBB420_21
; %bb.20:
	ds_load_2addr_b64 v[4:7], v3 offset1:16
	s_waitcnt lgkmcnt(0)
	v_dual_add_f32 v4, v6, v4 :: v_dual_add_f32 v5, v7, v5
	ds_store_b64 v3, v[4:5]
.LBB420_21:
	s_or_b32 exec_lo, exec_lo, s0
	s_delay_alu instid0(SALU_CYCLE_1)
	s_mov_b32 s0, exec_lo
	s_waitcnt lgkmcnt(0)
	s_barrier
	buffer_gl0_inv
	v_cmpx_gt_u16_e32 8, v13
	s_cbranch_execz .LBB420_23
; %bb.22:
	ds_load_2addr_b64 v[4:7], v3 offset1:8
	s_waitcnt lgkmcnt(0)
	v_dual_add_f32 v4, v6, v4 :: v_dual_add_f32 v5, v7, v5
	ds_store_b64 v3, v[4:5]
.LBB420_23:
	s_or_b32 exec_lo, exec_lo, s0
	s_delay_alu instid0(SALU_CYCLE_1)
	s_mov_b32 s0, exec_lo
	s_waitcnt lgkmcnt(0)
	s_barrier
	buffer_gl0_inv
	;; [unrolled: 14-line block ×3, first 2 shown]
	v_cmpx_gt_u16_e32 2, v13
	s_cbranch_execz .LBB420_27
; %bb.26:
	ds_load_2addr_b64 v[4:7], v3 offset1:2
	s_waitcnt lgkmcnt(0)
	v_dual_add_f32 v4, v6, v4 :: v_dual_add_f32 v5, v7, v5
	ds_store_b64 v3, v[4:5]
.LBB420_27:
	s_or_b32 exec_lo, exec_lo, s0
	s_mov_b32 s1, 0
	s_mov_b32 s0, 0
	s_mov_b32 s2, exec_lo
	s_waitcnt lgkmcnt(0)
	s_barrier
	buffer_gl0_inv
                                        ; implicit-def: $vgpr5
                                        ; implicit-def: $vgpr4
	v_cmpx_gt_u32_e32 21, v0
	s_xor_b32 s2, exec_lo, s2
; %bb.28:
	v_mul_u32_u24_e32 v4, 21, v0
	s_mov_b32 s0, exec_lo
	s_delay_alu instid0(VALU_DEP_1)
	v_lshlrev_b32_e32 v5, 3, v4
	v_mad_u32_u24 v4, v0, 21, 1
; %bb.29:
	s_or_b32 exec_lo, exec_lo, s2
	s_delay_alu instid0(SALU_CYCLE_1)
	s_and_b32 vcc_lo, exec_lo, s1
	s_cbranch_vccnz .LBB420_31
	s_branch .LBB420_42
.LBB420_30:
	s_mov_b32 s0, 0
                                        ; implicit-def: $vgpr5
                                        ; implicit-def: $vgpr4
	s_cbranch_execz .LBB420_42
.LBB420_31:
	s_mov_b32 s1, exec_lo
	v_cmpx_gt_u32_e32 0x69, v0
	s_cbranch_execz .LBB420_33
; %bb.32:
	ds_load_b64 v[4:5], v3 offset:2688
	ds_load_b64 v[6:7], v3
	s_waitcnt lgkmcnt(0)
	v_dual_add_f32 v4, v4, v6 :: v_dual_add_f32 v5, v5, v7
	ds_store_b64 v3, v[4:5]
.LBB420_33:
	s_or_b32 exec_lo, exec_lo, s1
	s_delay_alu instid0(SALU_CYCLE_1)
	s_mov_b32 s1, exec_lo
	s_waitcnt lgkmcnt(0)
	s_barrier
	buffer_gl0_inv
	v_cmpx_gt_u32_e32 0xa8, v0
	s_cbranch_execz .LBB420_35
; %bb.34:
	ds_load_2addr_b64 v[4:7], v3 offset1:168
	s_waitcnt lgkmcnt(0)
	v_dual_add_f32 v4, v6, v4 :: v_dual_add_f32 v5, v7, v5
	ds_store_b64 v3, v[4:5]
.LBB420_35:
	s_or_b32 exec_lo, exec_lo, s1
	s_delay_alu instid0(SALU_CYCLE_1)
	s_mov_b32 s1, exec_lo
	s_waitcnt lgkmcnt(0)
	s_barrier
	buffer_gl0_inv
	v_cmpx_gt_u32_e32 0x54, v0
	s_cbranch_execz .LBB420_37
; %bb.36:
	ds_load_2addr_b64 v[4:7], v3 offset1:84
	s_waitcnt lgkmcnt(0)
	v_dual_add_f32 v4, v6, v4 :: v_dual_add_f32 v5, v7, v5
	ds_store_b64 v3, v[4:5]
.LBB420_37:
	;; [unrolled: 14-line block ×3, first 2 shown]
	s_or_b32 exec_lo, exec_lo, s1
	s_delay_alu instid0(SALU_CYCLE_1)
	s_mov_b32 s1, exec_lo
	s_waitcnt lgkmcnt(0)
	buffer_gl0_inv
                                        ; implicit-def: $vgpr4
	v_cmpx_gt_u32_e32 21, v0
; %bb.40:
	v_add_nc_u32_e32 v4, 21, v0
	s_or_b32 s0, s0, exec_lo
                                        ; implicit-def: $vgpr2
; %bb.41:
	s_or_b32 exec_lo, exec_lo, s1
	v_mov_b32_e32 v5, v3
.LBB420_42:
	s_and_saveexec_b32 s1, s0
	s_cbranch_execnz .LBB420_45
; %bb.43:
	s_or_b32 exec_lo, exec_lo, s1
	v_cmp_gt_u32_e32 vcc_lo, 21, v0
	s_and_b32 exec_lo, exec_lo, vcc_lo
	s_cbranch_execnz .LBB420_46
.LBB420_44:
	s_nop 0
	s_sendmsg sendmsg(MSG_DEALLOC_VGPRS)
	s_endpgm
.LBB420_45:
	v_lshlrev_b32_e32 v3, 3, v4
	ds_load_2addr_b32 v[1:2], v5 offset1:1
	ds_load_b64 v[3:4], v3
	s_waitcnt lgkmcnt(0)
	v_dual_add_f32 v2, v4, v2 :: v_dual_add_f32 v1, v3, v1
	s_or_b32 exec_lo, exec_lo, s1
	v_cmp_gt_u32_e32 vcc_lo, 21, v0
	s_and_b32 exec_lo, exec_lo, vcc_lo
	s_cbranch_execz .LBB420_44
.LBB420_46:
	v_mul_f32_e64 v3, v2, -v12
	v_mul_f32_e32 v4, v2, v11
	v_cmp_eq_f32_e32 vcc_lo, 0, v9
	v_cmp_eq_f32_e64 s0, 0, v10
	s_mul_hi_u32 s1, s8, 0xa8
	v_fmac_f32_e32 v3, v11, v1
	v_fmac_f32_e32 v4, v12, v1
	s_mul_i32 s2, s8, 0xa8
	s_and_b32 s3, vcc_lo, s0
	s_mul_i32 s0, s9, 0xa8
	s_and_saveexec_b32 s4, s3
	s_delay_alu instid0(SALU_CYCLE_1)
	s_xor_b32 s3, exec_lo, s4
	s_cbranch_execz .LBB420_48
; %bb.47:
	v_lshlrev_b32_e32 v0, 3, v0
	s_add_i32 s5, s1, s0
	s_add_u32 s4, s10, s2
	s_addc_u32 s5, s11, s5
                                        ; implicit-def: $vgpr9
                                        ; implicit-def: $vgpr10
	global_store_b64 v0, v[3:4], s[4:5]
                                        ; implicit-def: $vgpr0
                                        ; implicit-def: $vgpr3
.LBB420_48:
	s_and_not1_saveexec_b32 s3, s3
	s_cbranch_execz .LBB420_44
; %bb.49:
	v_lshlrev_b32_e32 v2, 3, v0
	s_add_i32 s1, s1, s0
	s_add_u32 s0, s10, s2
	s_addc_u32 s1, s11, s1
	global_load_b64 v[0:1], v2, s[0:1]
	s_waitcnt vmcnt(0)
	v_fmac_f32_e32 v3, v9, v0
	v_fmac_f32_e32 v4, v10, v0
	s_delay_alu instid0(VALU_DEP_2) | instskip(NEXT) | instid1(VALU_DEP_2)
	v_fma_f32 v3, -v10, v1, v3
	v_fmac_f32_e32 v4, v9, v1
	global_store_b64 v2, v[3:4], s[0:1]
	s_nop 0
	s_sendmsg sendmsg(MSG_DEALLOC_VGPRS)
	s_endpgm
	.section	.rodata,"a",@progbits
	.p2align	6, 0x0
	.amdhsa_kernel _ZN9rocsparseL20bsrxmvn_17_32_kernelILj21E21rocsparse_complex_numIfEllfS2_S2_EEvT2_20rocsparse_direction_NS_24const_host_device_scalarIT0_EES3_PKS3_PKT1_SC_S9_PKT3_PKT4_S7_PT5_21rocsparse_index_base_b
		.amdhsa_group_segment_fixed_size 3528
		.amdhsa_private_segment_fixed_size 0
		.amdhsa_kernarg_size 104
		.amdhsa_user_sgpr_count 15
		.amdhsa_user_sgpr_dispatch_ptr 0
		.amdhsa_user_sgpr_queue_ptr 0
		.amdhsa_user_sgpr_kernarg_segment_ptr 1
		.amdhsa_user_sgpr_dispatch_id 0
		.amdhsa_user_sgpr_private_segment_size 0
		.amdhsa_wavefront_size32 1
		.amdhsa_uses_dynamic_stack 0
		.amdhsa_enable_private_segment 0
		.amdhsa_system_sgpr_workgroup_id_x 1
		.amdhsa_system_sgpr_workgroup_id_y 0
		.amdhsa_system_sgpr_workgroup_id_z 0
		.amdhsa_system_sgpr_workgroup_info 0
		.amdhsa_system_vgpr_workitem_id 0
		.amdhsa_next_free_vgpr 20
		.amdhsa_next_free_sgpr 22
		.amdhsa_reserve_vcc 1
		.amdhsa_float_round_mode_32 0
		.amdhsa_float_round_mode_16_64 0
		.amdhsa_float_denorm_mode_32 3
		.amdhsa_float_denorm_mode_16_64 3
		.amdhsa_dx10_clamp 1
		.amdhsa_ieee_mode 1
		.amdhsa_fp16_overflow 0
		.amdhsa_workgroup_processor_mode 1
		.amdhsa_memory_ordered 1
		.amdhsa_forward_progress 0
		.amdhsa_shared_vgpr_count 0
		.amdhsa_exception_fp_ieee_invalid_op 0
		.amdhsa_exception_fp_denorm_src 0
		.amdhsa_exception_fp_ieee_div_zero 0
		.amdhsa_exception_fp_ieee_overflow 0
		.amdhsa_exception_fp_ieee_underflow 0
		.amdhsa_exception_fp_ieee_inexact 0
		.amdhsa_exception_int_div_zero 0
	.end_amdhsa_kernel
	.section	.text._ZN9rocsparseL20bsrxmvn_17_32_kernelILj21E21rocsparse_complex_numIfEllfS2_S2_EEvT2_20rocsparse_direction_NS_24const_host_device_scalarIT0_EES3_PKS3_PKT1_SC_S9_PKT3_PKT4_S7_PT5_21rocsparse_index_base_b,"axG",@progbits,_ZN9rocsparseL20bsrxmvn_17_32_kernelILj21E21rocsparse_complex_numIfEllfS2_S2_EEvT2_20rocsparse_direction_NS_24const_host_device_scalarIT0_EES3_PKS3_PKT1_SC_S9_PKT3_PKT4_S7_PT5_21rocsparse_index_base_b,comdat
.Lfunc_end420:
	.size	_ZN9rocsparseL20bsrxmvn_17_32_kernelILj21E21rocsparse_complex_numIfEllfS2_S2_EEvT2_20rocsparse_direction_NS_24const_host_device_scalarIT0_EES3_PKS3_PKT1_SC_S9_PKT3_PKT4_S7_PT5_21rocsparse_index_base_b, .Lfunc_end420-_ZN9rocsparseL20bsrxmvn_17_32_kernelILj21E21rocsparse_complex_numIfEllfS2_S2_EEvT2_20rocsparse_direction_NS_24const_host_device_scalarIT0_EES3_PKS3_PKT1_SC_S9_PKT3_PKT4_S7_PT5_21rocsparse_index_base_b
                                        ; -- End function
	.section	.AMDGPU.csdata,"",@progbits
; Kernel info:
; codeLenInByte = 1932
; NumSgprs: 24
; NumVgprs: 20
; ScratchSize: 0
; MemoryBound: 0
; FloatMode: 240
; IeeeMode: 1
; LDSByteSize: 3528 bytes/workgroup (compile time only)
; SGPRBlocks: 2
; VGPRBlocks: 2
; NumSGPRsForWavesPerEU: 24
; NumVGPRsForWavesPerEU: 20
; Occupancy: 14
; WaveLimiterHint : 1
; COMPUTE_PGM_RSRC2:SCRATCH_EN: 0
; COMPUTE_PGM_RSRC2:USER_SGPR: 15
; COMPUTE_PGM_RSRC2:TRAP_HANDLER: 0
; COMPUTE_PGM_RSRC2:TGID_X_EN: 1
; COMPUTE_PGM_RSRC2:TGID_Y_EN: 0
; COMPUTE_PGM_RSRC2:TGID_Z_EN: 0
; COMPUTE_PGM_RSRC2:TIDIG_COMP_CNT: 0
	.section	.text._ZN9rocsparseL20bsrxmvn_17_32_kernelILj22E21rocsparse_complex_numIfEllfS2_S2_EEvT2_20rocsparse_direction_NS_24const_host_device_scalarIT0_EES3_PKS3_PKT1_SC_S9_PKT3_PKT4_S7_PT5_21rocsparse_index_base_b,"axG",@progbits,_ZN9rocsparseL20bsrxmvn_17_32_kernelILj22E21rocsparse_complex_numIfEllfS2_S2_EEvT2_20rocsparse_direction_NS_24const_host_device_scalarIT0_EES3_PKS3_PKT1_SC_S9_PKT3_PKT4_S7_PT5_21rocsparse_index_base_b,comdat
	.globl	_ZN9rocsparseL20bsrxmvn_17_32_kernelILj22E21rocsparse_complex_numIfEllfS2_S2_EEvT2_20rocsparse_direction_NS_24const_host_device_scalarIT0_EES3_PKS3_PKT1_SC_S9_PKT3_PKT4_S7_PT5_21rocsparse_index_base_b ; -- Begin function _ZN9rocsparseL20bsrxmvn_17_32_kernelILj22E21rocsparse_complex_numIfEllfS2_S2_EEvT2_20rocsparse_direction_NS_24const_host_device_scalarIT0_EES3_PKS3_PKT1_SC_S9_PKT3_PKT4_S7_PT5_21rocsparse_index_base_b
	.p2align	8
	.type	_ZN9rocsparseL20bsrxmvn_17_32_kernelILj22E21rocsparse_complex_numIfEllfS2_S2_EEvT2_20rocsparse_direction_NS_24const_host_device_scalarIT0_EES3_PKS3_PKT1_SC_S9_PKT3_PKT4_S7_PT5_21rocsparse_index_base_b,@function
_ZN9rocsparseL20bsrxmvn_17_32_kernelILj22E21rocsparse_complex_numIfEllfS2_S2_EEvT2_20rocsparse_direction_NS_24const_host_device_scalarIT0_EES3_PKS3_PKT1_SC_S9_PKT3_PKT4_S7_PT5_21rocsparse_index_base_b: ; @_ZN9rocsparseL20bsrxmvn_17_32_kernelILj22E21rocsparse_complex_numIfEllfS2_S2_EEvT2_20rocsparse_direction_NS_24const_host_device_scalarIT0_EES3_PKS3_PKT1_SC_S9_PKT3_PKT4_S7_PT5_21rocsparse_index_base_b
; %bb.0:
	s_clause 0x2
	s_load_b64 s[12:13], s[0:1], 0x60
	s_load_b64 s[4:5], s[0:1], 0x10
	;; [unrolled: 1-line block ×3, first 2 shown]
	s_mov_b32 s8, s15
	s_waitcnt lgkmcnt(0)
	s_bitcmp1_b32 s13, 0
	v_mov_b32_e32 v11, s4
	s_cselect_b32 s6, -1, 0
	s_delay_alu instid0(SALU_CYCLE_1)
	s_and_b32 vcc_lo, exec_lo, s6
	s_xor_b32 s6, s6, -1
	s_cbranch_vccz .LBB421_15
; %bb.1:
	v_cndmask_b32_e64 v1, 0, 1, s6
	v_mov_b32_e32 v12, s5
	s_and_not1_b32 vcc_lo, exec_lo, s6
	s_cbranch_vccz .LBB421_16
.LBB421_2:
	s_delay_alu instid0(VALU_DEP_2)
	v_cmp_ne_u32_e32 vcc_lo, 1, v1
	v_mov_b32_e32 v9, s2
	s_cbranch_vccz .LBB421_17
.LBB421_3:
	v_cmp_ne_u32_e32 vcc_lo, 1, v1
	v_mov_b32_e32 v10, s3
	s_cbranch_vccnz .LBB421_5
.LBB421_4:
	v_dual_mov_b32 v1, s2 :: v_dual_mov_b32 v2, s3
	flat_load_b32 v10, v[1:2] offset:4
.LBB421_5:
	s_waitcnt vmcnt(0) lgkmcnt(0)
	v_cmp_eq_f32_e32 vcc_lo, 0, v11
	v_cmp_eq_f32_e64 s2, 0, v12
	s_delay_alu instid0(VALU_DEP_1)
	s_and_b32 s4, vcc_lo, s2
	s_mov_b32 s2, -1
	s_and_saveexec_b32 s3, s4
; %bb.6:
	v_cmp_neq_f32_e32 vcc_lo, 1.0, v9
	v_cmp_neq_f32_e64 s2, 0, v10
	s_delay_alu instid0(VALU_DEP_1) | instskip(NEXT) | instid1(SALU_CYCLE_1)
	s_or_b32 s2, vcc_lo, s2
	s_or_not1_b32 s2, s2, exec_lo
; %bb.7:
	s_or_b32 exec_lo, exec_lo, s3
	s_and_saveexec_b32 s3, s2
	s_cbranch_execz .LBB421_44
; %bb.8:
	s_clause 0x1
	s_load_b128 s[4:7], s[0:1], 0x20
	s_load_b64 s[10:11], s[0:1], 0x30
	s_mov_b32 s9, 0
	s_waitcnt lgkmcnt(0)
	s_cmp_eq_u64 s[4:5], 0
	s_cbranch_scc1 .LBB421_10
; %bb.9:
	s_lshl_b64 s[2:3], s[8:9], 3
	s_delay_alu instid0(SALU_CYCLE_1)
	s_add_u32 s2, s4, s2
	s_addc_u32 s3, s5, s3
	s_load_b64 s[2:3], s[2:3], 0x0
	s_waitcnt lgkmcnt(0)
	s_sub_u32 s8, s2, s12
	s_subb_u32 s9, s3, 0
.LBB421_10:
	s_load_b32 s3, s[0:1], 0x8
	v_mul_u32_u24_e32 v1, 0xba3, v0
	v_mov_b32_e32 v2, 0
	s_delay_alu instid0(VALU_DEP_2) | instskip(NEXT) | instid1(VALU_DEP_1)
	v_lshrrev_b32_e32 v3, 16, v1
	v_mul_lo_u16 v1, v3, 22
	s_delay_alu instid0(VALU_DEP_1)
	v_sub_nc_u16 v13, v0, v1
	v_mov_b32_e32 v1, 0
	s_waitcnt lgkmcnt(0)
	s_cmp_eq_u32 s3, 1
	s_cselect_b32 s2, -1, 0
	s_cmp_lg_u32 s3, 1
	s_cselect_b32 s3, -1, 0
	s_lshl_b64 s[4:5], s[8:9], 3
	s_delay_alu instid0(SALU_CYCLE_1)
	s_add_u32 s6, s6, s4
	s_addc_u32 s7, s7, s5
	s_add_u32 s13, s6, 8
	s_addc_u32 s14, s7, 0
	;; [unrolled: 2-line block ×3, first 2 shown]
	s_cmp_eq_u64 s[10:11], 0
	s_load_b64 s[10:11], s[0:1], 0x58
	s_cselect_b32 s5, s14, s5
	s_cselect_b32 s4, s13, s4
	s_load_b64 s[16:17], s[6:7], 0x0
	s_load_b64 s[14:15], s[4:5], 0x0
	s_waitcnt lgkmcnt(0)
	v_cmp_ge_i64_e64 s4, s[16:17], s[14:15]
	s_delay_alu instid0(VALU_DEP_1)
	s_and_b32 vcc_lo, exec_lo, s4
	s_cbranch_vccnz .LBB421_18
; %bb.11:
	v_mul_lo_u16 v1, v3, 12
	v_dual_mov_b32 v2, 0 :: v_dual_and_b32 v5, 0xffff, v0
	v_and_b32_e32 v4, 0xffff, v13
	s_clause 0x1
	s_load_b128 s[4:7], s[0:1], 0x38
	s_load_b64 s[18:19], s[0:1], 0x48
	v_lshrrev_b16 v1, 8, v1
	s_sub_u32 s0, s14, s12
	s_subb_u32 s1, s15, 0
	s_sub_u32 s14, s16, s12
	s_subb_u32 s15, s17, 0
	v_mul_lo_u16 v1, v1, 22
	v_lshlrev_b32_e32 v15, 2, v0
	s_mul_hi_u32 s13, s14, 0x790
	s_mul_i32 s20, s15, 0x790
	s_mul_i32 s21, s14, 0x790
	v_sub_nc_u16 v1, v3, v1
	v_mul_u32_u24_e32 v3, 0x10f, v5
	s_add_i32 s13, s13, s20
	s_delay_alu instid0(VALU_DEP_2) | instskip(NEXT) | instid1(VALU_DEP_2)
	v_and_b32_e32 v1, 0xff, v1
	v_lshrrev_b32_e32 v14, 17, v3
	s_delay_alu instid0(VALU_DEP_2) | instskip(NEXT) | instid1(VALU_DEP_2)
	v_cndmask_b32_e64 v1, v4, v1, s2
	v_add_co_u32 v3, s2, s16, v14
	s_delay_alu instid0(VALU_DEP_1) | instskip(NEXT) | instid1(VALU_DEP_3)
	v_add_co_ci_u32_e64 v4, null, s17, 0, s2
	v_lshlrev_b32_e32 v1, 3, v1
	s_delay_alu instid0(VALU_DEP_3) | instskip(NEXT) | instid1(VALU_DEP_3)
	v_sub_co_u32 v5, vcc_lo, v3, s12
	v_subrev_co_ci_u32_e32 v6, vcc_lo, 0, v4, vcc_lo
	s_waitcnt lgkmcnt(0)
	s_add_u32 s2, s6, s21
	v_add_co_u32 v3, s6, s18, v1
	v_mov_b32_e32 v1, v2
	v_lshlrev_b64 v[7:8], 3, v[5:6]
	v_add_co_ci_u32_e64 v4, null, s19, 0, s6
	s_addc_u32 s6, s7, s13
	v_add_co_u32 v5, s2, s2, v15
	s_delay_alu instid0(VALU_DEP_3)
	v_add_co_u32 v7, vcc_lo, s4, v7
	v_add_co_ci_u32_e64 v6, null, s6, 0, s2
	v_add_co_ci_u32_e32 v8, vcc_lo, s5, v8, vcc_lo
	s_set_inst_prefetch_distance 0x1
	s_branch .LBB421_13
	.p2align	6
.LBB421_12:                             ;   in Loop: Header=BB421_13 Depth=1
	s_or_b32 exec_lo, exec_lo, s2
	s_add_u32 s14, s14, 1
	s_addc_u32 s15, s15, 0
	v_add_co_u32 v7, vcc_lo, v7, 8
	v_cmp_lt_i64_e64 s2, s[14:15], s[0:1]
	v_add_co_ci_u32_e32 v8, vcc_lo, 0, v8, vcc_lo
	s_delay_alu instid0(VALU_DEP_2)
	s_and_b32 vcc_lo, exec_lo, s2
	s_cbranch_vccz .LBB421_18
.LBB421_13:                             ; =>This Inner Loop Header: Depth=1
	v_add_co_u32 v15, s2, v14, s14
	s_delay_alu instid0(VALU_DEP_1) | instskip(SKIP_1) | instid1(VALU_DEP_1)
	v_add_co_ci_u32_e64 v16, null, 0, s15, s2
	s_mov_b32 s2, exec_lo
	v_cmpx_gt_i64_e64 s[0:1], v[15:16]
	s_cbranch_execz .LBB421_12
; %bb.14:                               ;   in Loop: Header=BB421_13 Depth=1
	global_load_b64 v[15:16], v[7:8], off
	s_waitcnt vmcnt(0)
	v_sub_co_u32 v17, vcc_lo, v15, s12
	v_subrev_co_ci_u32_e32 v19, vcc_lo, 0, v16, vcc_lo
	s_delay_alu instid0(VALU_DEP_2) | instskip(NEXT) | instid1(VALU_DEP_1)
	v_mad_u64_u32 v[15:16], null, 0xb0, v17, v[3:4]
	v_mad_u64_u32 v[17:18], null, 0xb0, v19, v[16:17]
	s_delay_alu instid0(VALU_DEP_1)
	v_mov_b32_e32 v16, v17
	global_load_b32 v17, v[5:6], off
	global_load_b64 v[15:16], v[15:16], off
	v_add_co_u32 v5, vcc_lo, 0x790, v5
	v_add_co_ci_u32_e32 v6, vcc_lo, 0, v6, vcc_lo
	s_waitcnt vmcnt(0)
	v_fmac_f32_e32 v1, v17, v15
	s_delay_alu instid0(VALU_DEP_1) | instskip(NEXT) | instid1(VALU_DEP_1)
	v_dual_fmac_f32 v2, 0, v15 :: v_dual_fmac_f32 v1, 0x80000000, v16
	v_fmac_f32_e32 v2, v17, v16
	s_branch .LBB421_12
.LBB421_15:
	v_dual_mov_b32 v1, s4 :: v_dual_mov_b32 v2, s5
	flat_load_b32 v11, v[1:2]
	v_cndmask_b32_e64 v1, 0, 1, s6
	v_mov_b32_e32 v12, s5
	s_and_not1_b32 vcc_lo, exec_lo, s6
	s_cbranch_vccnz .LBB421_2
.LBB421_16:
	v_dual_mov_b32 v2, s4 :: v_dual_mov_b32 v3, s5
	flat_load_b32 v12, v[2:3] offset:4
	v_cmp_ne_u32_e32 vcc_lo, 1, v1
	v_mov_b32_e32 v9, s2
	s_cbranch_vccnz .LBB421_3
.LBB421_17:
	v_dual_mov_b32 v2, s2 :: v_dual_mov_b32 v3, s3
	flat_load_b32 v9, v[2:3]
	v_cmp_ne_u32_e32 vcc_lo, 1, v1
	v_mov_b32_e32 v10, s3
	s_cbranch_vccz .LBB421_4
	s_branch .LBB421_5
.LBB421_18:
	s_set_inst_prefetch_distance 0x2
	v_lshlrev_b32_e32 v3, 3, v0
	s_and_b32 vcc_lo, exec_lo, s3
	ds_store_b64 v3, v[1:2]
	s_waitcnt lgkmcnt(0)
	s_barrier
	buffer_gl0_inv
	s_cbranch_vccz .LBB421_30
; %bb.19:
	s_mov_b32 s0, exec_lo
	v_cmpx_gt_u16_e32 6, v13
	s_cbranch_execz .LBB421_21
; %bb.20:
	ds_load_2addr_b64 v[4:7], v3 offset1:16
	s_waitcnt lgkmcnt(0)
	v_dual_add_f32 v4, v6, v4 :: v_dual_add_f32 v5, v7, v5
	ds_store_b64 v3, v[4:5]
.LBB421_21:
	s_or_b32 exec_lo, exec_lo, s0
	s_delay_alu instid0(SALU_CYCLE_1)
	s_mov_b32 s0, exec_lo
	s_waitcnt lgkmcnt(0)
	s_barrier
	buffer_gl0_inv
	v_cmpx_gt_u16_e32 8, v13
	s_cbranch_execz .LBB421_23
; %bb.22:
	ds_load_2addr_b64 v[4:7], v3 offset1:8
	s_waitcnt lgkmcnt(0)
	v_dual_add_f32 v4, v6, v4 :: v_dual_add_f32 v5, v7, v5
	ds_store_b64 v3, v[4:5]
.LBB421_23:
	s_or_b32 exec_lo, exec_lo, s0
	s_delay_alu instid0(SALU_CYCLE_1)
	s_mov_b32 s0, exec_lo
	s_waitcnt lgkmcnt(0)
	s_barrier
	buffer_gl0_inv
	;; [unrolled: 14-line block ×3, first 2 shown]
	v_cmpx_gt_u16_e32 2, v13
	s_cbranch_execz .LBB421_27
; %bb.26:
	ds_load_2addr_b64 v[4:7], v3 offset1:2
	s_waitcnt lgkmcnt(0)
	v_dual_add_f32 v4, v6, v4 :: v_dual_add_f32 v5, v7, v5
	ds_store_b64 v3, v[4:5]
.LBB421_27:
	s_or_b32 exec_lo, exec_lo, s0
	s_mov_b32 s1, 0
	s_mov_b32 s0, 0
	s_mov_b32 s2, exec_lo
	s_waitcnt lgkmcnt(0)
	s_barrier
	buffer_gl0_inv
                                        ; implicit-def: $vgpr5
                                        ; implicit-def: $vgpr4
	v_cmpx_gt_u32_e32 22, v0
	s_xor_b32 s2, exec_lo, s2
; %bb.28:
	v_mul_u32_u24_e32 v4, 22, v0
	s_mov_b32 s0, exec_lo
	s_delay_alu instid0(VALU_DEP_1)
	v_lshlrev_b32_e32 v5, 3, v4
	v_or_b32_e32 v4, 1, v4
; %bb.29:
	s_or_b32 exec_lo, exec_lo, s2
	s_delay_alu instid0(SALU_CYCLE_1)
	s_and_b32 vcc_lo, exec_lo, s1
	s_cbranch_vccnz .LBB421_31
	s_branch .LBB421_42
.LBB421_30:
	s_mov_b32 s0, 0
                                        ; implicit-def: $vgpr5
                                        ; implicit-def: $vgpr4
	s_cbranch_execz .LBB421_42
.LBB421_31:
	s_mov_b32 s1, exec_lo
	v_cmpx_gt_u32_e32 0x84, v0
	s_cbranch_execz .LBB421_33
; %bb.32:
	ds_load_b64 v[4:5], v3 offset:2816
	ds_load_b64 v[6:7], v3
	s_waitcnt lgkmcnt(0)
	v_dual_add_f32 v4, v4, v6 :: v_dual_add_f32 v5, v5, v7
	ds_store_b64 v3, v[4:5]
.LBB421_33:
	s_or_b32 exec_lo, exec_lo, s1
	s_delay_alu instid0(SALU_CYCLE_1)
	s_mov_b32 s1, exec_lo
	s_waitcnt lgkmcnt(0)
	s_barrier
	buffer_gl0_inv
	v_cmpx_gt_u32_e32 0xb0, v0
	s_cbranch_execz .LBB421_35
; %bb.34:
	ds_load_2addr_b64 v[4:7], v3 offset1:176
	s_waitcnt lgkmcnt(0)
	v_dual_add_f32 v4, v6, v4 :: v_dual_add_f32 v5, v7, v5
	ds_store_b64 v3, v[4:5]
.LBB421_35:
	s_or_b32 exec_lo, exec_lo, s1
	s_delay_alu instid0(SALU_CYCLE_1)
	s_mov_b32 s1, exec_lo
	s_waitcnt lgkmcnt(0)
	s_barrier
	buffer_gl0_inv
	v_cmpx_gt_u32_e32 0x58, v0
	s_cbranch_execz .LBB421_37
; %bb.36:
	ds_load_2addr_b64 v[4:7], v3 offset1:88
	s_waitcnt lgkmcnt(0)
	v_dual_add_f32 v4, v6, v4 :: v_dual_add_f32 v5, v7, v5
	ds_store_b64 v3, v[4:5]
.LBB421_37:
	;; [unrolled: 14-line block ×3, first 2 shown]
	s_or_b32 exec_lo, exec_lo, s1
	s_delay_alu instid0(SALU_CYCLE_1)
	s_mov_b32 s1, exec_lo
	s_waitcnt lgkmcnt(0)
	buffer_gl0_inv
                                        ; implicit-def: $vgpr4
	v_cmpx_gt_u32_e32 22, v0
; %bb.40:
	v_add_nc_u32_e32 v4, 22, v0
	s_or_b32 s0, s0, exec_lo
                                        ; implicit-def: $vgpr2
; %bb.41:
	s_or_b32 exec_lo, exec_lo, s1
	v_mov_b32_e32 v5, v3
.LBB421_42:
	s_and_saveexec_b32 s1, s0
	s_cbranch_execnz .LBB421_45
; %bb.43:
	s_or_b32 exec_lo, exec_lo, s1
	v_cmp_gt_u32_e32 vcc_lo, 22, v0
	s_and_b32 exec_lo, exec_lo, vcc_lo
	s_cbranch_execnz .LBB421_46
.LBB421_44:
	s_nop 0
	s_sendmsg sendmsg(MSG_DEALLOC_VGPRS)
	s_endpgm
.LBB421_45:
	v_lshlrev_b32_e32 v3, 3, v4
	ds_load_2addr_b32 v[1:2], v5 offset1:1
	ds_load_b64 v[3:4], v3
	s_waitcnt lgkmcnt(0)
	v_dual_add_f32 v2, v4, v2 :: v_dual_add_f32 v1, v3, v1
	s_or_b32 exec_lo, exec_lo, s1
	v_cmp_gt_u32_e32 vcc_lo, 22, v0
	s_and_b32 exec_lo, exec_lo, vcc_lo
	s_cbranch_execz .LBB421_44
.LBB421_46:
	v_mul_f32_e64 v3, v2, -v12
	v_mul_f32_e32 v4, v2, v11
	v_cmp_eq_f32_e32 vcc_lo, 0, v9
	v_cmp_eq_f32_e64 s0, 0, v10
	s_mul_hi_u32 s1, s8, 0xb0
	v_fmac_f32_e32 v3, v11, v1
	v_fmac_f32_e32 v4, v12, v1
	s_mul_i32 s2, s8, 0xb0
	s_and_b32 s3, vcc_lo, s0
	s_mul_i32 s0, s9, 0xb0
	s_and_saveexec_b32 s4, s3
	s_delay_alu instid0(SALU_CYCLE_1)
	s_xor_b32 s3, exec_lo, s4
	s_cbranch_execz .LBB421_48
; %bb.47:
	v_lshlrev_b32_e32 v0, 3, v0
	s_add_i32 s5, s1, s0
	s_add_u32 s4, s10, s2
	s_addc_u32 s5, s11, s5
                                        ; implicit-def: $vgpr9
                                        ; implicit-def: $vgpr10
	global_store_b64 v0, v[3:4], s[4:5]
                                        ; implicit-def: $vgpr0
                                        ; implicit-def: $vgpr3
.LBB421_48:
	s_and_not1_saveexec_b32 s3, s3
	s_cbranch_execz .LBB421_44
; %bb.49:
	v_lshlrev_b32_e32 v2, 3, v0
	s_add_i32 s1, s1, s0
	s_add_u32 s0, s10, s2
	s_addc_u32 s1, s11, s1
	global_load_b64 v[0:1], v2, s[0:1]
	s_waitcnt vmcnt(0)
	v_fmac_f32_e32 v3, v9, v0
	v_fmac_f32_e32 v4, v10, v0
	s_delay_alu instid0(VALU_DEP_2) | instskip(NEXT) | instid1(VALU_DEP_2)
	v_fma_f32 v3, -v10, v1, v3
	v_fmac_f32_e32 v4, v9, v1
	global_store_b64 v2, v[3:4], s[0:1]
	s_nop 0
	s_sendmsg sendmsg(MSG_DEALLOC_VGPRS)
	s_endpgm
	.section	.rodata,"a",@progbits
	.p2align	6, 0x0
	.amdhsa_kernel _ZN9rocsparseL20bsrxmvn_17_32_kernelILj22E21rocsparse_complex_numIfEllfS2_S2_EEvT2_20rocsparse_direction_NS_24const_host_device_scalarIT0_EES3_PKS3_PKT1_SC_S9_PKT3_PKT4_S7_PT5_21rocsparse_index_base_b
		.amdhsa_group_segment_fixed_size 3872
		.amdhsa_private_segment_fixed_size 0
		.amdhsa_kernarg_size 104
		.amdhsa_user_sgpr_count 15
		.amdhsa_user_sgpr_dispatch_ptr 0
		.amdhsa_user_sgpr_queue_ptr 0
		.amdhsa_user_sgpr_kernarg_segment_ptr 1
		.amdhsa_user_sgpr_dispatch_id 0
		.amdhsa_user_sgpr_private_segment_size 0
		.amdhsa_wavefront_size32 1
		.amdhsa_uses_dynamic_stack 0
		.amdhsa_enable_private_segment 0
		.amdhsa_system_sgpr_workgroup_id_x 1
		.amdhsa_system_sgpr_workgroup_id_y 0
		.amdhsa_system_sgpr_workgroup_id_z 0
		.amdhsa_system_sgpr_workgroup_info 0
		.amdhsa_system_vgpr_workitem_id 0
		.amdhsa_next_free_vgpr 20
		.amdhsa_next_free_sgpr 22
		.amdhsa_reserve_vcc 1
		.amdhsa_float_round_mode_32 0
		.amdhsa_float_round_mode_16_64 0
		.amdhsa_float_denorm_mode_32 3
		.amdhsa_float_denorm_mode_16_64 3
		.amdhsa_dx10_clamp 1
		.amdhsa_ieee_mode 1
		.amdhsa_fp16_overflow 0
		.amdhsa_workgroup_processor_mode 1
		.amdhsa_memory_ordered 1
		.amdhsa_forward_progress 0
		.amdhsa_shared_vgpr_count 0
		.amdhsa_exception_fp_ieee_invalid_op 0
		.amdhsa_exception_fp_denorm_src 0
		.amdhsa_exception_fp_ieee_div_zero 0
		.amdhsa_exception_fp_ieee_overflow 0
		.amdhsa_exception_fp_ieee_underflow 0
		.amdhsa_exception_fp_ieee_inexact 0
		.amdhsa_exception_int_div_zero 0
	.end_amdhsa_kernel
	.section	.text._ZN9rocsparseL20bsrxmvn_17_32_kernelILj22E21rocsparse_complex_numIfEllfS2_S2_EEvT2_20rocsparse_direction_NS_24const_host_device_scalarIT0_EES3_PKS3_PKT1_SC_S9_PKT3_PKT4_S7_PT5_21rocsparse_index_base_b,"axG",@progbits,_ZN9rocsparseL20bsrxmvn_17_32_kernelILj22E21rocsparse_complex_numIfEllfS2_S2_EEvT2_20rocsparse_direction_NS_24const_host_device_scalarIT0_EES3_PKS3_PKT1_SC_S9_PKT3_PKT4_S7_PT5_21rocsparse_index_base_b,comdat
.Lfunc_end421:
	.size	_ZN9rocsparseL20bsrxmvn_17_32_kernelILj22E21rocsparse_complex_numIfEllfS2_S2_EEvT2_20rocsparse_direction_NS_24const_host_device_scalarIT0_EES3_PKS3_PKT1_SC_S9_PKT3_PKT4_S7_PT5_21rocsparse_index_base_b, .Lfunc_end421-_ZN9rocsparseL20bsrxmvn_17_32_kernelILj22E21rocsparse_complex_numIfEllfS2_S2_EEvT2_20rocsparse_direction_NS_24const_host_device_scalarIT0_EES3_PKS3_PKT1_SC_S9_PKT3_PKT4_S7_PT5_21rocsparse_index_base_b
                                        ; -- End function
	.section	.AMDGPU.csdata,"",@progbits
; Kernel info:
; codeLenInByte = 1928
; NumSgprs: 24
; NumVgprs: 20
; ScratchSize: 0
; MemoryBound: 0
; FloatMode: 240
; IeeeMode: 1
; LDSByteSize: 3872 bytes/workgroup (compile time only)
; SGPRBlocks: 2
; VGPRBlocks: 2
; NumSGPRsForWavesPerEU: 24
; NumVGPRsForWavesPerEU: 20
; Occupancy: 16
; WaveLimiterHint : 1
; COMPUTE_PGM_RSRC2:SCRATCH_EN: 0
; COMPUTE_PGM_RSRC2:USER_SGPR: 15
; COMPUTE_PGM_RSRC2:TRAP_HANDLER: 0
; COMPUTE_PGM_RSRC2:TGID_X_EN: 1
; COMPUTE_PGM_RSRC2:TGID_Y_EN: 0
; COMPUTE_PGM_RSRC2:TGID_Z_EN: 0
; COMPUTE_PGM_RSRC2:TIDIG_COMP_CNT: 0
	.section	.text._ZN9rocsparseL20bsrxmvn_17_32_kernelILj23E21rocsparse_complex_numIfEllfS2_S2_EEvT2_20rocsparse_direction_NS_24const_host_device_scalarIT0_EES3_PKS3_PKT1_SC_S9_PKT3_PKT4_S7_PT5_21rocsparse_index_base_b,"axG",@progbits,_ZN9rocsparseL20bsrxmvn_17_32_kernelILj23E21rocsparse_complex_numIfEllfS2_S2_EEvT2_20rocsparse_direction_NS_24const_host_device_scalarIT0_EES3_PKS3_PKT1_SC_S9_PKT3_PKT4_S7_PT5_21rocsparse_index_base_b,comdat
	.globl	_ZN9rocsparseL20bsrxmvn_17_32_kernelILj23E21rocsparse_complex_numIfEllfS2_S2_EEvT2_20rocsparse_direction_NS_24const_host_device_scalarIT0_EES3_PKS3_PKT1_SC_S9_PKT3_PKT4_S7_PT5_21rocsparse_index_base_b ; -- Begin function _ZN9rocsparseL20bsrxmvn_17_32_kernelILj23E21rocsparse_complex_numIfEllfS2_S2_EEvT2_20rocsparse_direction_NS_24const_host_device_scalarIT0_EES3_PKS3_PKT1_SC_S9_PKT3_PKT4_S7_PT5_21rocsparse_index_base_b
	.p2align	8
	.type	_ZN9rocsparseL20bsrxmvn_17_32_kernelILj23E21rocsparse_complex_numIfEllfS2_S2_EEvT2_20rocsparse_direction_NS_24const_host_device_scalarIT0_EES3_PKS3_PKT1_SC_S9_PKT3_PKT4_S7_PT5_21rocsparse_index_base_b,@function
_ZN9rocsparseL20bsrxmvn_17_32_kernelILj23E21rocsparse_complex_numIfEllfS2_S2_EEvT2_20rocsparse_direction_NS_24const_host_device_scalarIT0_EES3_PKS3_PKT1_SC_S9_PKT3_PKT4_S7_PT5_21rocsparse_index_base_b: ; @_ZN9rocsparseL20bsrxmvn_17_32_kernelILj23E21rocsparse_complex_numIfEllfS2_S2_EEvT2_20rocsparse_direction_NS_24const_host_device_scalarIT0_EES3_PKS3_PKT1_SC_S9_PKT3_PKT4_S7_PT5_21rocsparse_index_base_b
; %bb.0:
	s_clause 0x2
	s_load_b64 s[12:13], s[0:1], 0x60
	s_load_b64 s[4:5], s[0:1], 0x10
	s_load_b64 s[2:3], s[0:1], 0x50
	s_mov_b32 s8, s15
	s_waitcnt lgkmcnt(0)
	s_bitcmp1_b32 s13, 0
	v_mov_b32_e32 v11, s4
	s_cselect_b32 s6, -1, 0
	s_delay_alu instid0(SALU_CYCLE_1)
	s_and_b32 vcc_lo, exec_lo, s6
	s_xor_b32 s6, s6, -1
	s_cbranch_vccz .LBB422_15
; %bb.1:
	v_cndmask_b32_e64 v1, 0, 1, s6
	v_mov_b32_e32 v12, s5
	s_and_not1_b32 vcc_lo, exec_lo, s6
	s_cbranch_vccz .LBB422_16
.LBB422_2:
	s_delay_alu instid0(VALU_DEP_2)
	v_cmp_ne_u32_e32 vcc_lo, 1, v1
	v_mov_b32_e32 v9, s2
	s_cbranch_vccz .LBB422_17
.LBB422_3:
	v_cmp_ne_u32_e32 vcc_lo, 1, v1
	v_mov_b32_e32 v10, s3
	s_cbranch_vccnz .LBB422_5
.LBB422_4:
	v_dual_mov_b32 v1, s2 :: v_dual_mov_b32 v2, s3
	flat_load_b32 v10, v[1:2] offset:4
.LBB422_5:
	s_waitcnt vmcnt(0) lgkmcnt(0)
	v_cmp_eq_f32_e32 vcc_lo, 0, v11
	v_cmp_eq_f32_e64 s2, 0, v12
	s_delay_alu instid0(VALU_DEP_1)
	s_and_b32 s4, vcc_lo, s2
	s_mov_b32 s2, -1
	s_and_saveexec_b32 s3, s4
; %bb.6:
	v_cmp_neq_f32_e32 vcc_lo, 1.0, v9
	v_cmp_neq_f32_e64 s2, 0, v10
	s_delay_alu instid0(VALU_DEP_1) | instskip(NEXT) | instid1(SALU_CYCLE_1)
	s_or_b32 s2, vcc_lo, s2
	s_or_not1_b32 s2, s2, exec_lo
; %bb.7:
	s_or_b32 exec_lo, exec_lo, s3
	s_and_saveexec_b32 s3, s2
	s_cbranch_execz .LBB422_44
; %bb.8:
	s_clause 0x1
	s_load_b128 s[4:7], s[0:1], 0x20
	s_load_b64 s[10:11], s[0:1], 0x30
	s_mov_b32 s9, 0
	s_waitcnt lgkmcnt(0)
	s_cmp_eq_u64 s[4:5], 0
	s_cbranch_scc1 .LBB422_10
; %bb.9:
	s_lshl_b64 s[2:3], s[8:9], 3
	s_delay_alu instid0(SALU_CYCLE_1)
	s_add_u32 s2, s4, s2
	s_addc_u32 s3, s5, s3
	s_load_b64 s[2:3], s[2:3], 0x0
	s_waitcnt lgkmcnt(0)
	s_sub_u32 s8, s2, s12
	s_subb_u32 s9, s3, 0
.LBB422_10:
	s_load_b32 s3, s[0:1], 0x8
	v_mul_u32_u24_e32 v1, 0xb22, v0
	v_mov_b32_e32 v2, 0
	s_delay_alu instid0(VALU_DEP_2) | instskip(NEXT) | instid1(VALU_DEP_1)
	v_lshrrev_b32_e32 v3, 16, v1
	v_mul_lo_u16 v1, v3, 23
	s_delay_alu instid0(VALU_DEP_1)
	v_sub_nc_u16 v13, v0, v1
	v_mov_b32_e32 v1, 0
	s_waitcnt lgkmcnt(0)
	s_cmp_eq_u32 s3, 1
	s_cselect_b32 s2, -1, 0
	s_cmp_lg_u32 s3, 1
	s_cselect_b32 s13, -1, 0
	s_lshl_b64 s[4:5], s[8:9], 3
	s_delay_alu instid0(SALU_CYCLE_1)
	s_add_u32 s6, s6, s4
	s_addc_u32 s7, s7, s5
	s_add_u32 s3, s6, 8
	s_addc_u32 s14, s7, 0
	;; [unrolled: 2-line block ×3, first 2 shown]
	s_cmp_eq_u64 s[10:11], 0
	s_load_b64 s[10:11], s[0:1], 0x58
	s_cselect_b32 s5, s14, s5
	s_cselect_b32 s4, s3, s4
	s_load_b64 s[14:15], s[6:7], 0x0
	s_load_b64 s[16:17], s[4:5], 0x0
	s_waitcnt lgkmcnt(0)
	v_cmp_ge_i64_e64 s3, s[14:15], s[16:17]
	s_delay_alu instid0(VALU_DEP_1)
	s_and_b32 vcc_lo, exec_lo, s3
	s_cbranch_vccnz .LBB422_18
; %bb.11:
	v_dual_mov_b32 v2, 0 :: v_dual_and_b32 v1, 0xffff, v3
	v_cmp_gt_u32_e32 vcc_lo, 0x211, v0
	s_clause 0x1
	s_load_b128 s[4:7], s[0:1], 0x38
	s_load_b64 s[18:19], s[0:1], 0x48
	v_and_b32_e32 v4, 0xffff, v13
	v_subrev_nc_u32_e32 v3, 23, v1
	s_sub_u32 s0, s16, s12
	s_subb_u32 s1, s17, 0
	s_delay_alu instid0(VALU_DEP_1) | instskip(SKIP_1) | instid1(VALU_DEP_2)
	v_cndmask_b32_e32 v1, v3, v1, vcc_lo
	v_cmp_lt_u32_e32 vcc_lo, 0x210, v0
	v_cndmask_b32_e64 v1, v4, v1, s2
	v_cndmask_b32_e64 v14, 0, 1, vcc_lo
	s_sub_u32 s2, s14, s12
	s_subb_u32 s3, s15, 0
	s_mul_hi_u32 s16, s2, 0x844
	v_lshlrev_b64 v[3:4], 3, v[1:2]
	v_add_co_u32 v1, s14, s14, v14
	s_delay_alu instid0(VALU_DEP_1) | instskip(SKIP_2) | instid1(VALU_DEP_3)
	v_add_co_ci_u32_e64 v6, null, s15, 0, s14
	s_mul_i32 s17, s3, 0x844
	s_waitcnt lgkmcnt(0)
	v_add_co_u32 v3, vcc_lo, s18, v3
	v_add_co_ci_u32_e32 v4, vcc_lo, s19, v4, vcc_lo
	v_sub_co_u32 v5, vcc_lo, v1, s12
	v_subrev_co_ci_u32_e32 v6, vcc_lo, 0, v6, vcc_lo
	v_lshlrev_b32_e32 v1, 2, v0
	s_mul_i32 s14, s2, 0x844
	s_add_i32 s16, s16, s17
	s_delay_alu instid0(VALU_DEP_2) | instskip(SKIP_4) | instid1(VALU_DEP_3)
	v_lshlrev_b64 v[7:8], 3, v[5:6]
	s_add_u32 s6, s6, s14
	s_addc_u32 s7, s7, s16
	v_add_co_u32 v5, s6, s6, v1
	v_mov_b32_e32 v1, v2
	v_add_co_u32 v7, vcc_lo, s4, v7
	v_add_co_ci_u32_e64 v6, null, s7, 0, s6
	v_add_co_ci_u32_e32 v8, vcc_lo, s5, v8, vcc_lo
	s_set_inst_prefetch_distance 0x1
	s_branch .LBB422_13
	.p2align	6
.LBB422_12:                             ;   in Loop: Header=BB422_13 Depth=1
	s_or_b32 exec_lo, exec_lo, s4
	s_add_u32 s2, s2, 1
	s_addc_u32 s3, s3, 0
	v_add_co_u32 v7, vcc_lo, v7, 8
	v_cmp_lt_i64_e64 s4, s[2:3], s[0:1]
	v_add_co_ci_u32_e32 v8, vcc_lo, 0, v8, vcc_lo
	s_delay_alu instid0(VALU_DEP_2)
	s_and_b32 vcc_lo, exec_lo, s4
	s_cbranch_vccz .LBB422_18
.LBB422_13:                             ; =>This Inner Loop Header: Depth=1
	v_add_co_u32 v15, s4, v14, s2
	s_delay_alu instid0(VALU_DEP_1) | instskip(SKIP_1) | instid1(VALU_DEP_1)
	v_add_co_ci_u32_e64 v16, null, 0, s3, s4
	s_mov_b32 s4, exec_lo
	v_cmpx_gt_i64_e64 s[0:1], v[15:16]
	s_cbranch_execz .LBB422_12
; %bb.14:                               ;   in Loop: Header=BB422_13 Depth=1
	global_load_b64 v[15:16], v[7:8], off
	s_waitcnt vmcnt(0)
	v_sub_co_u32 v17, vcc_lo, v15, s12
	v_subrev_co_ci_u32_e32 v19, vcc_lo, 0, v16, vcc_lo
	s_delay_alu instid0(VALU_DEP_2) | instskip(NEXT) | instid1(VALU_DEP_1)
	v_mad_u64_u32 v[15:16], null, 0xb8, v17, v[3:4]
	v_mad_u64_u32 v[17:18], null, 0xb8, v19, v[16:17]
	s_delay_alu instid0(VALU_DEP_1)
	v_mov_b32_e32 v16, v17
	global_load_b32 v17, v[5:6], off
	global_load_b64 v[15:16], v[15:16], off
	v_add_co_u32 v5, vcc_lo, 0x844, v5
	v_add_co_ci_u32_e32 v6, vcc_lo, 0, v6, vcc_lo
	s_waitcnt vmcnt(0)
	v_fmac_f32_e32 v1, v17, v15
	s_delay_alu instid0(VALU_DEP_1) | instskip(NEXT) | instid1(VALU_DEP_1)
	v_dual_fmac_f32 v2, 0, v15 :: v_dual_fmac_f32 v1, 0x80000000, v16
	v_fmac_f32_e32 v2, v17, v16
	s_branch .LBB422_12
.LBB422_15:
	v_dual_mov_b32 v1, s4 :: v_dual_mov_b32 v2, s5
	flat_load_b32 v11, v[1:2]
	v_cndmask_b32_e64 v1, 0, 1, s6
	v_mov_b32_e32 v12, s5
	s_and_not1_b32 vcc_lo, exec_lo, s6
	s_cbranch_vccnz .LBB422_2
.LBB422_16:
	v_dual_mov_b32 v2, s4 :: v_dual_mov_b32 v3, s5
	flat_load_b32 v12, v[2:3] offset:4
	v_cmp_ne_u32_e32 vcc_lo, 1, v1
	v_mov_b32_e32 v9, s2
	s_cbranch_vccnz .LBB422_3
.LBB422_17:
	v_dual_mov_b32 v2, s2 :: v_dual_mov_b32 v3, s3
	flat_load_b32 v9, v[2:3]
	v_cmp_ne_u32_e32 vcc_lo, 1, v1
	v_mov_b32_e32 v10, s3
	s_cbranch_vccz .LBB422_4
	s_branch .LBB422_5
.LBB422_18:
	s_set_inst_prefetch_distance 0x2
	v_lshlrev_b32_e32 v3, 3, v0
	s_and_b32 vcc_lo, exec_lo, s13
	ds_store_b64 v3, v[1:2]
	s_waitcnt lgkmcnt(0)
	s_barrier
	buffer_gl0_inv
	s_cbranch_vccz .LBB422_30
; %bb.19:
	s_mov_b32 s0, exec_lo
	v_cmpx_gt_u16_e32 7, v13
	s_cbranch_execz .LBB422_21
; %bb.20:
	ds_load_2addr_b64 v[4:7], v3 offset1:16
	s_waitcnt lgkmcnt(0)
	v_dual_add_f32 v4, v6, v4 :: v_dual_add_f32 v5, v7, v5
	ds_store_b64 v3, v[4:5]
.LBB422_21:
	s_or_b32 exec_lo, exec_lo, s0
	s_delay_alu instid0(SALU_CYCLE_1)
	s_mov_b32 s0, exec_lo
	s_waitcnt lgkmcnt(0)
	s_barrier
	buffer_gl0_inv
	v_cmpx_gt_u16_e32 8, v13
	s_cbranch_execz .LBB422_23
; %bb.22:
	ds_load_2addr_b64 v[4:7], v3 offset1:8
	s_waitcnt lgkmcnt(0)
	v_dual_add_f32 v4, v6, v4 :: v_dual_add_f32 v5, v7, v5
	ds_store_b64 v3, v[4:5]
.LBB422_23:
	s_or_b32 exec_lo, exec_lo, s0
	s_delay_alu instid0(SALU_CYCLE_1)
	s_mov_b32 s0, exec_lo
	s_waitcnt lgkmcnt(0)
	s_barrier
	buffer_gl0_inv
	;; [unrolled: 14-line block ×3, first 2 shown]
	v_cmpx_gt_u16_e32 2, v13
	s_cbranch_execz .LBB422_27
; %bb.26:
	ds_load_2addr_b64 v[4:7], v3 offset1:2
	s_waitcnt lgkmcnt(0)
	v_dual_add_f32 v4, v6, v4 :: v_dual_add_f32 v5, v7, v5
	ds_store_b64 v3, v[4:5]
.LBB422_27:
	s_or_b32 exec_lo, exec_lo, s0
	s_mov_b32 s1, 0
	s_mov_b32 s0, 0
	s_mov_b32 s2, exec_lo
	s_waitcnt lgkmcnt(0)
	s_barrier
	buffer_gl0_inv
                                        ; implicit-def: $vgpr5
                                        ; implicit-def: $vgpr4
	v_cmpx_gt_u32_e32 23, v0
	s_xor_b32 s2, exec_lo, s2
; %bb.28:
	v_mul_u32_u24_e32 v5, 23, v0
	v_mad_u32_u24 v4, v0, 23, 1
	s_mov_b32 s0, exec_lo
	s_delay_alu instid0(VALU_DEP_2)
	v_lshlrev_b32_e32 v5, 3, v5
; %bb.29:
	s_or_b32 exec_lo, exec_lo, s2
	s_delay_alu instid0(SALU_CYCLE_1)
	s_and_b32 vcc_lo, exec_lo, s1
	s_cbranch_vccnz .LBB422_31
	s_branch .LBB422_42
.LBB422_30:
	s_mov_b32 s0, 0
                                        ; implicit-def: $vgpr5
                                        ; implicit-def: $vgpr4
	s_cbranch_execz .LBB422_42
.LBB422_31:
	s_mov_b32 s1, exec_lo
	v_cmpx_gt_u32_e32 0xa1, v0
	s_cbranch_execz .LBB422_33
; %bb.32:
	ds_load_b64 v[4:5], v3 offset:2944
	ds_load_b64 v[6:7], v3
	s_waitcnt lgkmcnt(0)
	v_dual_add_f32 v4, v4, v6 :: v_dual_add_f32 v5, v5, v7
	ds_store_b64 v3, v[4:5]
.LBB422_33:
	s_or_b32 exec_lo, exec_lo, s1
	s_delay_alu instid0(SALU_CYCLE_1)
	s_mov_b32 s1, exec_lo
	s_waitcnt lgkmcnt(0)
	s_barrier
	buffer_gl0_inv
	v_cmpx_gt_u32_e32 0xb8, v0
	s_cbranch_execz .LBB422_35
; %bb.34:
	ds_load_2addr_b64 v[4:7], v3 offset1:184
	s_waitcnt lgkmcnt(0)
	v_dual_add_f32 v4, v6, v4 :: v_dual_add_f32 v5, v7, v5
	ds_store_b64 v3, v[4:5]
.LBB422_35:
	s_or_b32 exec_lo, exec_lo, s1
	s_delay_alu instid0(SALU_CYCLE_1)
	s_mov_b32 s1, exec_lo
	s_waitcnt lgkmcnt(0)
	s_barrier
	buffer_gl0_inv
	v_cmpx_gt_u32_e32 0x5c, v0
	s_cbranch_execz .LBB422_37
; %bb.36:
	ds_load_2addr_b64 v[4:7], v3 offset1:92
	s_waitcnt lgkmcnt(0)
	v_dual_add_f32 v4, v6, v4 :: v_dual_add_f32 v5, v7, v5
	ds_store_b64 v3, v[4:5]
.LBB422_37:
	;; [unrolled: 14-line block ×3, first 2 shown]
	s_or_b32 exec_lo, exec_lo, s1
	s_delay_alu instid0(SALU_CYCLE_1)
	s_mov_b32 s1, exec_lo
	s_waitcnt lgkmcnt(0)
	buffer_gl0_inv
                                        ; implicit-def: $vgpr4
	v_cmpx_gt_u32_e32 23, v0
; %bb.40:
	v_add_nc_u32_e32 v4, 23, v0
                                        ; kill: def $vgpr1 killed $sgpr0 killed $exec
	s_or_b32 s0, s0, exec_lo
                                        ; implicit-def: $vgpr2
; %bb.41:
	s_or_b32 exec_lo, exec_lo, s1
	v_mov_b32_e32 v5, v3
.LBB422_42:
	s_and_saveexec_b32 s1, s0
	s_cbranch_execnz .LBB422_45
; %bb.43:
	s_or_b32 exec_lo, exec_lo, s1
	v_cmp_gt_u32_e32 vcc_lo, 23, v0
	s_and_b32 exec_lo, exec_lo, vcc_lo
	s_cbranch_execnz .LBB422_46
.LBB422_44:
	s_nop 0
	s_sendmsg sendmsg(MSG_DEALLOC_VGPRS)
	s_endpgm
.LBB422_45:
	v_lshlrev_b32_e32 v3, 3, v4
	ds_load_2addr_b32 v[1:2], v5 offset1:1
	ds_load_b64 v[3:4], v3
	s_waitcnt lgkmcnt(0)
	v_dual_add_f32 v2, v4, v2 :: v_dual_add_f32 v1, v3, v1
	s_or_b32 exec_lo, exec_lo, s1
	v_cmp_gt_u32_e32 vcc_lo, 23, v0
	s_and_b32 exec_lo, exec_lo, vcc_lo
	s_cbranch_execz .LBB422_44
.LBB422_46:
	v_mul_f32_e64 v3, v2, -v12
	v_mul_f32_e32 v4, v2, v11
	v_cmp_eq_f32_e32 vcc_lo, 0, v9
	v_cmp_eq_f32_e64 s0, 0, v10
	s_mul_hi_u32 s1, s8, 0xb8
	v_fmac_f32_e32 v3, v11, v1
	v_fmac_f32_e32 v4, v12, v1
	s_mul_i32 s2, s8, 0xb8
	s_and_b32 s3, vcc_lo, s0
	s_mul_i32 s0, s9, 0xb8
	s_and_saveexec_b32 s4, s3
	s_delay_alu instid0(SALU_CYCLE_1)
	s_xor_b32 s3, exec_lo, s4
	s_cbranch_execz .LBB422_48
; %bb.47:
	v_lshlrev_b32_e32 v0, 3, v0
	s_add_i32 s5, s1, s0
	s_add_u32 s4, s10, s2
	s_addc_u32 s5, s11, s5
                                        ; implicit-def: $vgpr9
                                        ; implicit-def: $vgpr10
	global_store_b64 v0, v[3:4], s[4:5]
                                        ; implicit-def: $vgpr0
                                        ; implicit-def: $vgpr3
.LBB422_48:
	s_and_not1_saveexec_b32 s3, s3
	s_cbranch_execz .LBB422_44
; %bb.49:
	v_lshlrev_b32_e32 v2, 3, v0
	s_add_i32 s1, s1, s0
	s_add_u32 s0, s10, s2
	s_addc_u32 s1, s11, s1
	global_load_b64 v[0:1], v2, s[0:1]
	s_waitcnt vmcnt(0)
	v_fmac_f32_e32 v3, v9, v0
	v_fmac_f32_e32 v4, v10, v0
	s_delay_alu instid0(VALU_DEP_2) | instskip(NEXT) | instid1(VALU_DEP_2)
	v_fma_f32 v3, -v10, v1, v3
	v_fmac_f32_e32 v4, v9, v1
	global_store_b64 v2, v[3:4], s[0:1]
	s_nop 0
	s_sendmsg sendmsg(MSG_DEALLOC_VGPRS)
	s_endpgm
	.section	.rodata,"a",@progbits
	.p2align	6, 0x0
	.amdhsa_kernel _ZN9rocsparseL20bsrxmvn_17_32_kernelILj23E21rocsparse_complex_numIfEllfS2_S2_EEvT2_20rocsparse_direction_NS_24const_host_device_scalarIT0_EES3_PKS3_PKT1_SC_S9_PKT3_PKT4_S7_PT5_21rocsparse_index_base_b
		.amdhsa_group_segment_fixed_size 4232
		.amdhsa_private_segment_fixed_size 0
		.amdhsa_kernarg_size 104
		.amdhsa_user_sgpr_count 15
		.amdhsa_user_sgpr_dispatch_ptr 0
		.amdhsa_user_sgpr_queue_ptr 0
		.amdhsa_user_sgpr_kernarg_segment_ptr 1
		.amdhsa_user_sgpr_dispatch_id 0
		.amdhsa_user_sgpr_private_segment_size 0
		.amdhsa_wavefront_size32 1
		.amdhsa_uses_dynamic_stack 0
		.amdhsa_enable_private_segment 0
		.amdhsa_system_sgpr_workgroup_id_x 1
		.amdhsa_system_sgpr_workgroup_id_y 0
		.amdhsa_system_sgpr_workgroup_id_z 0
		.amdhsa_system_sgpr_workgroup_info 0
		.amdhsa_system_vgpr_workitem_id 0
		.amdhsa_next_free_vgpr 20
		.amdhsa_next_free_sgpr 20
		.amdhsa_reserve_vcc 1
		.amdhsa_float_round_mode_32 0
		.amdhsa_float_round_mode_16_64 0
		.amdhsa_float_denorm_mode_32 3
		.amdhsa_float_denorm_mode_16_64 3
		.amdhsa_dx10_clamp 1
		.amdhsa_ieee_mode 1
		.amdhsa_fp16_overflow 0
		.amdhsa_workgroup_processor_mode 1
		.amdhsa_memory_ordered 1
		.amdhsa_forward_progress 0
		.amdhsa_shared_vgpr_count 0
		.amdhsa_exception_fp_ieee_invalid_op 0
		.amdhsa_exception_fp_denorm_src 0
		.amdhsa_exception_fp_ieee_div_zero 0
		.amdhsa_exception_fp_ieee_overflow 0
		.amdhsa_exception_fp_ieee_underflow 0
		.amdhsa_exception_fp_ieee_inexact 0
		.amdhsa_exception_int_div_zero 0
	.end_amdhsa_kernel
	.section	.text._ZN9rocsparseL20bsrxmvn_17_32_kernelILj23E21rocsparse_complex_numIfEllfS2_S2_EEvT2_20rocsparse_direction_NS_24const_host_device_scalarIT0_EES3_PKS3_PKT1_SC_S9_PKT3_PKT4_S7_PT5_21rocsparse_index_base_b,"axG",@progbits,_ZN9rocsparseL20bsrxmvn_17_32_kernelILj23E21rocsparse_complex_numIfEllfS2_S2_EEvT2_20rocsparse_direction_NS_24const_host_device_scalarIT0_EES3_PKS3_PKT1_SC_S9_PKT3_PKT4_S7_PT5_21rocsparse_index_base_b,comdat
.Lfunc_end422:
	.size	_ZN9rocsparseL20bsrxmvn_17_32_kernelILj23E21rocsparse_complex_numIfEllfS2_S2_EEvT2_20rocsparse_direction_NS_24const_host_device_scalarIT0_EES3_PKS3_PKT1_SC_S9_PKT3_PKT4_S7_PT5_21rocsparse_index_base_b, .Lfunc_end422-_ZN9rocsparseL20bsrxmvn_17_32_kernelILj23E21rocsparse_complex_numIfEllfS2_S2_EEvT2_20rocsparse_direction_NS_24const_host_device_scalarIT0_EES3_PKS3_PKT1_SC_S9_PKT3_PKT4_S7_PT5_21rocsparse_index_base_b
                                        ; -- End function
	.section	.AMDGPU.csdata,"",@progbits
; Kernel info:
; codeLenInByte = 1904
; NumSgprs: 22
; NumVgprs: 20
; ScratchSize: 0
; MemoryBound: 0
; FloatMode: 240
; IeeeMode: 1
; LDSByteSize: 4232 bytes/workgroup (compile time only)
; SGPRBlocks: 2
; VGPRBlocks: 2
; NumSGPRsForWavesPerEU: 22
; NumVGPRsForWavesPerEU: 20
; Occupancy: 13
; WaveLimiterHint : 1
; COMPUTE_PGM_RSRC2:SCRATCH_EN: 0
; COMPUTE_PGM_RSRC2:USER_SGPR: 15
; COMPUTE_PGM_RSRC2:TRAP_HANDLER: 0
; COMPUTE_PGM_RSRC2:TGID_X_EN: 1
; COMPUTE_PGM_RSRC2:TGID_Y_EN: 0
; COMPUTE_PGM_RSRC2:TGID_Z_EN: 0
; COMPUTE_PGM_RSRC2:TIDIG_COMP_CNT: 0
	.section	.text._ZN9rocsparseL20bsrxmvn_17_32_kernelILj24E21rocsparse_complex_numIfEllfS2_S2_EEvT2_20rocsparse_direction_NS_24const_host_device_scalarIT0_EES3_PKS3_PKT1_SC_S9_PKT3_PKT4_S7_PT5_21rocsparse_index_base_b,"axG",@progbits,_ZN9rocsparseL20bsrxmvn_17_32_kernelILj24E21rocsparse_complex_numIfEllfS2_S2_EEvT2_20rocsparse_direction_NS_24const_host_device_scalarIT0_EES3_PKS3_PKT1_SC_S9_PKT3_PKT4_S7_PT5_21rocsparse_index_base_b,comdat
	.globl	_ZN9rocsparseL20bsrxmvn_17_32_kernelILj24E21rocsparse_complex_numIfEllfS2_S2_EEvT2_20rocsparse_direction_NS_24const_host_device_scalarIT0_EES3_PKS3_PKT1_SC_S9_PKT3_PKT4_S7_PT5_21rocsparse_index_base_b ; -- Begin function _ZN9rocsparseL20bsrxmvn_17_32_kernelILj24E21rocsparse_complex_numIfEllfS2_S2_EEvT2_20rocsparse_direction_NS_24const_host_device_scalarIT0_EES3_PKS3_PKT1_SC_S9_PKT3_PKT4_S7_PT5_21rocsparse_index_base_b
	.p2align	8
	.type	_ZN9rocsparseL20bsrxmvn_17_32_kernelILj24E21rocsparse_complex_numIfEllfS2_S2_EEvT2_20rocsparse_direction_NS_24const_host_device_scalarIT0_EES3_PKS3_PKT1_SC_S9_PKT3_PKT4_S7_PT5_21rocsparse_index_base_b,@function
_ZN9rocsparseL20bsrxmvn_17_32_kernelILj24E21rocsparse_complex_numIfEllfS2_S2_EEvT2_20rocsparse_direction_NS_24const_host_device_scalarIT0_EES3_PKS3_PKT1_SC_S9_PKT3_PKT4_S7_PT5_21rocsparse_index_base_b: ; @_ZN9rocsparseL20bsrxmvn_17_32_kernelILj24E21rocsparse_complex_numIfEllfS2_S2_EEvT2_20rocsparse_direction_NS_24const_host_device_scalarIT0_EES3_PKS3_PKT1_SC_S9_PKT3_PKT4_S7_PT5_21rocsparse_index_base_b
; %bb.0:
	s_clause 0x2
	s_load_b64 s[12:13], s[0:1], 0x60
	s_load_b64 s[4:5], s[0:1], 0x10
	;; [unrolled: 1-line block ×3, first 2 shown]
	s_mov_b32 s8, s15
	s_waitcnt lgkmcnt(0)
	s_bitcmp1_b32 s13, 0
	v_mov_b32_e32 v11, s4
	s_cselect_b32 s6, -1, 0
	s_delay_alu instid0(SALU_CYCLE_1)
	s_and_b32 vcc_lo, exec_lo, s6
	s_xor_b32 s6, s6, -1
	s_cbranch_vccz .LBB423_15
; %bb.1:
	v_cndmask_b32_e64 v1, 0, 1, s6
	v_mov_b32_e32 v12, s5
	s_and_not1_b32 vcc_lo, exec_lo, s6
	s_cbranch_vccz .LBB423_16
.LBB423_2:
	s_delay_alu instid0(VALU_DEP_2)
	v_cmp_ne_u32_e32 vcc_lo, 1, v1
	v_mov_b32_e32 v9, s2
	s_cbranch_vccz .LBB423_17
.LBB423_3:
	v_cmp_ne_u32_e32 vcc_lo, 1, v1
	v_mov_b32_e32 v10, s3
	s_cbranch_vccnz .LBB423_5
.LBB423_4:
	v_dual_mov_b32 v1, s2 :: v_dual_mov_b32 v2, s3
	flat_load_b32 v10, v[1:2] offset:4
.LBB423_5:
	s_waitcnt vmcnt(0) lgkmcnt(0)
	v_cmp_eq_f32_e32 vcc_lo, 0, v11
	v_cmp_eq_f32_e64 s2, 0, v12
	s_delay_alu instid0(VALU_DEP_1)
	s_and_b32 s4, vcc_lo, s2
	s_mov_b32 s2, -1
	s_and_saveexec_b32 s3, s4
; %bb.6:
	v_cmp_neq_f32_e32 vcc_lo, 1.0, v9
	v_cmp_neq_f32_e64 s2, 0, v10
	s_delay_alu instid0(VALU_DEP_1) | instskip(NEXT) | instid1(SALU_CYCLE_1)
	s_or_b32 s2, vcc_lo, s2
	s_or_not1_b32 s2, s2, exec_lo
; %bb.7:
	s_or_b32 exec_lo, exec_lo, s3
	s_and_saveexec_b32 s3, s2
	s_cbranch_execz .LBB423_44
; %bb.8:
	s_clause 0x1
	s_load_b128 s[4:7], s[0:1], 0x20
	s_load_b64 s[10:11], s[0:1], 0x30
	s_mov_b32 s9, 0
	s_waitcnt lgkmcnt(0)
	s_cmp_eq_u64 s[4:5], 0
	s_cbranch_scc1 .LBB423_10
; %bb.9:
	s_lshl_b64 s[2:3], s[8:9], 3
	s_delay_alu instid0(SALU_CYCLE_1)
	s_add_u32 s2, s4, s2
	s_addc_u32 s3, s5, s3
	s_load_b64 s[2:3], s[2:3], 0x0
	s_waitcnt lgkmcnt(0)
	s_sub_u32 s8, s2, s12
	s_subb_u32 s9, s3, 0
.LBB423_10:
	s_load_b32 s3, s[0:1], 0x8
	v_mul_u32_u24_e32 v1, 0xaab, v0
	v_mov_b32_e32 v2, 0
	s_delay_alu instid0(VALU_DEP_2) | instskip(NEXT) | instid1(VALU_DEP_1)
	v_lshrrev_b32_e32 v3, 16, v1
	v_mul_lo_u16 v1, v3, 24
	s_delay_alu instid0(VALU_DEP_1)
	v_sub_nc_u16 v13, v0, v1
	v_mov_b32_e32 v1, 0
	s_waitcnt lgkmcnt(0)
	s_cmp_eq_u32 s3, 1
	s_cselect_b32 s2, -1, 0
	s_cmp_lg_u32 s3, 1
	s_cselect_b32 s13, -1, 0
	s_lshl_b64 s[4:5], s[8:9], 3
	s_delay_alu instid0(SALU_CYCLE_1)
	s_add_u32 s6, s6, s4
	s_addc_u32 s7, s7, s5
	s_add_u32 s3, s6, 8
	s_addc_u32 s14, s7, 0
	;; [unrolled: 2-line block ×3, first 2 shown]
	s_cmp_eq_u64 s[10:11], 0
	s_load_b64 s[10:11], s[0:1], 0x58
	s_cselect_b32 s5, s14, s5
	s_cselect_b32 s4, s3, s4
	s_load_b64 s[14:15], s[6:7], 0x0
	s_load_b64 s[16:17], s[4:5], 0x0
	s_waitcnt lgkmcnt(0)
	v_cmp_ge_i64_e64 s3, s[14:15], s[16:17]
	s_delay_alu instid0(VALU_DEP_1)
	s_and_b32 vcc_lo, exec_lo, s3
	s_cbranch_vccnz .LBB423_18
; %bb.11:
	v_dual_mov_b32 v2, 0 :: v_dual_and_b32 v1, 0xffff, v3
	v_cmp_gt_u32_e32 vcc_lo, 0x240, v0
	s_clause 0x1
	s_load_b128 s[4:7], s[0:1], 0x38
	s_load_b64 s[18:19], s[0:1], 0x48
	v_and_b32_e32 v4, 0xffff, v13
	v_subrev_nc_u32_e32 v3, 24, v1
	s_sub_u32 s0, s16, s12
	s_subb_u32 s1, s17, 0
	s_delay_alu instid0(VALU_DEP_1) | instskip(SKIP_1) | instid1(VALU_DEP_2)
	v_cndmask_b32_e32 v1, v3, v1, vcc_lo
	v_cmp_lt_u32_e32 vcc_lo, 0x23f, v0
	v_cndmask_b32_e64 v1, v4, v1, s2
	v_cndmask_b32_e64 v14, 0, 1, vcc_lo
	s_sub_u32 s2, s14, s12
	s_subb_u32 s3, s15, 0
	s_mul_hi_u32 s16, s2, 0x900
	v_lshlrev_b64 v[3:4], 3, v[1:2]
	v_add_co_u32 v1, s14, s14, v14
	s_delay_alu instid0(VALU_DEP_1) | instskip(SKIP_2) | instid1(VALU_DEP_3)
	v_add_co_ci_u32_e64 v6, null, s15, 0, s14
	s_mul_i32 s17, s3, 0x900
	s_waitcnt lgkmcnt(0)
	v_add_co_u32 v3, vcc_lo, s18, v3
	v_add_co_ci_u32_e32 v4, vcc_lo, s19, v4, vcc_lo
	v_sub_co_u32 v5, vcc_lo, v1, s12
	v_subrev_co_ci_u32_e32 v6, vcc_lo, 0, v6, vcc_lo
	v_lshlrev_b32_e32 v1, 2, v0
	s_mul_i32 s14, s2, 0x900
	s_add_i32 s16, s16, s17
	s_delay_alu instid0(VALU_DEP_2) | instskip(SKIP_4) | instid1(VALU_DEP_3)
	v_lshlrev_b64 v[7:8], 3, v[5:6]
	s_add_u32 s6, s6, s14
	s_addc_u32 s7, s7, s16
	v_add_co_u32 v5, s6, s6, v1
	v_mov_b32_e32 v1, v2
	v_add_co_u32 v7, vcc_lo, s4, v7
	v_add_co_ci_u32_e64 v6, null, s7, 0, s6
	v_add_co_ci_u32_e32 v8, vcc_lo, s5, v8, vcc_lo
	s_set_inst_prefetch_distance 0x1
	s_branch .LBB423_13
	.p2align	6
.LBB423_12:                             ;   in Loop: Header=BB423_13 Depth=1
	s_or_b32 exec_lo, exec_lo, s4
	s_add_u32 s2, s2, 1
	s_addc_u32 s3, s3, 0
	v_add_co_u32 v7, vcc_lo, v7, 8
	v_cmp_lt_i64_e64 s4, s[2:3], s[0:1]
	v_add_co_ci_u32_e32 v8, vcc_lo, 0, v8, vcc_lo
	s_delay_alu instid0(VALU_DEP_2)
	s_and_b32 vcc_lo, exec_lo, s4
	s_cbranch_vccz .LBB423_18
.LBB423_13:                             ; =>This Inner Loop Header: Depth=1
	v_add_co_u32 v15, s4, v14, s2
	s_delay_alu instid0(VALU_DEP_1) | instskip(SKIP_1) | instid1(VALU_DEP_1)
	v_add_co_ci_u32_e64 v16, null, 0, s3, s4
	s_mov_b32 s4, exec_lo
	v_cmpx_gt_i64_e64 s[0:1], v[15:16]
	s_cbranch_execz .LBB423_12
; %bb.14:                               ;   in Loop: Header=BB423_13 Depth=1
	global_load_b64 v[15:16], v[7:8], off
	s_waitcnt vmcnt(0)
	v_sub_co_u32 v17, vcc_lo, v15, s12
	v_subrev_co_ci_u32_e32 v19, vcc_lo, 0, v16, vcc_lo
	s_delay_alu instid0(VALU_DEP_2) | instskip(NEXT) | instid1(VALU_DEP_1)
	v_mad_u64_u32 v[15:16], null, 0xc0, v17, v[3:4]
	v_mad_u64_u32 v[17:18], null, 0xc0, v19, v[16:17]
	s_delay_alu instid0(VALU_DEP_1)
	v_mov_b32_e32 v16, v17
	global_load_b32 v17, v[5:6], off
	global_load_b64 v[15:16], v[15:16], off
	v_add_co_u32 v5, vcc_lo, 0x900, v5
	v_add_co_ci_u32_e32 v6, vcc_lo, 0, v6, vcc_lo
	s_waitcnt vmcnt(0)
	v_fmac_f32_e32 v1, v17, v15
	s_delay_alu instid0(VALU_DEP_1) | instskip(NEXT) | instid1(VALU_DEP_1)
	v_dual_fmac_f32 v2, 0, v15 :: v_dual_fmac_f32 v1, 0x80000000, v16
	v_fmac_f32_e32 v2, v17, v16
	s_branch .LBB423_12
.LBB423_15:
	v_dual_mov_b32 v1, s4 :: v_dual_mov_b32 v2, s5
	flat_load_b32 v11, v[1:2]
	v_cndmask_b32_e64 v1, 0, 1, s6
	v_mov_b32_e32 v12, s5
	s_and_not1_b32 vcc_lo, exec_lo, s6
	s_cbranch_vccnz .LBB423_2
.LBB423_16:
	v_dual_mov_b32 v2, s4 :: v_dual_mov_b32 v3, s5
	flat_load_b32 v12, v[2:3] offset:4
	v_cmp_ne_u32_e32 vcc_lo, 1, v1
	v_mov_b32_e32 v9, s2
	s_cbranch_vccnz .LBB423_3
.LBB423_17:
	v_dual_mov_b32 v2, s2 :: v_dual_mov_b32 v3, s3
	flat_load_b32 v9, v[2:3]
	v_cmp_ne_u32_e32 vcc_lo, 1, v1
	v_mov_b32_e32 v10, s3
	s_cbranch_vccz .LBB423_4
	s_branch .LBB423_5
.LBB423_18:
	s_set_inst_prefetch_distance 0x2
	v_lshlrev_b32_e32 v3, 3, v0
	s_and_b32 vcc_lo, exec_lo, s13
	ds_store_b64 v3, v[1:2]
	s_waitcnt lgkmcnt(0)
	s_barrier
	buffer_gl0_inv
	s_cbranch_vccz .LBB423_30
; %bb.19:
	v_cmp_gt_u16_e32 vcc_lo, 8, v13
	s_and_saveexec_b32 s0, vcc_lo
	s_cbranch_execz .LBB423_21
; %bb.20:
	ds_load_2addr_b64 v[4:7], v3 offset1:16
	s_waitcnt lgkmcnt(0)
	v_dual_add_f32 v4, v6, v4 :: v_dual_add_f32 v5, v7, v5
	ds_store_b64 v3, v[4:5]
.LBB423_21:
	s_or_b32 exec_lo, exec_lo, s0
	s_waitcnt lgkmcnt(0)
	s_barrier
	buffer_gl0_inv
	s_and_saveexec_b32 s0, vcc_lo
	s_cbranch_execz .LBB423_23
; %bb.22:
	ds_load_2addr_b64 v[4:7], v3 offset1:8
	s_waitcnt lgkmcnt(0)
	v_dual_add_f32 v4, v6, v4 :: v_dual_add_f32 v5, v7, v5
	ds_store_b64 v3, v[4:5]
.LBB423_23:
	s_or_b32 exec_lo, exec_lo, s0
	s_delay_alu instid0(SALU_CYCLE_1)
	s_mov_b32 s0, exec_lo
	s_waitcnt lgkmcnt(0)
	s_barrier
	buffer_gl0_inv
	v_cmpx_gt_u16_e32 4, v13
	s_cbranch_execz .LBB423_25
; %bb.24:
	ds_load_2addr_b64 v[4:7], v3 offset1:4
	s_waitcnt lgkmcnt(0)
	v_dual_add_f32 v4, v6, v4 :: v_dual_add_f32 v5, v7, v5
	ds_store_b64 v3, v[4:5]
.LBB423_25:
	s_or_b32 exec_lo, exec_lo, s0
	s_delay_alu instid0(SALU_CYCLE_1)
	s_mov_b32 s0, exec_lo
	s_waitcnt lgkmcnt(0)
	s_barrier
	buffer_gl0_inv
	v_cmpx_gt_u16_e32 2, v13
	s_cbranch_execz .LBB423_27
; %bb.26:
	ds_load_2addr_b64 v[4:7], v3 offset1:2
	s_waitcnt lgkmcnt(0)
	v_dual_add_f32 v4, v6, v4 :: v_dual_add_f32 v5, v7, v5
	ds_store_b64 v3, v[4:5]
.LBB423_27:
	s_or_b32 exec_lo, exec_lo, s0
	s_mov_b32 s1, 0
	s_mov_b32 s0, 0
	s_mov_b32 s2, exec_lo
	s_waitcnt lgkmcnt(0)
	s_barrier
	buffer_gl0_inv
                                        ; implicit-def: $vgpr5
                                        ; implicit-def: $vgpr4
	v_cmpx_gt_u32_e32 24, v0
	s_xor_b32 s2, exec_lo, s2
; %bb.28:
	v_mul_u32_u24_e32 v4, 24, v0
	s_mov_b32 s0, exec_lo
	s_delay_alu instid0(VALU_DEP_1)
	v_lshlrev_b32_e32 v5, 3, v4
	v_or_b32_e32 v4, 1, v4
; %bb.29:
	s_or_b32 exec_lo, exec_lo, s2
	s_delay_alu instid0(SALU_CYCLE_1)
	s_and_b32 vcc_lo, exec_lo, s1
	s_cbranch_vccnz .LBB423_31
	s_branch .LBB423_42
.LBB423_30:
	s_mov_b32 s0, 0
                                        ; implicit-def: $vgpr5
                                        ; implicit-def: $vgpr4
	s_cbranch_execz .LBB423_42
.LBB423_31:
	v_cmp_gt_u32_e32 vcc_lo, 0xc0, v0
	s_and_saveexec_b32 s1, vcc_lo
	s_cbranch_execz .LBB423_33
; %bb.32:
	ds_load_2addr_stride64_b64 v[4:7], v3 offset1:6
	s_waitcnt lgkmcnt(0)
	v_dual_add_f32 v4, v6, v4 :: v_dual_add_f32 v5, v7, v5
	ds_store_b64 v3, v[4:5]
.LBB423_33:
	s_or_b32 exec_lo, exec_lo, s1
	s_waitcnt lgkmcnt(0)
	s_barrier
	buffer_gl0_inv
	s_and_saveexec_b32 s1, vcc_lo
	s_cbranch_execz .LBB423_35
; %bb.34:
	ds_load_2addr_stride64_b64 v[4:7], v3 offset1:3
	s_waitcnt lgkmcnt(0)
	v_dual_add_f32 v4, v6, v4 :: v_dual_add_f32 v5, v7, v5
	ds_store_b64 v3, v[4:5]
.LBB423_35:
	s_or_b32 exec_lo, exec_lo, s1
	s_delay_alu instid0(SALU_CYCLE_1)
	s_mov_b32 s1, exec_lo
	s_waitcnt lgkmcnt(0)
	s_barrier
	buffer_gl0_inv
	v_cmpx_gt_u32_e32 0x60, v0
	s_cbranch_execz .LBB423_37
; %bb.36:
	ds_load_2addr_b64 v[4:7], v3 offset1:96
	s_waitcnt lgkmcnt(0)
	v_dual_add_f32 v4, v6, v4 :: v_dual_add_f32 v5, v7, v5
	ds_store_b64 v3, v[4:5]
.LBB423_37:
	s_or_b32 exec_lo, exec_lo, s1
	s_delay_alu instid0(SALU_CYCLE_1)
	s_mov_b32 s1, exec_lo
	s_waitcnt lgkmcnt(0)
	s_barrier
	buffer_gl0_inv
	v_cmpx_gt_u32_e32 48, v0
	s_cbranch_execz .LBB423_39
; %bb.38:
	ds_load_2addr_b64 v[4:7], v3 offset1:48
	s_waitcnt lgkmcnt(0)
	v_dual_add_f32 v4, v6, v4 :: v_dual_add_f32 v5, v7, v5
	ds_store_b64 v3, v[4:5]
.LBB423_39:
	s_or_b32 exec_lo, exec_lo, s1
	s_delay_alu instid0(SALU_CYCLE_1)
	s_mov_b32 s1, exec_lo
	s_waitcnt lgkmcnt(0)
	buffer_gl0_inv
                                        ; implicit-def: $vgpr4
	v_cmpx_gt_u32_e32 24, v0
; %bb.40:
	v_add_nc_u32_e32 v4, 24, v0
                                        ; kill: def $vgpr1 killed $sgpr0 killed $exec
	s_or_b32 s0, s0, exec_lo
                                        ; implicit-def: $vgpr2
; %bb.41:
	s_or_b32 exec_lo, exec_lo, s1
	v_mov_b32_e32 v5, v3
.LBB423_42:
	s_and_saveexec_b32 s1, s0
	s_cbranch_execnz .LBB423_45
; %bb.43:
	s_or_b32 exec_lo, exec_lo, s1
	v_cmp_gt_u32_e32 vcc_lo, 24, v0
	s_and_b32 exec_lo, exec_lo, vcc_lo
	s_cbranch_execnz .LBB423_46
.LBB423_44:
	s_nop 0
	s_sendmsg sendmsg(MSG_DEALLOC_VGPRS)
	s_endpgm
.LBB423_45:
	v_lshlrev_b32_e32 v3, 3, v4
	ds_load_2addr_b32 v[1:2], v5 offset1:1
	ds_load_b64 v[3:4], v3
	s_waitcnt lgkmcnt(0)
	v_dual_add_f32 v2, v4, v2 :: v_dual_add_f32 v1, v3, v1
	s_or_b32 exec_lo, exec_lo, s1
	v_cmp_gt_u32_e32 vcc_lo, 24, v0
	s_and_b32 exec_lo, exec_lo, vcc_lo
	s_cbranch_execz .LBB423_44
.LBB423_46:
	v_mul_f32_e64 v3, v2, -v12
	v_mul_f32_e32 v4, v2, v11
	v_cmp_eq_f32_e32 vcc_lo, 0, v9
	v_cmp_eq_f32_e64 s0, 0, v10
	s_mul_hi_u32 s1, s8, 0xc0
	v_fmac_f32_e32 v3, v11, v1
	v_fmac_f32_e32 v4, v12, v1
	s_mul_i32 s2, s8, 0xc0
	s_and_b32 s3, vcc_lo, s0
	s_mul_i32 s0, s9, 0xc0
	s_and_saveexec_b32 s4, s3
	s_delay_alu instid0(SALU_CYCLE_1)
	s_xor_b32 s3, exec_lo, s4
	s_cbranch_execz .LBB423_48
; %bb.47:
	v_lshlrev_b32_e32 v0, 3, v0
	s_add_i32 s5, s1, s0
	s_add_u32 s4, s10, s2
	s_addc_u32 s5, s11, s5
                                        ; implicit-def: $vgpr9
                                        ; implicit-def: $vgpr10
	global_store_b64 v0, v[3:4], s[4:5]
                                        ; implicit-def: $vgpr0
                                        ; implicit-def: $vgpr3
.LBB423_48:
	s_and_not1_saveexec_b32 s3, s3
	s_cbranch_execz .LBB423_44
; %bb.49:
	v_lshlrev_b32_e32 v2, 3, v0
	s_add_i32 s1, s1, s0
	s_add_u32 s0, s10, s2
	s_addc_u32 s1, s11, s1
	global_load_b64 v[0:1], v2, s[0:1]
	s_waitcnt vmcnt(0)
	v_fmac_f32_e32 v3, v9, v0
	v_fmac_f32_e32 v4, v10, v0
	s_delay_alu instid0(VALU_DEP_2) | instskip(NEXT) | instid1(VALU_DEP_2)
	v_fma_f32 v3, -v10, v1, v3
	v_fmac_f32_e32 v4, v9, v1
	global_store_b64 v2, v[3:4], s[0:1]
	s_nop 0
	s_sendmsg sendmsg(MSG_DEALLOC_VGPRS)
	s_endpgm
	.section	.rodata,"a",@progbits
	.p2align	6, 0x0
	.amdhsa_kernel _ZN9rocsparseL20bsrxmvn_17_32_kernelILj24E21rocsparse_complex_numIfEllfS2_S2_EEvT2_20rocsparse_direction_NS_24const_host_device_scalarIT0_EES3_PKS3_PKT1_SC_S9_PKT3_PKT4_S7_PT5_21rocsparse_index_base_b
		.amdhsa_group_segment_fixed_size 4608
		.amdhsa_private_segment_fixed_size 0
		.amdhsa_kernarg_size 104
		.amdhsa_user_sgpr_count 15
		.amdhsa_user_sgpr_dispatch_ptr 0
		.amdhsa_user_sgpr_queue_ptr 0
		.amdhsa_user_sgpr_kernarg_segment_ptr 1
		.amdhsa_user_sgpr_dispatch_id 0
		.amdhsa_user_sgpr_private_segment_size 0
		.amdhsa_wavefront_size32 1
		.amdhsa_uses_dynamic_stack 0
		.amdhsa_enable_private_segment 0
		.amdhsa_system_sgpr_workgroup_id_x 1
		.amdhsa_system_sgpr_workgroup_id_y 0
		.amdhsa_system_sgpr_workgroup_id_z 0
		.amdhsa_system_sgpr_workgroup_info 0
		.amdhsa_system_vgpr_workitem_id 0
		.amdhsa_next_free_vgpr 20
		.amdhsa_next_free_sgpr 20
		.amdhsa_reserve_vcc 1
		.amdhsa_float_round_mode_32 0
		.amdhsa_float_round_mode_16_64 0
		.amdhsa_float_denorm_mode_32 3
		.amdhsa_float_denorm_mode_16_64 3
		.amdhsa_dx10_clamp 1
		.amdhsa_ieee_mode 1
		.amdhsa_fp16_overflow 0
		.amdhsa_workgroup_processor_mode 1
		.amdhsa_memory_ordered 1
		.amdhsa_forward_progress 0
		.amdhsa_shared_vgpr_count 0
		.amdhsa_exception_fp_ieee_invalid_op 0
		.amdhsa_exception_fp_denorm_src 0
		.amdhsa_exception_fp_ieee_div_zero 0
		.amdhsa_exception_fp_ieee_overflow 0
		.amdhsa_exception_fp_ieee_underflow 0
		.amdhsa_exception_fp_ieee_inexact 0
		.amdhsa_exception_int_div_zero 0
	.end_amdhsa_kernel
	.section	.text._ZN9rocsparseL20bsrxmvn_17_32_kernelILj24E21rocsparse_complex_numIfEllfS2_S2_EEvT2_20rocsparse_direction_NS_24const_host_device_scalarIT0_EES3_PKS3_PKT1_SC_S9_PKT3_PKT4_S7_PT5_21rocsparse_index_base_b,"axG",@progbits,_ZN9rocsparseL20bsrxmvn_17_32_kernelILj24E21rocsparse_complex_numIfEllfS2_S2_EEvT2_20rocsparse_direction_NS_24const_host_device_scalarIT0_EES3_PKS3_PKT1_SC_S9_PKT3_PKT4_S7_PT5_21rocsparse_index_base_b,comdat
.Lfunc_end423:
	.size	_ZN9rocsparseL20bsrxmvn_17_32_kernelILj24E21rocsparse_complex_numIfEllfS2_S2_EEvT2_20rocsparse_direction_NS_24const_host_device_scalarIT0_EES3_PKS3_PKT1_SC_S9_PKT3_PKT4_S7_PT5_21rocsparse_index_base_b, .Lfunc_end423-_ZN9rocsparseL20bsrxmvn_17_32_kernelILj24E21rocsparse_complex_numIfEllfS2_S2_EEvT2_20rocsparse_direction_NS_24const_host_device_scalarIT0_EES3_PKS3_PKT1_SC_S9_PKT3_PKT4_S7_PT5_21rocsparse_index_base_b
                                        ; -- End function
	.section	.AMDGPU.csdata,"",@progbits
; Kernel info:
; codeLenInByte = 1872
; NumSgprs: 22
; NumVgprs: 20
; ScratchSize: 0
; MemoryBound: 0
; FloatMode: 240
; IeeeMode: 1
; LDSByteSize: 4608 bytes/workgroup (compile time only)
; SGPRBlocks: 2
; VGPRBlocks: 2
; NumSGPRsForWavesPerEU: 22
; NumVGPRsForWavesPerEU: 20
; Occupancy: 14
; WaveLimiterHint : 1
; COMPUTE_PGM_RSRC2:SCRATCH_EN: 0
; COMPUTE_PGM_RSRC2:USER_SGPR: 15
; COMPUTE_PGM_RSRC2:TRAP_HANDLER: 0
; COMPUTE_PGM_RSRC2:TGID_X_EN: 1
; COMPUTE_PGM_RSRC2:TGID_Y_EN: 0
; COMPUTE_PGM_RSRC2:TGID_Z_EN: 0
; COMPUTE_PGM_RSRC2:TIDIG_COMP_CNT: 0
	.section	.text._ZN9rocsparseL20bsrxmvn_17_32_kernelILj25E21rocsparse_complex_numIfEllfS2_S2_EEvT2_20rocsparse_direction_NS_24const_host_device_scalarIT0_EES3_PKS3_PKT1_SC_S9_PKT3_PKT4_S7_PT5_21rocsparse_index_base_b,"axG",@progbits,_ZN9rocsparseL20bsrxmvn_17_32_kernelILj25E21rocsparse_complex_numIfEllfS2_S2_EEvT2_20rocsparse_direction_NS_24const_host_device_scalarIT0_EES3_PKS3_PKT1_SC_S9_PKT3_PKT4_S7_PT5_21rocsparse_index_base_b,comdat
	.globl	_ZN9rocsparseL20bsrxmvn_17_32_kernelILj25E21rocsparse_complex_numIfEllfS2_S2_EEvT2_20rocsparse_direction_NS_24const_host_device_scalarIT0_EES3_PKS3_PKT1_SC_S9_PKT3_PKT4_S7_PT5_21rocsparse_index_base_b ; -- Begin function _ZN9rocsparseL20bsrxmvn_17_32_kernelILj25E21rocsparse_complex_numIfEllfS2_S2_EEvT2_20rocsparse_direction_NS_24const_host_device_scalarIT0_EES3_PKS3_PKT1_SC_S9_PKT3_PKT4_S7_PT5_21rocsparse_index_base_b
	.p2align	8
	.type	_ZN9rocsparseL20bsrxmvn_17_32_kernelILj25E21rocsparse_complex_numIfEllfS2_S2_EEvT2_20rocsparse_direction_NS_24const_host_device_scalarIT0_EES3_PKS3_PKT1_SC_S9_PKT3_PKT4_S7_PT5_21rocsparse_index_base_b,@function
_ZN9rocsparseL20bsrxmvn_17_32_kernelILj25E21rocsparse_complex_numIfEllfS2_S2_EEvT2_20rocsparse_direction_NS_24const_host_device_scalarIT0_EES3_PKS3_PKT1_SC_S9_PKT3_PKT4_S7_PT5_21rocsparse_index_base_b: ; @_ZN9rocsparseL20bsrxmvn_17_32_kernelILj25E21rocsparse_complex_numIfEllfS2_S2_EEvT2_20rocsparse_direction_NS_24const_host_device_scalarIT0_EES3_PKS3_PKT1_SC_S9_PKT3_PKT4_S7_PT5_21rocsparse_index_base_b
; %bb.0:
	s_clause 0x2
	s_load_b64 s[12:13], s[0:1], 0x60
	s_load_b64 s[4:5], s[0:1], 0x10
	;; [unrolled: 1-line block ×3, first 2 shown]
	s_mov_b32 s8, s15
	s_waitcnt lgkmcnt(0)
	s_bitcmp1_b32 s13, 0
	v_mov_b32_e32 v11, s4
	s_cselect_b32 s6, -1, 0
	s_delay_alu instid0(SALU_CYCLE_1)
	s_and_b32 vcc_lo, exec_lo, s6
	s_xor_b32 s6, s6, -1
	s_cbranch_vccz .LBB424_15
; %bb.1:
	v_cndmask_b32_e64 v1, 0, 1, s6
	v_mov_b32_e32 v12, s5
	s_and_not1_b32 vcc_lo, exec_lo, s6
	s_cbranch_vccz .LBB424_16
.LBB424_2:
	s_delay_alu instid0(VALU_DEP_2)
	v_cmp_ne_u32_e32 vcc_lo, 1, v1
	v_mov_b32_e32 v9, s2
	s_cbranch_vccz .LBB424_17
.LBB424_3:
	v_cmp_ne_u32_e32 vcc_lo, 1, v1
	v_mov_b32_e32 v10, s3
	s_cbranch_vccnz .LBB424_5
.LBB424_4:
	v_dual_mov_b32 v1, s2 :: v_dual_mov_b32 v2, s3
	flat_load_b32 v10, v[1:2] offset:4
.LBB424_5:
	s_waitcnt vmcnt(0) lgkmcnt(0)
	v_cmp_eq_f32_e32 vcc_lo, 0, v11
	v_cmp_eq_f32_e64 s2, 0, v12
	s_delay_alu instid0(VALU_DEP_1)
	s_and_b32 s4, vcc_lo, s2
	s_mov_b32 s2, -1
	s_and_saveexec_b32 s3, s4
; %bb.6:
	v_cmp_neq_f32_e32 vcc_lo, 1.0, v9
	v_cmp_neq_f32_e64 s2, 0, v10
	s_delay_alu instid0(VALU_DEP_1) | instskip(NEXT) | instid1(SALU_CYCLE_1)
	s_or_b32 s2, vcc_lo, s2
	s_or_not1_b32 s2, s2, exec_lo
; %bb.7:
	s_or_b32 exec_lo, exec_lo, s3
	s_and_saveexec_b32 s3, s2
	s_cbranch_execz .LBB424_44
; %bb.8:
	s_clause 0x1
	s_load_b128 s[4:7], s[0:1], 0x20
	s_load_b64 s[10:11], s[0:1], 0x30
	s_mov_b32 s9, 0
	s_waitcnt lgkmcnt(0)
	s_cmp_eq_u64 s[4:5], 0
	s_cbranch_scc1 .LBB424_10
; %bb.9:
	s_lshl_b64 s[2:3], s[8:9], 3
	s_delay_alu instid0(SALU_CYCLE_1)
	s_add_u32 s2, s4, s2
	s_addc_u32 s3, s5, s3
	s_load_b64 s[2:3], s[2:3], 0x0
	s_waitcnt lgkmcnt(0)
	s_sub_u32 s8, s2, s12
	s_subb_u32 s9, s3, 0
.LBB424_10:
	s_load_b32 s3, s[0:1], 0x8
	v_mul_u32_u24_e32 v1, 0xa3e, v0
	v_mov_b32_e32 v2, 0
	s_delay_alu instid0(VALU_DEP_2) | instskip(NEXT) | instid1(VALU_DEP_1)
	v_lshrrev_b32_e32 v3, 16, v1
	v_mul_lo_u16 v1, v3, 25
	s_delay_alu instid0(VALU_DEP_1)
	v_sub_nc_u16 v13, v0, v1
	v_mov_b32_e32 v1, 0
	s_waitcnt lgkmcnt(0)
	s_cmp_eq_u32 s3, 1
	s_cselect_b32 s2, -1, 0
	s_cmp_lg_u32 s3, 1
	s_cselect_b32 s13, -1, 0
	s_lshl_b64 s[4:5], s[8:9], 3
	s_delay_alu instid0(SALU_CYCLE_1)
	s_add_u32 s6, s6, s4
	s_addc_u32 s7, s7, s5
	s_add_u32 s3, s6, 8
	s_addc_u32 s14, s7, 0
	;; [unrolled: 2-line block ×3, first 2 shown]
	s_cmp_eq_u64 s[10:11], 0
	s_load_b64 s[10:11], s[0:1], 0x58
	s_cselect_b32 s5, s14, s5
	s_cselect_b32 s4, s3, s4
	s_load_b64 s[14:15], s[6:7], 0x0
	s_load_b64 s[16:17], s[4:5], 0x0
	s_waitcnt lgkmcnt(0)
	v_cmp_ge_i64_e64 s3, s[14:15], s[16:17]
	s_delay_alu instid0(VALU_DEP_1)
	s_and_b32 vcc_lo, exec_lo, s3
	s_cbranch_vccnz .LBB424_18
; %bb.11:
	v_dual_mov_b32 v2, 0 :: v_dual_and_b32 v1, 0xffff, v3
	v_cmp_gt_u32_e32 vcc_lo, 0x271, v0
	s_clause 0x1
	s_load_b128 s[4:7], s[0:1], 0x38
	s_load_b64 s[18:19], s[0:1], 0x48
	v_and_b32_e32 v4, 0xffff, v13
	v_subrev_nc_u32_e32 v3, 25, v1
	s_sub_u32 s0, s16, s12
	s_subb_u32 s1, s17, 0
	s_delay_alu instid0(VALU_DEP_1) | instskip(SKIP_1) | instid1(VALU_DEP_2)
	v_cndmask_b32_e32 v1, v3, v1, vcc_lo
	v_cmp_lt_u32_e32 vcc_lo, 0x270, v0
	v_cndmask_b32_e64 v1, v4, v1, s2
	v_cndmask_b32_e64 v14, 0, 1, vcc_lo
	s_sub_u32 s2, s14, s12
	s_subb_u32 s3, s15, 0
	s_mul_hi_u32 s16, s2, 0x9c4
	v_lshlrev_b64 v[3:4], 3, v[1:2]
	v_add_co_u32 v1, s14, s14, v14
	s_delay_alu instid0(VALU_DEP_1) | instskip(SKIP_2) | instid1(VALU_DEP_3)
	v_add_co_ci_u32_e64 v6, null, s15, 0, s14
	s_mul_i32 s17, s3, 0x9c4
	s_waitcnt lgkmcnt(0)
	v_add_co_u32 v3, vcc_lo, s18, v3
	v_add_co_ci_u32_e32 v4, vcc_lo, s19, v4, vcc_lo
	v_sub_co_u32 v5, vcc_lo, v1, s12
	v_subrev_co_ci_u32_e32 v6, vcc_lo, 0, v6, vcc_lo
	v_lshlrev_b32_e32 v1, 2, v0
	s_mul_i32 s14, s2, 0x9c4
	s_add_i32 s16, s16, s17
	s_delay_alu instid0(VALU_DEP_2) | instskip(SKIP_4) | instid1(VALU_DEP_3)
	v_lshlrev_b64 v[7:8], 3, v[5:6]
	s_add_u32 s6, s6, s14
	s_addc_u32 s7, s7, s16
	v_add_co_u32 v5, s6, s6, v1
	v_mov_b32_e32 v1, v2
	v_add_co_u32 v7, vcc_lo, s4, v7
	v_add_co_ci_u32_e64 v6, null, s7, 0, s6
	v_add_co_ci_u32_e32 v8, vcc_lo, s5, v8, vcc_lo
	s_set_inst_prefetch_distance 0x1
	s_branch .LBB424_13
	.p2align	6
.LBB424_12:                             ;   in Loop: Header=BB424_13 Depth=1
	s_or_b32 exec_lo, exec_lo, s4
	s_add_u32 s2, s2, 1
	s_addc_u32 s3, s3, 0
	v_add_co_u32 v7, vcc_lo, v7, 8
	v_cmp_lt_i64_e64 s4, s[2:3], s[0:1]
	v_add_co_ci_u32_e32 v8, vcc_lo, 0, v8, vcc_lo
	s_delay_alu instid0(VALU_DEP_2)
	s_and_b32 vcc_lo, exec_lo, s4
	s_cbranch_vccz .LBB424_18
.LBB424_13:                             ; =>This Inner Loop Header: Depth=1
	v_add_co_u32 v15, s4, v14, s2
	s_delay_alu instid0(VALU_DEP_1) | instskip(SKIP_1) | instid1(VALU_DEP_1)
	v_add_co_ci_u32_e64 v16, null, 0, s3, s4
	s_mov_b32 s4, exec_lo
	v_cmpx_gt_i64_e64 s[0:1], v[15:16]
	s_cbranch_execz .LBB424_12
; %bb.14:                               ;   in Loop: Header=BB424_13 Depth=1
	global_load_b64 v[15:16], v[7:8], off
	s_waitcnt vmcnt(0)
	v_sub_co_u32 v17, vcc_lo, v15, s12
	v_subrev_co_ci_u32_e32 v19, vcc_lo, 0, v16, vcc_lo
	s_delay_alu instid0(VALU_DEP_2) | instskip(NEXT) | instid1(VALU_DEP_1)
	v_mad_u64_u32 v[15:16], null, 0xc8, v17, v[3:4]
	v_mad_u64_u32 v[17:18], null, 0xc8, v19, v[16:17]
	s_delay_alu instid0(VALU_DEP_1)
	v_mov_b32_e32 v16, v17
	global_load_b32 v17, v[5:6], off
	global_load_b64 v[15:16], v[15:16], off
	v_add_co_u32 v5, vcc_lo, 0x9c4, v5
	v_add_co_ci_u32_e32 v6, vcc_lo, 0, v6, vcc_lo
	s_waitcnt vmcnt(0)
	v_fmac_f32_e32 v1, v17, v15
	s_delay_alu instid0(VALU_DEP_1) | instskip(NEXT) | instid1(VALU_DEP_1)
	v_dual_fmac_f32 v2, 0, v15 :: v_dual_fmac_f32 v1, 0x80000000, v16
	v_fmac_f32_e32 v2, v17, v16
	s_branch .LBB424_12
.LBB424_15:
	v_dual_mov_b32 v1, s4 :: v_dual_mov_b32 v2, s5
	flat_load_b32 v11, v[1:2]
	v_cndmask_b32_e64 v1, 0, 1, s6
	v_mov_b32_e32 v12, s5
	s_and_not1_b32 vcc_lo, exec_lo, s6
	s_cbranch_vccnz .LBB424_2
.LBB424_16:
	v_dual_mov_b32 v2, s4 :: v_dual_mov_b32 v3, s5
	flat_load_b32 v12, v[2:3] offset:4
	v_cmp_ne_u32_e32 vcc_lo, 1, v1
	v_mov_b32_e32 v9, s2
	s_cbranch_vccnz .LBB424_3
.LBB424_17:
	v_dual_mov_b32 v2, s2 :: v_dual_mov_b32 v3, s3
	flat_load_b32 v9, v[2:3]
	v_cmp_ne_u32_e32 vcc_lo, 1, v1
	v_mov_b32_e32 v10, s3
	s_cbranch_vccz .LBB424_4
	s_branch .LBB424_5
.LBB424_18:
	s_set_inst_prefetch_distance 0x2
	v_lshlrev_b32_e32 v3, 3, v0
	s_and_b32 vcc_lo, exec_lo, s13
	ds_store_b64 v3, v[1:2]
	s_waitcnt lgkmcnt(0)
	s_barrier
	buffer_gl0_inv
	s_cbranch_vccz .LBB424_30
; %bb.19:
	s_mov_b32 s0, exec_lo
	v_cmpx_gt_u16_e32 9, v13
	s_cbranch_execz .LBB424_21
; %bb.20:
	ds_load_2addr_b64 v[4:7], v3 offset1:16
	s_waitcnt lgkmcnt(0)
	v_dual_add_f32 v4, v6, v4 :: v_dual_add_f32 v5, v7, v5
	ds_store_b64 v3, v[4:5]
.LBB424_21:
	s_or_b32 exec_lo, exec_lo, s0
	s_delay_alu instid0(SALU_CYCLE_1)
	s_mov_b32 s0, exec_lo
	s_waitcnt lgkmcnt(0)
	s_barrier
	buffer_gl0_inv
	v_cmpx_gt_u16_e32 8, v13
	s_cbranch_execz .LBB424_23
; %bb.22:
	ds_load_2addr_b64 v[4:7], v3 offset1:8
	s_waitcnt lgkmcnt(0)
	v_dual_add_f32 v4, v6, v4 :: v_dual_add_f32 v5, v7, v5
	ds_store_b64 v3, v[4:5]
.LBB424_23:
	s_or_b32 exec_lo, exec_lo, s0
	s_delay_alu instid0(SALU_CYCLE_1)
	s_mov_b32 s0, exec_lo
	s_waitcnt lgkmcnt(0)
	s_barrier
	buffer_gl0_inv
	v_cmpx_gt_u16_e32 4, v13
	s_cbranch_execz .LBB424_25
; %bb.24:
	ds_load_2addr_b64 v[4:7], v3 offset1:4
	s_waitcnt lgkmcnt(0)
	v_dual_add_f32 v4, v6, v4 :: v_dual_add_f32 v5, v7, v5
	ds_store_b64 v3, v[4:5]
.LBB424_25:
	s_or_b32 exec_lo, exec_lo, s0
	s_delay_alu instid0(SALU_CYCLE_1)
	s_mov_b32 s0, exec_lo
	s_waitcnt lgkmcnt(0)
	s_barrier
	buffer_gl0_inv
	v_cmpx_gt_u16_e32 2, v13
	s_cbranch_execz .LBB424_27
; %bb.26:
	ds_load_2addr_b64 v[4:7], v3 offset1:2
	s_waitcnt lgkmcnt(0)
	v_dual_add_f32 v4, v6, v4 :: v_dual_add_f32 v5, v7, v5
	ds_store_b64 v3, v[4:5]
.LBB424_27:
	s_or_b32 exec_lo, exec_lo, s0
	s_mov_b32 s1, 0
	s_mov_b32 s0, 0
	s_mov_b32 s2, exec_lo
	s_waitcnt lgkmcnt(0)
	s_barrier
	buffer_gl0_inv
                                        ; implicit-def: $vgpr5
                                        ; implicit-def: $vgpr4
	v_cmpx_gt_u32_e32 25, v0
	s_xor_b32 s2, exec_lo, s2
; %bb.28:
	v_mul_u32_u24_e32 v5, 25, v0
	v_mad_u32_u24 v4, v0, 25, 1
	s_mov_b32 s0, exec_lo
	s_delay_alu instid0(VALU_DEP_2)
	v_lshlrev_b32_e32 v5, 3, v5
; %bb.29:
	s_or_b32 exec_lo, exec_lo, s2
	s_delay_alu instid0(SALU_CYCLE_1)
	s_and_b32 vcc_lo, exec_lo, s1
	s_cbranch_vccnz .LBB424_31
	s_branch .LBB424_42
.LBB424_30:
	s_mov_b32 s0, 0
                                        ; implicit-def: $vgpr5
                                        ; implicit-def: $vgpr4
	s_cbranch_execz .LBB424_42
.LBB424_31:
	s_mov_b32 s1, exec_lo
	v_cmpx_gt_u32_e32 0xe1, v0
	s_cbranch_execz .LBB424_33
; %bb.32:
	ds_load_b64 v[4:5], v3 offset:3200
	ds_load_b64 v[6:7], v3
	s_waitcnt lgkmcnt(0)
	v_dual_add_f32 v4, v4, v6 :: v_dual_add_f32 v5, v5, v7
	ds_store_b64 v3, v[4:5]
.LBB424_33:
	s_or_b32 exec_lo, exec_lo, s1
	s_delay_alu instid0(SALU_CYCLE_1)
	s_mov_b32 s1, exec_lo
	s_waitcnt lgkmcnt(0)
	s_barrier
	buffer_gl0_inv
	v_cmpx_gt_u32_e32 0xc8, v0
	s_cbranch_execz .LBB424_35
; %bb.34:
	ds_load_2addr_b64 v[4:7], v3 offset1:200
	s_waitcnt lgkmcnt(0)
	v_dual_add_f32 v4, v6, v4 :: v_dual_add_f32 v5, v7, v5
	ds_store_b64 v3, v[4:5]
.LBB424_35:
	s_or_b32 exec_lo, exec_lo, s1
	s_delay_alu instid0(SALU_CYCLE_1)
	s_mov_b32 s1, exec_lo
	s_waitcnt lgkmcnt(0)
	s_barrier
	buffer_gl0_inv
	v_cmpx_gt_u32_e32 0x64, v0
	s_cbranch_execz .LBB424_37
; %bb.36:
	ds_load_2addr_b64 v[4:7], v3 offset1:100
	s_waitcnt lgkmcnt(0)
	v_dual_add_f32 v4, v6, v4 :: v_dual_add_f32 v5, v7, v5
	ds_store_b64 v3, v[4:5]
.LBB424_37:
	;; [unrolled: 14-line block ×3, first 2 shown]
	s_or_b32 exec_lo, exec_lo, s1
	s_delay_alu instid0(SALU_CYCLE_1)
	s_mov_b32 s1, exec_lo
	s_waitcnt lgkmcnt(0)
	buffer_gl0_inv
                                        ; implicit-def: $vgpr4
	v_cmpx_gt_u32_e32 25, v0
; %bb.40:
	v_add_nc_u32_e32 v4, 25, v0
                                        ; kill: def $vgpr1 killed $sgpr0 killed $exec
	s_or_b32 s0, s0, exec_lo
                                        ; implicit-def: $vgpr2
; %bb.41:
	s_or_b32 exec_lo, exec_lo, s1
	v_mov_b32_e32 v5, v3
.LBB424_42:
	s_and_saveexec_b32 s1, s0
	s_cbranch_execnz .LBB424_45
; %bb.43:
	s_or_b32 exec_lo, exec_lo, s1
	v_cmp_gt_u32_e32 vcc_lo, 25, v0
	s_and_b32 exec_lo, exec_lo, vcc_lo
	s_cbranch_execnz .LBB424_46
.LBB424_44:
	s_nop 0
	s_sendmsg sendmsg(MSG_DEALLOC_VGPRS)
	s_endpgm
.LBB424_45:
	v_lshlrev_b32_e32 v3, 3, v4
	ds_load_2addr_b32 v[1:2], v5 offset1:1
	ds_load_b64 v[3:4], v3
	s_waitcnt lgkmcnt(0)
	v_dual_add_f32 v2, v4, v2 :: v_dual_add_f32 v1, v3, v1
	s_or_b32 exec_lo, exec_lo, s1
	v_cmp_gt_u32_e32 vcc_lo, 25, v0
	s_and_b32 exec_lo, exec_lo, vcc_lo
	s_cbranch_execz .LBB424_44
.LBB424_46:
	v_mul_f32_e64 v3, v2, -v12
	v_mul_f32_e32 v4, v2, v11
	v_cmp_eq_f32_e32 vcc_lo, 0, v9
	v_cmp_eq_f32_e64 s0, 0, v10
	s_mul_hi_u32 s1, s8, 0xc8
	v_fmac_f32_e32 v3, v11, v1
	v_fmac_f32_e32 v4, v12, v1
	s_mul_i32 s2, s8, 0xc8
	s_and_b32 s3, vcc_lo, s0
	s_mul_i32 s0, s9, 0xc8
	s_and_saveexec_b32 s4, s3
	s_delay_alu instid0(SALU_CYCLE_1)
	s_xor_b32 s3, exec_lo, s4
	s_cbranch_execz .LBB424_48
; %bb.47:
	v_lshlrev_b32_e32 v0, 3, v0
	s_add_i32 s5, s1, s0
	s_add_u32 s4, s10, s2
	s_addc_u32 s5, s11, s5
                                        ; implicit-def: $vgpr9
                                        ; implicit-def: $vgpr10
	global_store_b64 v0, v[3:4], s[4:5]
                                        ; implicit-def: $vgpr0
                                        ; implicit-def: $vgpr3
.LBB424_48:
	s_and_not1_saveexec_b32 s3, s3
	s_cbranch_execz .LBB424_44
; %bb.49:
	v_lshlrev_b32_e32 v2, 3, v0
	s_add_i32 s1, s1, s0
	s_add_u32 s0, s10, s2
	s_addc_u32 s1, s11, s1
	global_load_b64 v[0:1], v2, s[0:1]
	s_waitcnt vmcnt(0)
	v_fmac_f32_e32 v3, v9, v0
	v_fmac_f32_e32 v4, v10, v0
	s_delay_alu instid0(VALU_DEP_2) | instskip(NEXT) | instid1(VALU_DEP_2)
	v_fma_f32 v3, -v10, v1, v3
	v_fmac_f32_e32 v4, v9, v1
	global_store_b64 v2, v[3:4], s[0:1]
	s_nop 0
	s_sendmsg sendmsg(MSG_DEALLOC_VGPRS)
	s_endpgm
	.section	.rodata,"a",@progbits
	.p2align	6, 0x0
	.amdhsa_kernel _ZN9rocsparseL20bsrxmvn_17_32_kernelILj25E21rocsparse_complex_numIfEllfS2_S2_EEvT2_20rocsparse_direction_NS_24const_host_device_scalarIT0_EES3_PKS3_PKT1_SC_S9_PKT3_PKT4_S7_PT5_21rocsparse_index_base_b
		.amdhsa_group_segment_fixed_size 5000
		.amdhsa_private_segment_fixed_size 0
		.amdhsa_kernarg_size 104
		.amdhsa_user_sgpr_count 15
		.amdhsa_user_sgpr_dispatch_ptr 0
		.amdhsa_user_sgpr_queue_ptr 0
		.amdhsa_user_sgpr_kernarg_segment_ptr 1
		.amdhsa_user_sgpr_dispatch_id 0
		.amdhsa_user_sgpr_private_segment_size 0
		.amdhsa_wavefront_size32 1
		.amdhsa_uses_dynamic_stack 0
		.amdhsa_enable_private_segment 0
		.amdhsa_system_sgpr_workgroup_id_x 1
		.amdhsa_system_sgpr_workgroup_id_y 0
		.amdhsa_system_sgpr_workgroup_id_z 0
		.amdhsa_system_sgpr_workgroup_info 0
		.amdhsa_system_vgpr_workitem_id 0
		.amdhsa_next_free_vgpr 20
		.amdhsa_next_free_sgpr 20
		.amdhsa_reserve_vcc 1
		.amdhsa_float_round_mode_32 0
		.amdhsa_float_round_mode_16_64 0
		.amdhsa_float_denorm_mode_32 3
		.amdhsa_float_denorm_mode_16_64 3
		.amdhsa_dx10_clamp 1
		.amdhsa_ieee_mode 1
		.amdhsa_fp16_overflow 0
		.amdhsa_workgroup_processor_mode 1
		.amdhsa_memory_ordered 1
		.amdhsa_forward_progress 0
		.amdhsa_shared_vgpr_count 0
		.amdhsa_exception_fp_ieee_invalid_op 0
		.amdhsa_exception_fp_denorm_src 0
		.amdhsa_exception_fp_ieee_div_zero 0
		.amdhsa_exception_fp_ieee_overflow 0
		.amdhsa_exception_fp_ieee_underflow 0
		.amdhsa_exception_fp_ieee_inexact 0
		.amdhsa_exception_int_div_zero 0
	.end_amdhsa_kernel
	.section	.text._ZN9rocsparseL20bsrxmvn_17_32_kernelILj25E21rocsparse_complex_numIfEllfS2_S2_EEvT2_20rocsparse_direction_NS_24const_host_device_scalarIT0_EES3_PKS3_PKT1_SC_S9_PKT3_PKT4_S7_PT5_21rocsparse_index_base_b,"axG",@progbits,_ZN9rocsparseL20bsrxmvn_17_32_kernelILj25E21rocsparse_complex_numIfEllfS2_S2_EEvT2_20rocsparse_direction_NS_24const_host_device_scalarIT0_EES3_PKS3_PKT1_SC_S9_PKT3_PKT4_S7_PT5_21rocsparse_index_base_b,comdat
.Lfunc_end424:
	.size	_ZN9rocsparseL20bsrxmvn_17_32_kernelILj25E21rocsparse_complex_numIfEllfS2_S2_EEvT2_20rocsparse_direction_NS_24const_host_device_scalarIT0_EES3_PKS3_PKT1_SC_S9_PKT3_PKT4_S7_PT5_21rocsparse_index_base_b, .Lfunc_end424-_ZN9rocsparseL20bsrxmvn_17_32_kernelILj25E21rocsparse_complex_numIfEllfS2_S2_EEvT2_20rocsparse_direction_NS_24const_host_device_scalarIT0_EES3_PKS3_PKT1_SC_S9_PKT3_PKT4_S7_PT5_21rocsparse_index_base_b
                                        ; -- End function
	.section	.AMDGPU.csdata,"",@progbits
; Kernel info:
; codeLenInByte = 1904
; NumSgprs: 22
; NumVgprs: 20
; ScratchSize: 0
; MemoryBound: 0
; FloatMode: 240
; IeeeMode: 1
; LDSByteSize: 5000 bytes/workgroup (compile time only)
; SGPRBlocks: 2
; VGPRBlocks: 2
; NumSGPRsForWavesPerEU: 22
; NumVGPRsForWavesPerEU: 20
; Occupancy: 15
; WaveLimiterHint : 1
; COMPUTE_PGM_RSRC2:SCRATCH_EN: 0
; COMPUTE_PGM_RSRC2:USER_SGPR: 15
; COMPUTE_PGM_RSRC2:TRAP_HANDLER: 0
; COMPUTE_PGM_RSRC2:TGID_X_EN: 1
; COMPUTE_PGM_RSRC2:TGID_Y_EN: 0
; COMPUTE_PGM_RSRC2:TGID_Z_EN: 0
; COMPUTE_PGM_RSRC2:TIDIG_COMP_CNT: 0
	.section	.text._ZN9rocsparseL20bsrxmvn_17_32_kernelILj26E21rocsparse_complex_numIfEllfS2_S2_EEvT2_20rocsparse_direction_NS_24const_host_device_scalarIT0_EES3_PKS3_PKT1_SC_S9_PKT3_PKT4_S7_PT5_21rocsparse_index_base_b,"axG",@progbits,_ZN9rocsparseL20bsrxmvn_17_32_kernelILj26E21rocsparse_complex_numIfEllfS2_S2_EEvT2_20rocsparse_direction_NS_24const_host_device_scalarIT0_EES3_PKS3_PKT1_SC_S9_PKT3_PKT4_S7_PT5_21rocsparse_index_base_b,comdat
	.globl	_ZN9rocsparseL20bsrxmvn_17_32_kernelILj26E21rocsparse_complex_numIfEllfS2_S2_EEvT2_20rocsparse_direction_NS_24const_host_device_scalarIT0_EES3_PKS3_PKT1_SC_S9_PKT3_PKT4_S7_PT5_21rocsparse_index_base_b ; -- Begin function _ZN9rocsparseL20bsrxmvn_17_32_kernelILj26E21rocsparse_complex_numIfEllfS2_S2_EEvT2_20rocsparse_direction_NS_24const_host_device_scalarIT0_EES3_PKS3_PKT1_SC_S9_PKT3_PKT4_S7_PT5_21rocsparse_index_base_b
	.p2align	8
	.type	_ZN9rocsparseL20bsrxmvn_17_32_kernelILj26E21rocsparse_complex_numIfEllfS2_S2_EEvT2_20rocsparse_direction_NS_24const_host_device_scalarIT0_EES3_PKS3_PKT1_SC_S9_PKT3_PKT4_S7_PT5_21rocsparse_index_base_b,@function
_ZN9rocsparseL20bsrxmvn_17_32_kernelILj26E21rocsparse_complex_numIfEllfS2_S2_EEvT2_20rocsparse_direction_NS_24const_host_device_scalarIT0_EES3_PKS3_PKT1_SC_S9_PKT3_PKT4_S7_PT5_21rocsparse_index_base_b: ; @_ZN9rocsparseL20bsrxmvn_17_32_kernelILj26E21rocsparse_complex_numIfEllfS2_S2_EEvT2_20rocsparse_direction_NS_24const_host_device_scalarIT0_EES3_PKS3_PKT1_SC_S9_PKT3_PKT4_S7_PT5_21rocsparse_index_base_b
; %bb.0:
	s_clause 0x2
	s_load_b64 s[12:13], s[0:1], 0x60
	s_load_b64 s[4:5], s[0:1], 0x10
	;; [unrolled: 1-line block ×3, first 2 shown]
	s_mov_b32 s8, s15
	s_waitcnt lgkmcnt(0)
	s_bitcmp1_b32 s13, 0
	v_mov_b32_e32 v11, s4
	s_cselect_b32 s6, -1, 0
	s_delay_alu instid0(SALU_CYCLE_1)
	s_and_b32 vcc_lo, exec_lo, s6
	s_xor_b32 s6, s6, -1
	s_cbranch_vccz .LBB425_15
; %bb.1:
	v_cndmask_b32_e64 v1, 0, 1, s6
	v_mov_b32_e32 v12, s5
	s_and_not1_b32 vcc_lo, exec_lo, s6
	s_cbranch_vccz .LBB425_16
.LBB425_2:
	s_delay_alu instid0(VALU_DEP_2)
	v_cmp_ne_u32_e32 vcc_lo, 1, v1
	v_mov_b32_e32 v9, s2
	s_cbranch_vccz .LBB425_17
.LBB425_3:
	v_cmp_ne_u32_e32 vcc_lo, 1, v1
	v_mov_b32_e32 v10, s3
	s_cbranch_vccnz .LBB425_5
.LBB425_4:
	v_dual_mov_b32 v1, s2 :: v_dual_mov_b32 v2, s3
	flat_load_b32 v10, v[1:2] offset:4
.LBB425_5:
	s_waitcnt vmcnt(0) lgkmcnt(0)
	v_cmp_eq_f32_e32 vcc_lo, 0, v11
	v_cmp_eq_f32_e64 s2, 0, v12
	s_delay_alu instid0(VALU_DEP_1)
	s_and_b32 s4, vcc_lo, s2
	s_mov_b32 s2, -1
	s_and_saveexec_b32 s3, s4
; %bb.6:
	v_cmp_neq_f32_e32 vcc_lo, 1.0, v9
	v_cmp_neq_f32_e64 s2, 0, v10
	s_delay_alu instid0(VALU_DEP_1) | instskip(NEXT) | instid1(SALU_CYCLE_1)
	s_or_b32 s2, vcc_lo, s2
	s_or_not1_b32 s2, s2, exec_lo
; %bb.7:
	s_or_b32 exec_lo, exec_lo, s3
	s_and_saveexec_b32 s3, s2
	s_cbranch_execz .LBB425_44
; %bb.8:
	s_clause 0x1
	s_load_b128 s[4:7], s[0:1], 0x20
	s_load_b64 s[10:11], s[0:1], 0x30
	s_mov_b32 s9, 0
	s_waitcnt lgkmcnt(0)
	s_cmp_eq_u64 s[4:5], 0
	s_cbranch_scc1 .LBB425_10
; %bb.9:
	s_lshl_b64 s[2:3], s[8:9], 3
	s_delay_alu instid0(SALU_CYCLE_1)
	s_add_u32 s2, s4, s2
	s_addc_u32 s3, s5, s3
	s_load_b64 s[2:3], s[2:3], 0x0
	s_waitcnt lgkmcnt(0)
	s_sub_u32 s8, s2, s12
	s_subb_u32 s9, s3, 0
.LBB425_10:
	s_load_b32 s3, s[0:1], 0x8
	v_mul_u32_u24_e32 v1, 0x9d9, v0
	v_mov_b32_e32 v2, 0
	s_delay_alu instid0(VALU_DEP_2) | instskip(NEXT) | instid1(VALU_DEP_1)
	v_lshrrev_b32_e32 v3, 16, v1
	v_mul_lo_u16 v1, v3, 26
	s_delay_alu instid0(VALU_DEP_1)
	v_sub_nc_u16 v13, v0, v1
	v_mov_b32_e32 v1, 0
	s_waitcnt lgkmcnt(0)
	s_cmp_eq_u32 s3, 1
	s_cselect_b32 s2, -1, 0
	s_cmp_lg_u32 s3, 1
	s_cselect_b32 s13, -1, 0
	s_lshl_b64 s[4:5], s[8:9], 3
	s_delay_alu instid0(SALU_CYCLE_1)
	s_add_u32 s6, s6, s4
	s_addc_u32 s7, s7, s5
	s_add_u32 s3, s6, 8
	s_addc_u32 s14, s7, 0
	;; [unrolled: 2-line block ×3, first 2 shown]
	s_cmp_eq_u64 s[10:11], 0
	s_load_b64 s[10:11], s[0:1], 0x58
	s_cselect_b32 s5, s14, s5
	s_cselect_b32 s4, s3, s4
	s_load_b64 s[14:15], s[6:7], 0x0
	s_load_b64 s[16:17], s[4:5], 0x0
	s_waitcnt lgkmcnt(0)
	v_cmp_ge_i64_e64 s3, s[14:15], s[16:17]
	s_delay_alu instid0(VALU_DEP_1)
	s_and_b32 vcc_lo, exec_lo, s3
	s_cbranch_vccnz .LBB425_18
; %bb.11:
	v_dual_mov_b32 v2, 0 :: v_dual_and_b32 v1, 0xffff, v3
	v_cmp_gt_u32_e32 vcc_lo, 0x2a4, v0
	s_clause 0x1
	s_load_b128 s[4:7], s[0:1], 0x38
	s_load_b64 s[18:19], s[0:1], 0x48
	v_and_b32_e32 v4, 0xffff, v13
	v_subrev_nc_u32_e32 v3, 26, v1
	s_sub_u32 s0, s16, s12
	s_subb_u32 s1, s17, 0
	s_delay_alu instid0(VALU_DEP_1) | instskip(SKIP_1) | instid1(VALU_DEP_2)
	v_cndmask_b32_e32 v1, v3, v1, vcc_lo
	v_cmp_lt_u32_e32 vcc_lo, 0x2a3, v0
	v_cndmask_b32_e64 v1, v4, v1, s2
	v_cndmask_b32_e64 v14, 0, 1, vcc_lo
	s_sub_u32 s2, s14, s12
	s_subb_u32 s3, s15, 0
	s_mul_hi_u32 s16, s2, 0xa90
	v_lshlrev_b64 v[3:4], 3, v[1:2]
	v_add_co_u32 v1, s14, s14, v14
	s_delay_alu instid0(VALU_DEP_1) | instskip(SKIP_2) | instid1(VALU_DEP_3)
	v_add_co_ci_u32_e64 v6, null, s15, 0, s14
	s_mul_i32 s17, s3, 0xa90
	s_waitcnt lgkmcnt(0)
	v_add_co_u32 v3, vcc_lo, s18, v3
	v_add_co_ci_u32_e32 v4, vcc_lo, s19, v4, vcc_lo
	v_sub_co_u32 v5, vcc_lo, v1, s12
	v_subrev_co_ci_u32_e32 v6, vcc_lo, 0, v6, vcc_lo
	v_lshlrev_b32_e32 v1, 2, v0
	s_mul_i32 s14, s2, 0xa90
	s_add_i32 s16, s16, s17
	s_delay_alu instid0(VALU_DEP_2) | instskip(SKIP_4) | instid1(VALU_DEP_3)
	v_lshlrev_b64 v[7:8], 3, v[5:6]
	s_add_u32 s6, s6, s14
	s_addc_u32 s7, s7, s16
	v_add_co_u32 v5, s6, s6, v1
	v_mov_b32_e32 v1, v2
	v_add_co_u32 v7, vcc_lo, s4, v7
	v_add_co_ci_u32_e64 v6, null, s7, 0, s6
	v_add_co_ci_u32_e32 v8, vcc_lo, s5, v8, vcc_lo
	s_set_inst_prefetch_distance 0x1
	s_branch .LBB425_13
	.p2align	6
.LBB425_12:                             ;   in Loop: Header=BB425_13 Depth=1
	s_or_b32 exec_lo, exec_lo, s4
	s_add_u32 s2, s2, 1
	s_addc_u32 s3, s3, 0
	v_add_co_u32 v7, vcc_lo, v7, 8
	v_cmp_lt_i64_e64 s4, s[2:3], s[0:1]
	v_add_co_ci_u32_e32 v8, vcc_lo, 0, v8, vcc_lo
	s_delay_alu instid0(VALU_DEP_2)
	s_and_b32 vcc_lo, exec_lo, s4
	s_cbranch_vccz .LBB425_18
.LBB425_13:                             ; =>This Inner Loop Header: Depth=1
	v_add_co_u32 v15, s4, v14, s2
	s_delay_alu instid0(VALU_DEP_1) | instskip(SKIP_1) | instid1(VALU_DEP_1)
	v_add_co_ci_u32_e64 v16, null, 0, s3, s4
	s_mov_b32 s4, exec_lo
	v_cmpx_gt_i64_e64 s[0:1], v[15:16]
	s_cbranch_execz .LBB425_12
; %bb.14:                               ;   in Loop: Header=BB425_13 Depth=1
	global_load_b64 v[15:16], v[7:8], off
	s_waitcnt vmcnt(0)
	v_sub_co_u32 v17, vcc_lo, v15, s12
	v_subrev_co_ci_u32_e32 v19, vcc_lo, 0, v16, vcc_lo
	s_delay_alu instid0(VALU_DEP_2) | instskip(NEXT) | instid1(VALU_DEP_1)
	v_mad_u64_u32 v[15:16], null, 0xd0, v17, v[3:4]
	v_mad_u64_u32 v[17:18], null, 0xd0, v19, v[16:17]
	s_delay_alu instid0(VALU_DEP_1)
	v_mov_b32_e32 v16, v17
	global_load_b32 v17, v[5:6], off
	global_load_b64 v[15:16], v[15:16], off
	v_add_co_u32 v5, vcc_lo, 0xa90, v5
	v_add_co_ci_u32_e32 v6, vcc_lo, 0, v6, vcc_lo
	s_waitcnt vmcnt(0)
	v_fmac_f32_e32 v1, v17, v15
	s_delay_alu instid0(VALU_DEP_1) | instskip(NEXT) | instid1(VALU_DEP_1)
	v_dual_fmac_f32 v2, 0, v15 :: v_dual_fmac_f32 v1, 0x80000000, v16
	v_fmac_f32_e32 v2, v17, v16
	s_branch .LBB425_12
.LBB425_15:
	v_dual_mov_b32 v1, s4 :: v_dual_mov_b32 v2, s5
	flat_load_b32 v11, v[1:2]
	v_cndmask_b32_e64 v1, 0, 1, s6
	v_mov_b32_e32 v12, s5
	s_and_not1_b32 vcc_lo, exec_lo, s6
	s_cbranch_vccnz .LBB425_2
.LBB425_16:
	v_dual_mov_b32 v2, s4 :: v_dual_mov_b32 v3, s5
	flat_load_b32 v12, v[2:3] offset:4
	v_cmp_ne_u32_e32 vcc_lo, 1, v1
	v_mov_b32_e32 v9, s2
	s_cbranch_vccnz .LBB425_3
.LBB425_17:
	v_dual_mov_b32 v2, s2 :: v_dual_mov_b32 v3, s3
	flat_load_b32 v9, v[2:3]
	v_cmp_ne_u32_e32 vcc_lo, 1, v1
	v_mov_b32_e32 v10, s3
	s_cbranch_vccz .LBB425_4
	s_branch .LBB425_5
.LBB425_18:
	s_set_inst_prefetch_distance 0x2
	v_lshlrev_b32_e32 v3, 3, v0
	s_and_b32 vcc_lo, exec_lo, s13
	ds_store_b64 v3, v[1:2]
	s_waitcnt lgkmcnt(0)
	s_barrier
	buffer_gl0_inv
	s_cbranch_vccz .LBB425_30
; %bb.19:
	s_mov_b32 s0, exec_lo
	v_cmpx_gt_u16_e32 10, v13
	s_cbranch_execz .LBB425_21
; %bb.20:
	ds_load_2addr_b64 v[4:7], v3 offset1:16
	s_waitcnt lgkmcnt(0)
	v_dual_add_f32 v4, v6, v4 :: v_dual_add_f32 v5, v7, v5
	ds_store_b64 v3, v[4:5]
.LBB425_21:
	s_or_b32 exec_lo, exec_lo, s0
	s_delay_alu instid0(SALU_CYCLE_1)
	s_mov_b32 s0, exec_lo
	s_waitcnt lgkmcnt(0)
	s_barrier
	buffer_gl0_inv
	v_cmpx_gt_u16_e32 8, v13
	s_cbranch_execz .LBB425_23
; %bb.22:
	ds_load_2addr_b64 v[4:7], v3 offset1:8
	s_waitcnt lgkmcnt(0)
	v_dual_add_f32 v4, v6, v4 :: v_dual_add_f32 v5, v7, v5
	ds_store_b64 v3, v[4:5]
.LBB425_23:
	s_or_b32 exec_lo, exec_lo, s0
	s_delay_alu instid0(SALU_CYCLE_1)
	s_mov_b32 s0, exec_lo
	s_waitcnt lgkmcnt(0)
	s_barrier
	buffer_gl0_inv
	;; [unrolled: 14-line block ×3, first 2 shown]
	v_cmpx_gt_u16_e32 2, v13
	s_cbranch_execz .LBB425_27
; %bb.26:
	ds_load_2addr_b64 v[4:7], v3 offset1:2
	s_waitcnt lgkmcnt(0)
	v_dual_add_f32 v4, v6, v4 :: v_dual_add_f32 v5, v7, v5
	ds_store_b64 v3, v[4:5]
.LBB425_27:
	s_or_b32 exec_lo, exec_lo, s0
	s_mov_b32 s1, 0
	s_mov_b32 s0, 0
	s_mov_b32 s2, exec_lo
	s_waitcnt lgkmcnt(0)
	s_barrier
	buffer_gl0_inv
                                        ; implicit-def: $vgpr5
                                        ; implicit-def: $vgpr4
	v_cmpx_gt_u32_e32 26, v0
	s_xor_b32 s2, exec_lo, s2
; %bb.28:
	v_mul_u32_u24_e32 v4, 26, v0
	s_mov_b32 s0, exec_lo
	s_delay_alu instid0(VALU_DEP_1)
	v_lshlrev_b32_e32 v5, 3, v4
	v_or_b32_e32 v4, 1, v4
; %bb.29:
	s_or_b32 exec_lo, exec_lo, s2
	s_delay_alu instid0(SALU_CYCLE_1)
	s_and_b32 vcc_lo, exec_lo, s1
	s_cbranch_vccnz .LBB425_31
	s_branch .LBB425_42
.LBB425_30:
	s_mov_b32 s0, 0
                                        ; implicit-def: $vgpr5
                                        ; implicit-def: $vgpr4
	s_cbranch_execz .LBB425_42
.LBB425_31:
	s_mov_b32 s1, exec_lo
	v_cmpx_gt_u32_e32 0x104, v0
	s_cbranch_execz .LBB425_33
; %bb.32:
	ds_load_b64 v[4:5], v3 offset:3328
	ds_load_b64 v[6:7], v3
	s_waitcnt lgkmcnt(0)
	v_dual_add_f32 v4, v4, v6 :: v_dual_add_f32 v5, v5, v7
	ds_store_b64 v3, v[4:5]
.LBB425_33:
	s_or_b32 exec_lo, exec_lo, s1
	s_delay_alu instid0(SALU_CYCLE_1)
	s_mov_b32 s1, exec_lo
	s_waitcnt lgkmcnt(0)
	s_barrier
	buffer_gl0_inv
	v_cmpx_gt_u32_e32 0xd0, v0
	s_cbranch_execz .LBB425_35
; %bb.34:
	ds_load_2addr_b64 v[4:7], v3 offset1:208
	s_waitcnt lgkmcnt(0)
	v_dual_add_f32 v4, v6, v4 :: v_dual_add_f32 v5, v7, v5
	ds_store_b64 v3, v[4:5]
.LBB425_35:
	s_or_b32 exec_lo, exec_lo, s1
	s_delay_alu instid0(SALU_CYCLE_1)
	s_mov_b32 s1, exec_lo
	s_waitcnt lgkmcnt(0)
	s_barrier
	buffer_gl0_inv
	v_cmpx_gt_u32_e32 0x68, v0
	s_cbranch_execz .LBB425_37
; %bb.36:
	ds_load_2addr_b64 v[4:7], v3 offset1:104
	s_waitcnt lgkmcnt(0)
	v_dual_add_f32 v4, v6, v4 :: v_dual_add_f32 v5, v7, v5
	ds_store_b64 v3, v[4:5]
.LBB425_37:
	;; [unrolled: 14-line block ×3, first 2 shown]
	s_or_b32 exec_lo, exec_lo, s1
	s_delay_alu instid0(SALU_CYCLE_1)
	s_mov_b32 s1, exec_lo
	s_waitcnt lgkmcnt(0)
	buffer_gl0_inv
                                        ; implicit-def: $vgpr4
	v_cmpx_gt_u32_e32 26, v0
; %bb.40:
	v_add_nc_u32_e32 v4, 26, v0
                                        ; kill: def $vgpr1 killed $sgpr0 killed $exec
	s_or_b32 s0, s0, exec_lo
                                        ; implicit-def: $vgpr2
; %bb.41:
	s_or_b32 exec_lo, exec_lo, s1
	v_mov_b32_e32 v5, v3
.LBB425_42:
	s_and_saveexec_b32 s1, s0
	s_cbranch_execnz .LBB425_45
; %bb.43:
	s_or_b32 exec_lo, exec_lo, s1
	v_cmp_gt_u32_e32 vcc_lo, 26, v0
	s_and_b32 exec_lo, exec_lo, vcc_lo
	s_cbranch_execnz .LBB425_46
.LBB425_44:
	s_nop 0
	s_sendmsg sendmsg(MSG_DEALLOC_VGPRS)
	s_endpgm
.LBB425_45:
	v_lshlrev_b32_e32 v3, 3, v4
	ds_load_2addr_b32 v[1:2], v5 offset1:1
	ds_load_b64 v[3:4], v3
	s_waitcnt lgkmcnt(0)
	v_dual_add_f32 v2, v4, v2 :: v_dual_add_f32 v1, v3, v1
	s_or_b32 exec_lo, exec_lo, s1
	v_cmp_gt_u32_e32 vcc_lo, 26, v0
	s_and_b32 exec_lo, exec_lo, vcc_lo
	s_cbranch_execz .LBB425_44
.LBB425_46:
	v_mul_f32_e64 v3, v2, -v12
	v_mul_f32_e32 v4, v2, v11
	v_cmp_eq_f32_e32 vcc_lo, 0, v9
	v_cmp_eq_f32_e64 s0, 0, v10
	s_mul_hi_u32 s1, s8, 0xd0
	v_fmac_f32_e32 v3, v11, v1
	v_fmac_f32_e32 v4, v12, v1
	s_mul_i32 s2, s8, 0xd0
	s_and_b32 s3, vcc_lo, s0
	s_mul_i32 s0, s9, 0xd0
	s_and_saveexec_b32 s4, s3
	s_delay_alu instid0(SALU_CYCLE_1)
	s_xor_b32 s3, exec_lo, s4
	s_cbranch_execz .LBB425_48
; %bb.47:
	v_lshlrev_b32_e32 v0, 3, v0
	s_add_i32 s5, s1, s0
	s_add_u32 s4, s10, s2
	s_addc_u32 s5, s11, s5
                                        ; implicit-def: $vgpr9
                                        ; implicit-def: $vgpr10
	global_store_b64 v0, v[3:4], s[4:5]
                                        ; implicit-def: $vgpr0
                                        ; implicit-def: $vgpr3
.LBB425_48:
	s_and_not1_saveexec_b32 s3, s3
	s_cbranch_execz .LBB425_44
; %bb.49:
	v_lshlrev_b32_e32 v2, 3, v0
	s_add_i32 s1, s1, s0
	s_add_u32 s0, s10, s2
	s_addc_u32 s1, s11, s1
	global_load_b64 v[0:1], v2, s[0:1]
	s_waitcnt vmcnt(0)
	v_fmac_f32_e32 v3, v9, v0
	v_fmac_f32_e32 v4, v10, v0
	s_delay_alu instid0(VALU_DEP_2) | instskip(NEXT) | instid1(VALU_DEP_2)
	v_fma_f32 v3, -v10, v1, v3
	v_fmac_f32_e32 v4, v9, v1
	global_store_b64 v2, v[3:4], s[0:1]
	s_nop 0
	s_sendmsg sendmsg(MSG_DEALLOC_VGPRS)
	s_endpgm
	.section	.rodata,"a",@progbits
	.p2align	6, 0x0
	.amdhsa_kernel _ZN9rocsparseL20bsrxmvn_17_32_kernelILj26E21rocsparse_complex_numIfEllfS2_S2_EEvT2_20rocsparse_direction_NS_24const_host_device_scalarIT0_EES3_PKS3_PKT1_SC_S9_PKT3_PKT4_S7_PT5_21rocsparse_index_base_b
		.amdhsa_group_segment_fixed_size 5408
		.amdhsa_private_segment_fixed_size 0
		.amdhsa_kernarg_size 104
		.amdhsa_user_sgpr_count 15
		.amdhsa_user_sgpr_dispatch_ptr 0
		.amdhsa_user_sgpr_queue_ptr 0
		.amdhsa_user_sgpr_kernarg_segment_ptr 1
		.amdhsa_user_sgpr_dispatch_id 0
		.amdhsa_user_sgpr_private_segment_size 0
		.amdhsa_wavefront_size32 1
		.amdhsa_uses_dynamic_stack 0
		.amdhsa_enable_private_segment 0
		.amdhsa_system_sgpr_workgroup_id_x 1
		.amdhsa_system_sgpr_workgroup_id_y 0
		.amdhsa_system_sgpr_workgroup_id_z 0
		.amdhsa_system_sgpr_workgroup_info 0
		.amdhsa_system_vgpr_workitem_id 0
		.amdhsa_next_free_vgpr 20
		.amdhsa_next_free_sgpr 20
		.amdhsa_reserve_vcc 1
		.amdhsa_float_round_mode_32 0
		.amdhsa_float_round_mode_16_64 0
		.amdhsa_float_denorm_mode_32 3
		.amdhsa_float_denorm_mode_16_64 3
		.amdhsa_dx10_clamp 1
		.amdhsa_ieee_mode 1
		.amdhsa_fp16_overflow 0
		.amdhsa_workgroup_processor_mode 1
		.amdhsa_memory_ordered 1
		.amdhsa_forward_progress 0
		.amdhsa_shared_vgpr_count 0
		.amdhsa_exception_fp_ieee_invalid_op 0
		.amdhsa_exception_fp_denorm_src 0
		.amdhsa_exception_fp_ieee_div_zero 0
		.amdhsa_exception_fp_ieee_overflow 0
		.amdhsa_exception_fp_ieee_underflow 0
		.amdhsa_exception_fp_ieee_inexact 0
		.amdhsa_exception_int_div_zero 0
	.end_amdhsa_kernel
	.section	.text._ZN9rocsparseL20bsrxmvn_17_32_kernelILj26E21rocsparse_complex_numIfEllfS2_S2_EEvT2_20rocsparse_direction_NS_24const_host_device_scalarIT0_EES3_PKS3_PKT1_SC_S9_PKT3_PKT4_S7_PT5_21rocsparse_index_base_b,"axG",@progbits,_ZN9rocsparseL20bsrxmvn_17_32_kernelILj26E21rocsparse_complex_numIfEllfS2_S2_EEvT2_20rocsparse_direction_NS_24const_host_device_scalarIT0_EES3_PKS3_PKT1_SC_S9_PKT3_PKT4_S7_PT5_21rocsparse_index_base_b,comdat
.Lfunc_end425:
	.size	_ZN9rocsparseL20bsrxmvn_17_32_kernelILj26E21rocsparse_complex_numIfEllfS2_S2_EEvT2_20rocsparse_direction_NS_24const_host_device_scalarIT0_EES3_PKS3_PKT1_SC_S9_PKT3_PKT4_S7_PT5_21rocsparse_index_base_b, .Lfunc_end425-_ZN9rocsparseL20bsrxmvn_17_32_kernelILj26E21rocsparse_complex_numIfEllfS2_S2_EEvT2_20rocsparse_direction_NS_24const_host_device_scalarIT0_EES3_PKS3_PKT1_SC_S9_PKT3_PKT4_S7_PT5_21rocsparse_index_base_b
                                        ; -- End function
	.section	.AMDGPU.csdata,"",@progbits
; Kernel info:
; codeLenInByte = 1900
; NumSgprs: 22
; NumVgprs: 20
; ScratchSize: 0
; MemoryBound: 0
; FloatMode: 240
; IeeeMode: 1
; LDSByteSize: 5408 bytes/workgroup (compile time only)
; SGPRBlocks: 2
; VGPRBlocks: 2
; NumSGPRsForWavesPerEU: 22
; NumVGPRsForWavesPerEU: 20
; Occupancy: 11
; WaveLimiterHint : 1
; COMPUTE_PGM_RSRC2:SCRATCH_EN: 0
; COMPUTE_PGM_RSRC2:USER_SGPR: 15
; COMPUTE_PGM_RSRC2:TRAP_HANDLER: 0
; COMPUTE_PGM_RSRC2:TGID_X_EN: 1
; COMPUTE_PGM_RSRC2:TGID_Y_EN: 0
; COMPUTE_PGM_RSRC2:TGID_Z_EN: 0
; COMPUTE_PGM_RSRC2:TIDIG_COMP_CNT: 0
	.section	.text._ZN9rocsparseL20bsrxmvn_17_32_kernelILj27E21rocsparse_complex_numIfEllfS2_S2_EEvT2_20rocsparse_direction_NS_24const_host_device_scalarIT0_EES3_PKS3_PKT1_SC_S9_PKT3_PKT4_S7_PT5_21rocsparse_index_base_b,"axG",@progbits,_ZN9rocsparseL20bsrxmvn_17_32_kernelILj27E21rocsparse_complex_numIfEllfS2_S2_EEvT2_20rocsparse_direction_NS_24const_host_device_scalarIT0_EES3_PKS3_PKT1_SC_S9_PKT3_PKT4_S7_PT5_21rocsparse_index_base_b,comdat
	.globl	_ZN9rocsparseL20bsrxmvn_17_32_kernelILj27E21rocsparse_complex_numIfEllfS2_S2_EEvT2_20rocsparse_direction_NS_24const_host_device_scalarIT0_EES3_PKS3_PKT1_SC_S9_PKT3_PKT4_S7_PT5_21rocsparse_index_base_b ; -- Begin function _ZN9rocsparseL20bsrxmvn_17_32_kernelILj27E21rocsparse_complex_numIfEllfS2_S2_EEvT2_20rocsparse_direction_NS_24const_host_device_scalarIT0_EES3_PKS3_PKT1_SC_S9_PKT3_PKT4_S7_PT5_21rocsparse_index_base_b
	.p2align	8
	.type	_ZN9rocsparseL20bsrxmvn_17_32_kernelILj27E21rocsparse_complex_numIfEllfS2_S2_EEvT2_20rocsparse_direction_NS_24const_host_device_scalarIT0_EES3_PKS3_PKT1_SC_S9_PKT3_PKT4_S7_PT5_21rocsparse_index_base_b,@function
_ZN9rocsparseL20bsrxmvn_17_32_kernelILj27E21rocsparse_complex_numIfEllfS2_S2_EEvT2_20rocsparse_direction_NS_24const_host_device_scalarIT0_EES3_PKS3_PKT1_SC_S9_PKT3_PKT4_S7_PT5_21rocsparse_index_base_b: ; @_ZN9rocsparseL20bsrxmvn_17_32_kernelILj27E21rocsparse_complex_numIfEllfS2_S2_EEvT2_20rocsparse_direction_NS_24const_host_device_scalarIT0_EES3_PKS3_PKT1_SC_S9_PKT3_PKT4_S7_PT5_21rocsparse_index_base_b
; %bb.0:
	s_clause 0x2
	s_load_b64 s[12:13], s[0:1], 0x60
	s_load_b64 s[4:5], s[0:1], 0x10
	;; [unrolled: 1-line block ×3, first 2 shown]
	s_mov_b32 s8, s15
	s_waitcnt lgkmcnt(0)
	s_bitcmp1_b32 s13, 0
	v_mov_b32_e32 v11, s4
	s_cselect_b32 s6, -1, 0
	s_delay_alu instid0(SALU_CYCLE_1)
	s_and_b32 vcc_lo, exec_lo, s6
	s_xor_b32 s6, s6, -1
	s_cbranch_vccz .LBB426_15
; %bb.1:
	v_cndmask_b32_e64 v1, 0, 1, s6
	v_mov_b32_e32 v12, s5
	s_and_not1_b32 vcc_lo, exec_lo, s6
	s_cbranch_vccz .LBB426_16
.LBB426_2:
	s_delay_alu instid0(VALU_DEP_2)
	v_cmp_ne_u32_e32 vcc_lo, 1, v1
	v_mov_b32_e32 v9, s2
	s_cbranch_vccz .LBB426_17
.LBB426_3:
	v_cmp_ne_u32_e32 vcc_lo, 1, v1
	v_mov_b32_e32 v10, s3
	s_cbranch_vccnz .LBB426_5
.LBB426_4:
	v_dual_mov_b32 v1, s2 :: v_dual_mov_b32 v2, s3
	flat_load_b32 v10, v[1:2] offset:4
.LBB426_5:
	s_waitcnt vmcnt(0) lgkmcnt(0)
	v_cmp_eq_f32_e32 vcc_lo, 0, v11
	v_cmp_eq_f32_e64 s2, 0, v12
	s_delay_alu instid0(VALU_DEP_1)
	s_and_b32 s4, vcc_lo, s2
	s_mov_b32 s2, -1
	s_and_saveexec_b32 s3, s4
; %bb.6:
	v_cmp_neq_f32_e32 vcc_lo, 1.0, v9
	v_cmp_neq_f32_e64 s2, 0, v10
	s_delay_alu instid0(VALU_DEP_1) | instskip(NEXT) | instid1(SALU_CYCLE_1)
	s_or_b32 s2, vcc_lo, s2
	s_or_not1_b32 s2, s2, exec_lo
; %bb.7:
	s_or_b32 exec_lo, exec_lo, s3
	s_and_saveexec_b32 s3, s2
	s_cbranch_execz .LBB426_44
; %bb.8:
	s_clause 0x1
	s_load_b128 s[4:7], s[0:1], 0x20
	s_load_b64 s[10:11], s[0:1], 0x30
	s_mov_b32 s9, 0
	s_waitcnt lgkmcnt(0)
	s_cmp_eq_u64 s[4:5], 0
	s_cbranch_scc1 .LBB426_10
; %bb.9:
	s_lshl_b64 s[2:3], s[8:9], 3
	s_delay_alu instid0(SALU_CYCLE_1)
	s_add_u32 s2, s4, s2
	s_addc_u32 s3, s5, s3
	s_load_b64 s[2:3], s[2:3], 0x0
	s_waitcnt lgkmcnt(0)
	s_sub_u32 s8, s2, s12
	s_subb_u32 s9, s3, 0
.LBB426_10:
	s_load_b32 s3, s[0:1], 0x8
	v_mul_u32_u24_e32 v1, 0x97c, v0
	v_mov_b32_e32 v2, 0
	s_delay_alu instid0(VALU_DEP_2) | instskip(NEXT) | instid1(VALU_DEP_1)
	v_lshrrev_b32_e32 v3, 16, v1
	v_mul_lo_u16 v1, v3, 27
	s_delay_alu instid0(VALU_DEP_1)
	v_sub_nc_u16 v13, v0, v1
	v_mov_b32_e32 v1, 0
	s_waitcnt lgkmcnt(0)
	s_cmp_eq_u32 s3, 1
	s_cselect_b32 s2, -1, 0
	s_cmp_lg_u32 s3, 1
	s_cselect_b32 s13, -1, 0
	s_lshl_b64 s[4:5], s[8:9], 3
	s_delay_alu instid0(SALU_CYCLE_1)
	s_add_u32 s6, s6, s4
	s_addc_u32 s7, s7, s5
	s_add_u32 s3, s6, 8
	s_addc_u32 s14, s7, 0
	;; [unrolled: 2-line block ×3, first 2 shown]
	s_cmp_eq_u64 s[10:11], 0
	s_load_b64 s[10:11], s[0:1], 0x58
	s_cselect_b32 s5, s14, s5
	s_cselect_b32 s4, s3, s4
	s_load_b64 s[14:15], s[6:7], 0x0
	s_load_b64 s[16:17], s[4:5], 0x0
	s_waitcnt lgkmcnt(0)
	v_cmp_ge_i64_e64 s3, s[14:15], s[16:17]
	s_delay_alu instid0(VALU_DEP_1)
	s_and_b32 vcc_lo, exec_lo, s3
	s_cbranch_vccnz .LBB426_18
; %bb.11:
	v_dual_mov_b32 v2, 0 :: v_dual_and_b32 v1, 0xffff, v3
	v_cmp_gt_u32_e32 vcc_lo, 0x2d9, v0
	s_clause 0x1
	s_load_b128 s[4:7], s[0:1], 0x38
	s_load_b64 s[18:19], s[0:1], 0x48
	v_and_b32_e32 v4, 0xffff, v13
	v_subrev_nc_u32_e32 v3, 27, v1
	s_sub_u32 s0, s16, s12
	s_subb_u32 s1, s17, 0
	s_delay_alu instid0(VALU_DEP_1) | instskip(SKIP_1) | instid1(VALU_DEP_2)
	v_cndmask_b32_e32 v1, v3, v1, vcc_lo
	v_cmp_lt_u32_e32 vcc_lo, 0x2d8, v0
	v_cndmask_b32_e64 v1, v4, v1, s2
	v_cndmask_b32_e64 v14, 0, 1, vcc_lo
	s_sub_u32 s2, s14, s12
	s_subb_u32 s3, s15, 0
	s_mul_hi_u32 s16, s2, 0xb64
	v_lshlrev_b64 v[3:4], 3, v[1:2]
	v_add_co_u32 v1, s14, s14, v14
	s_delay_alu instid0(VALU_DEP_1) | instskip(SKIP_2) | instid1(VALU_DEP_3)
	v_add_co_ci_u32_e64 v6, null, s15, 0, s14
	s_mul_i32 s17, s3, 0xb64
	s_waitcnt lgkmcnt(0)
	v_add_co_u32 v3, vcc_lo, s18, v3
	v_add_co_ci_u32_e32 v4, vcc_lo, s19, v4, vcc_lo
	v_sub_co_u32 v5, vcc_lo, v1, s12
	v_subrev_co_ci_u32_e32 v6, vcc_lo, 0, v6, vcc_lo
	v_lshlrev_b32_e32 v1, 2, v0
	s_mul_i32 s14, s2, 0xb64
	s_add_i32 s16, s16, s17
	s_delay_alu instid0(VALU_DEP_2) | instskip(SKIP_4) | instid1(VALU_DEP_3)
	v_lshlrev_b64 v[7:8], 3, v[5:6]
	s_add_u32 s6, s6, s14
	s_addc_u32 s7, s7, s16
	v_add_co_u32 v5, s6, s6, v1
	v_mov_b32_e32 v1, v2
	v_add_co_u32 v7, vcc_lo, s4, v7
	v_add_co_ci_u32_e64 v6, null, s7, 0, s6
	v_add_co_ci_u32_e32 v8, vcc_lo, s5, v8, vcc_lo
	s_set_inst_prefetch_distance 0x1
	s_branch .LBB426_13
	.p2align	6
.LBB426_12:                             ;   in Loop: Header=BB426_13 Depth=1
	s_or_b32 exec_lo, exec_lo, s4
	s_add_u32 s2, s2, 1
	s_addc_u32 s3, s3, 0
	v_add_co_u32 v7, vcc_lo, v7, 8
	v_cmp_lt_i64_e64 s4, s[2:3], s[0:1]
	v_add_co_ci_u32_e32 v8, vcc_lo, 0, v8, vcc_lo
	s_delay_alu instid0(VALU_DEP_2)
	s_and_b32 vcc_lo, exec_lo, s4
	s_cbranch_vccz .LBB426_18
.LBB426_13:                             ; =>This Inner Loop Header: Depth=1
	v_add_co_u32 v15, s4, v14, s2
	s_delay_alu instid0(VALU_DEP_1) | instskip(SKIP_1) | instid1(VALU_DEP_1)
	v_add_co_ci_u32_e64 v16, null, 0, s3, s4
	s_mov_b32 s4, exec_lo
	v_cmpx_gt_i64_e64 s[0:1], v[15:16]
	s_cbranch_execz .LBB426_12
; %bb.14:                               ;   in Loop: Header=BB426_13 Depth=1
	global_load_b64 v[15:16], v[7:8], off
	s_waitcnt vmcnt(0)
	v_sub_co_u32 v17, vcc_lo, v15, s12
	v_subrev_co_ci_u32_e32 v19, vcc_lo, 0, v16, vcc_lo
	s_delay_alu instid0(VALU_DEP_2) | instskip(NEXT) | instid1(VALU_DEP_1)
	v_mad_u64_u32 v[15:16], null, 0xd8, v17, v[3:4]
	v_mad_u64_u32 v[17:18], null, 0xd8, v19, v[16:17]
	s_delay_alu instid0(VALU_DEP_1)
	v_mov_b32_e32 v16, v17
	global_load_b32 v17, v[5:6], off
	global_load_b64 v[15:16], v[15:16], off
	v_add_co_u32 v5, vcc_lo, 0xb64, v5
	v_add_co_ci_u32_e32 v6, vcc_lo, 0, v6, vcc_lo
	s_waitcnt vmcnt(0)
	v_fmac_f32_e32 v1, v17, v15
	s_delay_alu instid0(VALU_DEP_1) | instskip(NEXT) | instid1(VALU_DEP_1)
	v_dual_fmac_f32 v2, 0, v15 :: v_dual_fmac_f32 v1, 0x80000000, v16
	v_fmac_f32_e32 v2, v17, v16
	s_branch .LBB426_12
.LBB426_15:
	v_dual_mov_b32 v1, s4 :: v_dual_mov_b32 v2, s5
	flat_load_b32 v11, v[1:2]
	v_cndmask_b32_e64 v1, 0, 1, s6
	v_mov_b32_e32 v12, s5
	s_and_not1_b32 vcc_lo, exec_lo, s6
	s_cbranch_vccnz .LBB426_2
.LBB426_16:
	v_dual_mov_b32 v2, s4 :: v_dual_mov_b32 v3, s5
	flat_load_b32 v12, v[2:3] offset:4
	v_cmp_ne_u32_e32 vcc_lo, 1, v1
	v_mov_b32_e32 v9, s2
	s_cbranch_vccnz .LBB426_3
.LBB426_17:
	v_dual_mov_b32 v2, s2 :: v_dual_mov_b32 v3, s3
	flat_load_b32 v9, v[2:3]
	v_cmp_ne_u32_e32 vcc_lo, 1, v1
	v_mov_b32_e32 v10, s3
	s_cbranch_vccz .LBB426_4
	s_branch .LBB426_5
.LBB426_18:
	s_set_inst_prefetch_distance 0x2
	v_lshlrev_b32_e32 v3, 3, v0
	s_and_b32 vcc_lo, exec_lo, s13
	ds_store_b64 v3, v[1:2]
	s_waitcnt lgkmcnt(0)
	s_barrier
	buffer_gl0_inv
	s_cbranch_vccz .LBB426_30
; %bb.19:
	s_mov_b32 s0, exec_lo
	v_cmpx_gt_u16_e32 11, v13
	s_cbranch_execz .LBB426_21
; %bb.20:
	ds_load_2addr_b64 v[4:7], v3 offset1:16
	s_waitcnt lgkmcnt(0)
	v_dual_add_f32 v4, v6, v4 :: v_dual_add_f32 v5, v7, v5
	ds_store_b64 v3, v[4:5]
.LBB426_21:
	s_or_b32 exec_lo, exec_lo, s0
	s_delay_alu instid0(SALU_CYCLE_1)
	s_mov_b32 s0, exec_lo
	s_waitcnt lgkmcnt(0)
	s_barrier
	buffer_gl0_inv
	v_cmpx_gt_u16_e32 8, v13
	s_cbranch_execz .LBB426_23
; %bb.22:
	ds_load_2addr_b64 v[4:7], v3 offset1:8
	s_waitcnt lgkmcnt(0)
	v_dual_add_f32 v4, v6, v4 :: v_dual_add_f32 v5, v7, v5
	ds_store_b64 v3, v[4:5]
.LBB426_23:
	s_or_b32 exec_lo, exec_lo, s0
	s_delay_alu instid0(SALU_CYCLE_1)
	s_mov_b32 s0, exec_lo
	s_waitcnt lgkmcnt(0)
	s_barrier
	buffer_gl0_inv
	;; [unrolled: 14-line block ×3, first 2 shown]
	v_cmpx_gt_u16_e32 2, v13
	s_cbranch_execz .LBB426_27
; %bb.26:
	ds_load_2addr_b64 v[4:7], v3 offset1:2
	s_waitcnt lgkmcnt(0)
	v_dual_add_f32 v4, v6, v4 :: v_dual_add_f32 v5, v7, v5
	ds_store_b64 v3, v[4:5]
.LBB426_27:
	s_or_b32 exec_lo, exec_lo, s0
	s_mov_b32 s1, 0
	s_mov_b32 s0, 0
	s_mov_b32 s2, exec_lo
	s_waitcnt lgkmcnt(0)
	s_barrier
	buffer_gl0_inv
                                        ; implicit-def: $vgpr5
                                        ; implicit-def: $vgpr4
	v_cmpx_gt_u32_e32 27, v0
	s_xor_b32 s2, exec_lo, s2
; %bb.28:
	v_mul_u32_u24_e32 v5, 27, v0
	v_mad_u32_u24 v4, v0, 27, 1
	s_mov_b32 s0, exec_lo
	s_delay_alu instid0(VALU_DEP_2)
	v_lshlrev_b32_e32 v5, 3, v5
; %bb.29:
	s_or_b32 exec_lo, exec_lo, s2
	s_delay_alu instid0(SALU_CYCLE_1)
	s_and_b32 vcc_lo, exec_lo, s1
	s_cbranch_vccnz .LBB426_31
	s_branch .LBB426_42
.LBB426_30:
	s_mov_b32 s0, 0
                                        ; implicit-def: $vgpr5
                                        ; implicit-def: $vgpr4
	s_cbranch_execz .LBB426_42
.LBB426_31:
	s_mov_b32 s1, exec_lo
	v_cmpx_gt_u32_e32 0x129, v0
	s_cbranch_execz .LBB426_33
; %bb.32:
	ds_load_b64 v[4:5], v3 offset:3456
	ds_load_b64 v[6:7], v3
	s_waitcnt lgkmcnt(0)
	v_dual_add_f32 v4, v4, v6 :: v_dual_add_f32 v5, v5, v7
	ds_store_b64 v3, v[4:5]
.LBB426_33:
	s_or_b32 exec_lo, exec_lo, s1
	s_delay_alu instid0(SALU_CYCLE_1)
	s_mov_b32 s1, exec_lo
	s_waitcnt lgkmcnt(0)
	s_barrier
	buffer_gl0_inv
	v_cmpx_gt_u32_e32 0xd8, v0
	s_cbranch_execz .LBB426_35
; %bb.34:
	ds_load_2addr_b64 v[4:7], v3 offset1:216
	s_waitcnt lgkmcnt(0)
	v_dual_add_f32 v4, v6, v4 :: v_dual_add_f32 v5, v7, v5
	ds_store_b64 v3, v[4:5]
.LBB426_35:
	s_or_b32 exec_lo, exec_lo, s1
	s_delay_alu instid0(SALU_CYCLE_1)
	s_mov_b32 s1, exec_lo
	s_waitcnt lgkmcnt(0)
	s_barrier
	buffer_gl0_inv
	v_cmpx_gt_u32_e32 0x6c, v0
	s_cbranch_execz .LBB426_37
; %bb.36:
	ds_load_2addr_b64 v[4:7], v3 offset1:108
	s_waitcnt lgkmcnt(0)
	v_dual_add_f32 v4, v6, v4 :: v_dual_add_f32 v5, v7, v5
	ds_store_b64 v3, v[4:5]
.LBB426_37:
	;; [unrolled: 14-line block ×3, first 2 shown]
	s_or_b32 exec_lo, exec_lo, s1
	s_delay_alu instid0(SALU_CYCLE_1)
	s_mov_b32 s1, exec_lo
	s_waitcnt lgkmcnt(0)
	buffer_gl0_inv
                                        ; implicit-def: $vgpr4
	v_cmpx_gt_u32_e32 27, v0
; %bb.40:
	v_add_nc_u32_e32 v4, 27, v0
                                        ; kill: def $vgpr1 killed $sgpr0 killed $exec
	s_or_b32 s0, s0, exec_lo
                                        ; implicit-def: $vgpr2
; %bb.41:
	s_or_b32 exec_lo, exec_lo, s1
	v_mov_b32_e32 v5, v3
.LBB426_42:
	s_and_saveexec_b32 s1, s0
	s_cbranch_execnz .LBB426_45
; %bb.43:
	s_or_b32 exec_lo, exec_lo, s1
	v_cmp_gt_u32_e32 vcc_lo, 27, v0
	s_and_b32 exec_lo, exec_lo, vcc_lo
	s_cbranch_execnz .LBB426_46
.LBB426_44:
	s_nop 0
	s_sendmsg sendmsg(MSG_DEALLOC_VGPRS)
	s_endpgm
.LBB426_45:
	v_lshlrev_b32_e32 v3, 3, v4
	ds_load_2addr_b32 v[1:2], v5 offset1:1
	ds_load_b64 v[3:4], v3
	s_waitcnt lgkmcnt(0)
	v_dual_add_f32 v2, v4, v2 :: v_dual_add_f32 v1, v3, v1
	s_or_b32 exec_lo, exec_lo, s1
	v_cmp_gt_u32_e32 vcc_lo, 27, v0
	s_and_b32 exec_lo, exec_lo, vcc_lo
	s_cbranch_execz .LBB426_44
.LBB426_46:
	v_mul_f32_e64 v3, v2, -v12
	v_mul_f32_e32 v4, v2, v11
	v_cmp_eq_f32_e32 vcc_lo, 0, v9
	v_cmp_eq_f32_e64 s0, 0, v10
	s_mul_hi_u32 s1, s8, 0xd8
	v_fmac_f32_e32 v3, v11, v1
	v_fmac_f32_e32 v4, v12, v1
	s_mul_i32 s2, s8, 0xd8
	s_and_b32 s3, vcc_lo, s0
	s_mul_i32 s0, s9, 0xd8
	s_and_saveexec_b32 s4, s3
	s_delay_alu instid0(SALU_CYCLE_1)
	s_xor_b32 s3, exec_lo, s4
	s_cbranch_execz .LBB426_48
; %bb.47:
	v_lshlrev_b32_e32 v0, 3, v0
	s_add_i32 s5, s1, s0
	s_add_u32 s4, s10, s2
	s_addc_u32 s5, s11, s5
                                        ; implicit-def: $vgpr9
                                        ; implicit-def: $vgpr10
	global_store_b64 v0, v[3:4], s[4:5]
                                        ; implicit-def: $vgpr0
                                        ; implicit-def: $vgpr3
.LBB426_48:
	s_and_not1_saveexec_b32 s3, s3
	s_cbranch_execz .LBB426_44
; %bb.49:
	v_lshlrev_b32_e32 v2, 3, v0
	s_add_i32 s1, s1, s0
	s_add_u32 s0, s10, s2
	s_addc_u32 s1, s11, s1
	global_load_b64 v[0:1], v2, s[0:1]
	s_waitcnt vmcnt(0)
	v_fmac_f32_e32 v3, v9, v0
	v_fmac_f32_e32 v4, v10, v0
	s_delay_alu instid0(VALU_DEP_2) | instskip(NEXT) | instid1(VALU_DEP_2)
	v_fma_f32 v3, -v10, v1, v3
	v_fmac_f32_e32 v4, v9, v1
	global_store_b64 v2, v[3:4], s[0:1]
	s_nop 0
	s_sendmsg sendmsg(MSG_DEALLOC_VGPRS)
	s_endpgm
	.section	.rodata,"a",@progbits
	.p2align	6, 0x0
	.amdhsa_kernel _ZN9rocsparseL20bsrxmvn_17_32_kernelILj27E21rocsparse_complex_numIfEllfS2_S2_EEvT2_20rocsparse_direction_NS_24const_host_device_scalarIT0_EES3_PKS3_PKT1_SC_S9_PKT3_PKT4_S7_PT5_21rocsparse_index_base_b
		.amdhsa_group_segment_fixed_size 5832
		.amdhsa_private_segment_fixed_size 0
		.amdhsa_kernarg_size 104
		.amdhsa_user_sgpr_count 15
		.amdhsa_user_sgpr_dispatch_ptr 0
		.amdhsa_user_sgpr_queue_ptr 0
		.amdhsa_user_sgpr_kernarg_segment_ptr 1
		.amdhsa_user_sgpr_dispatch_id 0
		.amdhsa_user_sgpr_private_segment_size 0
		.amdhsa_wavefront_size32 1
		.amdhsa_uses_dynamic_stack 0
		.amdhsa_enable_private_segment 0
		.amdhsa_system_sgpr_workgroup_id_x 1
		.amdhsa_system_sgpr_workgroup_id_y 0
		.amdhsa_system_sgpr_workgroup_id_z 0
		.amdhsa_system_sgpr_workgroup_info 0
		.amdhsa_system_vgpr_workitem_id 0
		.amdhsa_next_free_vgpr 20
		.amdhsa_next_free_sgpr 20
		.amdhsa_reserve_vcc 1
		.amdhsa_float_round_mode_32 0
		.amdhsa_float_round_mode_16_64 0
		.amdhsa_float_denorm_mode_32 3
		.amdhsa_float_denorm_mode_16_64 3
		.amdhsa_dx10_clamp 1
		.amdhsa_ieee_mode 1
		.amdhsa_fp16_overflow 0
		.amdhsa_workgroup_processor_mode 1
		.amdhsa_memory_ordered 1
		.amdhsa_forward_progress 0
		.amdhsa_shared_vgpr_count 0
		.amdhsa_exception_fp_ieee_invalid_op 0
		.amdhsa_exception_fp_denorm_src 0
		.amdhsa_exception_fp_ieee_div_zero 0
		.amdhsa_exception_fp_ieee_overflow 0
		.amdhsa_exception_fp_ieee_underflow 0
		.amdhsa_exception_fp_ieee_inexact 0
		.amdhsa_exception_int_div_zero 0
	.end_amdhsa_kernel
	.section	.text._ZN9rocsparseL20bsrxmvn_17_32_kernelILj27E21rocsparse_complex_numIfEllfS2_S2_EEvT2_20rocsparse_direction_NS_24const_host_device_scalarIT0_EES3_PKS3_PKT1_SC_S9_PKT3_PKT4_S7_PT5_21rocsparse_index_base_b,"axG",@progbits,_ZN9rocsparseL20bsrxmvn_17_32_kernelILj27E21rocsparse_complex_numIfEllfS2_S2_EEvT2_20rocsparse_direction_NS_24const_host_device_scalarIT0_EES3_PKS3_PKT1_SC_S9_PKT3_PKT4_S7_PT5_21rocsparse_index_base_b,comdat
.Lfunc_end426:
	.size	_ZN9rocsparseL20bsrxmvn_17_32_kernelILj27E21rocsparse_complex_numIfEllfS2_S2_EEvT2_20rocsparse_direction_NS_24const_host_device_scalarIT0_EES3_PKS3_PKT1_SC_S9_PKT3_PKT4_S7_PT5_21rocsparse_index_base_b, .Lfunc_end426-_ZN9rocsparseL20bsrxmvn_17_32_kernelILj27E21rocsparse_complex_numIfEllfS2_S2_EEvT2_20rocsparse_direction_NS_24const_host_device_scalarIT0_EES3_PKS3_PKT1_SC_S9_PKT3_PKT4_S7_PT5_21rocsparse_index_base_b
                                        ; -- End function
	.section	.AMDGPU.csdata,"",@progbits
; Kernel info:
; codeLenInByte = 1904
; NumSgprs: 22
; NumVgprs: 20
; ScratchSize: 0
; MemoryBound: 0
; FloatMode: 240
; IeeeMode: 1
; LDSByteSize: 5832 bytes/workgroup (compile time only)
; SGPRBlocks: 2
; VGPRBlocks: 2
; NumSGPRsForWavesPerEU: 22
; NumVGPRsForWavesPerEU: 20
; Occupancy: 12
; WaveLimiterHint : 1
; COMPUTE_PGM_RSRC2:SCRATCH_EN: 0
; COMPUTE_PGM_RSRC2:USER_SGPR: 15
; COMPUTE_PGM_RSRC2:TRAP_HANDLER: 0
; COMPUTE_PGM_RSRC2:TGID_X_EN: 1
; COMPUTE_PGM_RSRC2:TGID_Y_EN: 0
; COMPUTE_PGM_RSRC2:TGID_Z_EN: 0
; COMPUTE_PGM_RSRC2:TIDIG_COMP_CNT: 0
	.section	.text._ZN9rocsparseL20bsrxmvn_17_32_kernelILj28E21rocsparse_complex_numIfEllfS2_S2_EEvT2_20rocsparse_direction_NS_24const_host_device_scalarIT0_EES3_PKS3_PKT1_SC_S9_PKT3_PKT4_S7_PT5_21rocsparse_index_base_b,"axG",@progbits,_ZN9rocsparseL20bsrxmvn_17_32_kernelILj28E21rocsparse_complex_numIfEllfS2_S2_EEvT2_20rocsparse_direction_NS_24const_host_device_scalarIT0_EES3_PKS3_PKT1_SC_S9_PKT3_PKT4_S7_PT5_21rocsparse_index_base_b,comdat
	.globl	_ZN9rocsparseL20bsrxmvn_17_32_kernelILj28E21rocsparse_complex_numIfEllfS2_S2_EEvT2_20rocsparse_direction_NS_24const_host_device_scalarIT0_EES3_PKS3_PKT1_SC_S9_PKT3_PKT4_S7_PT5_21rocsparse_index_base_b ; -- Begin function _ZN9rocsparseL20bsrxmvn_17_32_kernelILj28E21rocsparse_complex_numIfEllfS2_S2_EEvT2_20rocsparse_direction_NS_24const_host_device_scalarIT0_EES3_PKS3_PKT1_SC_S9_PKT3_PKT4_S7_PT5_21rocsparse_index_base_b
	.p2align	8
	.type	_ZN9rocsparseL20bsrxmvn_17_32_kernelILj28E21rocsparse_complex_numIfEllfS2_S2_EEvT2_20rocsparse_direction_NS_24const_host_device_scalarIT0_EES3_PKS3_PKT1_SC_S9_PKT3_PKT4_S7_PT5_21rocsparse_index_base_b,@function
_ZN9rocsparseL20bsrxmvn_17_32_kernelILj28E21rocsparse_complex_numIfEllfS2_S2_EEvT2_20rocsparse_direction_NS_24const_host_device_scalarIT0_EES3_PKS3_PKT1_SC_S9_PKT3_PKT4_S7_PT5_21rocsparse_index_base_b: ; @_ZN9rocsparseL20bsrxmvn_17_32_kernelILj28E21rocsparse_complex_numIfEllfS2_S2_EEvT2_20rocsparse_direction_NS_24const_host_device_scalarIT0_EES3_PKS3_PKT1_SC_S9_PKT3_PKT4_S7_PT5_21rocsparse_index_base_b
; %bb.0:
	s_clause 0x2
	s_load_b64 s[12:13], s[0:1], 0x60
	s_load_b64 s[4:5], s[0:1], 0x10
	;; [unrolled: 1-line block ×3, first 2 shown]
	s_mov_b32 s8, s15
	s_waitcnt lgkmcnt(0)
	s_bitcmp1_b32 s13, 0
	v_mov_b32_e32 v11, s4
	s_cselect_b32 s6, -1, 0
	s_delay_alu instid0(SALU_CYCLE_1)
	s_and_b32 vcc_lo, exec_lo, s6
	s_xor_b32 s6, s6, -1
	s_cbranch_vccz .LBB427_15
; %bb.1:
	v_cndmask_b32_e64 v1, 0, 1, s6
	v_mov_b32_e32 v12, s5
	s_and_not1_b32 vcc_lo, exec_lo, s6
	s_cbranch_vccz .LBB427_16
.LBB427_2:
	s_delay_alu instid0(VALU_DEP_2)
	v_cmp_ne_u32_e32 vcc_lo, 1, v1
	v_mov_b32_e32 v9, s2
	s_cbranch_vccz .LBB427_17
.LBB427_3:
	v_cmp_ne_u32_e32 vcc_lo, 1, v1
	v_mov_b32_e32 v10, s3
	s_cbranch_vccnz .LBB427_5
.LBB427_4:
	v_dual_mov_b32 v1, s2 :: v_dual_mov_b32 v2, s3
	flat_load_b32 v10, v[1:2] offset:4
.LBB427_5:
	s_waitcnt vmcnt(0) lgkmcnt(0)
	v_cmp_eq_f32_e32 vcc_lo, 0, v11
	v_cmp_eq_f32_e64 s2, 0, v12
	s_delay_alu instid0(VALU_DEP_1)
	s_and_b32 s4, vcc_lo, s2
	s_mov_b32 s2, -1
	s_and_saveexec_b32 s3, s4
; %bb.6:
	v_cmp_neq_f32_e32 vcc_lo, 1.0, v9
	v_cmp_neq_f32_e64 s2, 0, v10
	s_delay_alu instid0(VALU_DEP_1) | instskip(NEXT) | instid1(SALU_CYCLE_1)
	s_or_b32 s2, vcc_lo, s2
	s_or_not1_b32 s2, s2, exec_lo
; %bb.7:
	s_or_b32 exec_lo, exec_lo, s3
	s_and_saveexec_b32 s3, s2
	s_cbranch_execz .LBB427_44
; %bb.8:
	s_clause 0x1
	s_load_b128 s[4:7], s[0:1], 0x20
	s_load_b64 s[10:11], s[0:1], 0x30
	s_mov_b32 s9, 0
	s_waitcnt lgkmcnt(0)
	s_cmp_eq_u64 s[4:5], 0
	s_cbranch_scc1 .LBB427_10
; %bb.9:
	s_lshl_b64 s[2:3], s[8:9], 3
	s_delay_alu instid0(SALU_CYCLE_1)
	s_add_u32 s2, s4, s2
	s_addc_u32 s3, s5, s3
	s_load_b64 s[2:3], s[2:3], 0x0
	s_waitcnt lgkmcnt(0)
	s_sub_u32 s8, s2, s12
	s_subb_u32 s9, s3, 0
.LBB427_10:
	s_load_b32 s3, s[0:1], 0x8
	v_mul_u32_u24_e32 v1, 0x925, v0
	v_mov_b32_e32 v2, 0
	s_delay_alu instid0(VALU_DEP_2) | instskip(NEXT) | instid1(VALU_DEP_1)
	v_lshrrev_b32_e32 v3, 16, v1
	v_mul_lo_u16 v1, v3, 28
	s_delay_alu instid0(VALU_DEP_1)
	v_sub_nc_u16 v13, v0, v1
	v_mov_b32_e32 v1, 0
	s_waitcnt lgkmcnt(0)
	s_cmp_eq_u32 s3, 1
	s_cselect_b32 s2, -1, 0
	s_cmp_lg_u32 s3, 1
	s_cselect_b32 s13, -1, 0
	s_lshl_b64 s[4:5], s[8:9], 3
	s_delay_alu instid0(SALU_CYCLE_1)
	s_add_u32 s6, s6, s4
	s_addc_u32 s7, s7, s5
	s_add_u32 s3, s6, 8
	s_addc_u32 s14, s7, 0
	;; [unrolled: 2-line block ×3, first 2 shown]
	s_cmp_eq_u64 s[10:11], 0
	s_load_b64 s[10:11], s[0:1], 0x58
	s_cselect_b32 s5, s14, s5
	s_cselect_b32 s4, s3, s4
	s_load_b64 s[14:15], s[6:7], 0x0
	s_load_b64 s[16:17], s[4:5], 0x0
	s_waitcnt lgkmcnt(0)
	v_cmp_ge_i64_e64 s3, s[14:15], s[16:17]
	s_delay_alu instid0(VALU_DEP_1)
	s_and_b32 vcc_lo, exec_lo, s3
	s_cbranch_vccnz .LBB427_18
; %bb.11:
	v_dual_mov_b32 v2, 0 :: v_dual_and_b32 v1, 0xffff, v3
	v_cmp_gt_u32_e32 vcc_lo, 0x310, v0
	s_clause 0x1
	s_load_b128 s[4:7], s[0:1], 0x38
	s_load_b64 s[18:19], s[0:1], 0x48
	v_and_b32_e32 v4, 0xffff, v13
	v_subrev_nc_u32_e32 v3, 28, v1
	s_sub_u32 s0, s16, s12
	s_subb_u32 s1, s17, 0
	s_delay_alu instid0(VALU_DEP_1) | instskip(SKIP_1) | instid1(VALU_DEP_2)
	v_cndmask_b32_e32 v1, v3, v1, vcc_lo
	v_cmp_lt_u32_e32 vcc_lo, 0x30f, v0
	v_cndmask_b32_e64 v1, v4, v1, s2
	v_cndmask_b32_e64 v14, 0, 1, vcc_lo
	s_sub_u32 s2, s14, s12
	s_subb_u32 s3, s15, 0
	s_mul_hi_u32 s16, s2, 0xc40
	v_lshlrev_b64 v[3:4], 3, v[1:2]
	v_add_co_u32 v1, s14, s14, v14
	s_delay_alu instid0(VALU_DEP_1) | instskip(SKIP_2) | instid1(VALU_DEP_3)
	v_add_co_ci_u32_e64 v6, null, s15, 0, s14
	s_mul_i32 s17, s3, 0xc40
	s_waitcnt lgkmcnt(0)
	v_add_co_u32 v3, vcc_lo, s18, v3
	v_add_co_ci_u32_e32 v4, vcc_lo, s19, v4, vcc_lo
	v_sub_co_u32 v5, vcc_lo, v1, s12
	v_subrev_co_ci_u32_e32 v6, vcc_lo, 0, v6, vcc_lo
	v_lshlrev_b32_e32 v1, 2, v0
	s_mul_i32 s14, s2, 0xc40
	s_add_i32 s16, s16, s17
	s_delay_alu instid0(VALU_DEP_2) | instskip(SKIP_4) | instid1(VALU_DEP_3)
	v_lshlrev_b64 v[7:8], 3, v[5:6]
	s_add_u32 s6, s6, s14
	s_addc_u32 s7, s7, s16
	v_add_co_u32 v5, s6, s6, v1
	v_mov_b32_e32 v1, v2
	v_add_co_u32 v7, vcc_lo, s4, v7
	v_add_co_ci_u32_e64 v6, null, s7, 0, s6
	v_add_co_ci_u32_e32 v8, vcc_lo, s5, v8, vcc_lo
	s_set_inst_prefetch_distance 0x1
	s_branch .LBB427_13
	.p2align	6
.LBB427_12:                             ;   in Loop: Header=BB427_13 Depth=1
	s_or_b32 exec_lo, exec_lo, s4
	s_add_u32 s2, s2, 1
	s_addc_u32 s3, s3, 0
	v_add_co_u32 v7, vcc_lo, v7, 8
	v_cmp_lt_i64_e64 s4, s[2:3], s[0:1]
	v_add_co_ci_u32_e32 v8, vcc_lo, 0, v8, vcc_lo
	s_delay_alu instid0(VALU_DEP_2)
	s_and_b32 vcc_lo, exec_lo, s4
	s_cbranch_vccz .LBB427_18
.LBB427_13:                             ; =>This Inner Loop Header: Depth=1
	v_add_co_u32 v15, s4, v14, s2
	s_delay_alu instid0(VALU_DEP_1) | instskip(SKIP_1) | instid1(VALU_DEP_1)
	v_add_co_ci_u32_e64 v16, null, 0, s3, s4
	s_mov_b32 s4, exec_lo
	v_cmpx_gt_i64_e64 s[0:1], v[15:16]
	s_cbranch_execz .LBB427_12
; %bb.14:                               ;   in Loop: Header=BB427_13 Depth=1
	global_load_b64 v[15:16], v[7:8], off
	s_waitcnt vmcnt(0)
	v_sub_co_u32 v17, vcc_lo, v15, s12
	v_subrev_co_ci_u32_e32 v19, vcc_lo, 0, v16, vcc_lo
	s_delay_alu instid0(VALU_DEP_2) | instskip(NEXT) | instid1(VALU_DEP_1)
	v_mad_u64_u32 v[15:16], null, 0xe0, v17, v[3:4]
	v_mad_u64_u32 v[17:18], null, 0xe0, v19, v[16:17]
	s_delay_alu instid0(VALU_DEP_1)
	v_mov_b32_e32 v16, v17
	global_load_b32 v17, v[5:6], off
	global_load_b64 v[15:16], v[15:16], off
	v_add_co_u32 v5, vcc_lo, 0xc40, v5
	v_add_co_ci_u32_e32 v6, vcc_lo, 0, v6, vcc_lo
	s_waitcnt vmcnt(0)
	v_fmac_f32_e32 v1, v17, v15
	s_delay_alu instid0(VALU_DEP_1) | instskip(NEXT) | instid1(VALU_DEP_1)
	v_dual_fmac_f32 v2, 0, v15 :: v_dual_fmac_f32 v1, 0x80000000, v16
	v_fmac_f32_e32 v2, v17, v16
	s_branch .LBB427_12
.LBB427_15:
	v_dual_mov_b32 v1, s4 :: v_dual_mov_b32 v2, s5
	flat_load_b32 v11, v[1:2]
	v_cndmask_b32_e64 v1, 0, 1, s6
	v_mov_b32_e32 v12, s5
	s_and_not1_b32 vcc_lo, exec_lo, s6
	s_cbranch_vccnz .LBB427_2
.LBB427_16:
	v_dual_mov_b32 v2, s4 :: v_dual_mov_b32 v3, s5
	flat_load_b32 v12, v[2:3] offset:4
	v_cmp_ne_u32_e32 vcc_lo, 1, v1
	v_mov_b32_e32 v9, s2
	s_cbranch_vccnz .LBB427_3
.LBB427_17:
	v_dual_mov_b32 v2, s2 :: v_dual_mov_b32 v3, s3
	flat_load_b32 v9, v[2:3]
	v_cmp_ne_u32_e32 vcc_lo, 1, v1
	v_mov_b32_e32 v10, s3
	s_cbranch_vccz .LBB427_4
	s_branch .LBB427_5
.LBB427_18:
	s_set_inst_prefetch_distance 0x2
	v_lshlrev_b32_e32 v3, 3, v0
	s_and_b32 vcc_lo, exec_lo, s13
	ds_store_b64 v3, v[1:2]
	s_waitcnt lgkmcnt(0)
	s_barrier
	buffer_gl0_inv
	s_cbranch_vccz .LBB427_30
; %bb.19:
	s_mov_b32 s0, exec_lo
	v_cmpx_gt_u16_e32 12, v13
	s_cbranch_execz .LBB427_21
; %bb.20:
	ds_load_2addr_b64 v[4:7], v3 offset1:16
	s_waitcnt lgkmcnt(0)
	v_dual_add_f32 v4, v6, v4 :: v_dual_add_f32 v5, v7, v5
	ds_store_b64 v3, v[4:5]
.LBB427_21:
	s_or_b32 exec_lo, exec_lo, s0
	s_delay_alu instid0(SALU_CYCLE_1)
	s_mov_b32 s0, exec_lo
	s_waitcnt lgkmcnt(0)
	s_barrier
	buffer_gl0_inv
	v_cmpx_gt_u16_e32 8, v13
	s_cbranch_execz .LBB427_23
; %bb.22:
	ds_load_2addr_b64 v[4:7], v3 offset1:8
	s_waitcnt lgkmcnt(0)
	v_dual_add_f32 v4, v6, v4 :: v_dual_add_f32 v5, v7, v5
	ds_store_b64 v3, v[4:5]
.LBB427_23:
	s_or_b32 exec_lo, exec_lo, s0
	s_delay_alu instid0(SALU_CYCLE_1)
	s_mov_b32 s0, exec_lo
	s_waitcnt lgkmcnt(0)
	s_barrier
	buffer_gl0_inv
	;; [unrolled: 14-line block ×3, first 2 shown]
	v_cmpx_gt_u16_e32 2, v13
	s_cbranch_execz .LBB427_27
; %bb.26:
	ds_load_2addr_b64 v[4:7], v3 offset1:2
	s_waitcnt lgkmcnt(0)
	v_dual_add_f32 v4, v6, v4 :: v_dual_add_f32 v5, v7, v5
	ds_store_b64 v3, v[4:5]
.LBB427_27:
	s_or_b32 exec_lo, exec_lo, s0
	s_mov_b32 s1, 0
	s_mov_b32 s0, 0
	s_mov_b32 s2, exec_lo
	s_waitcnt lgkmcnt(0)
	s_barrier
	buffer_gl0_inv
                                        ; implicit-def: $vgpr5
                                        ; implicit-def: $vgpr4
	v_cmpx_gt_u32_e32 28, v0
	s_xor_b32 s2, exec_lo, s2
; %bb.28:
	v_mul_u32_u24_e32 v4, 28, v0
	s_mov_b32 s0, exec_lo
	s_delay_alu instid0(VALU_DEP_1)
	v_lshlrev_b32_e32 v5, 3, v4
	v_or_b32_e32 v4, 1, v4
; %bb.29:
	s_or_b32 exec_lo, exec_lo, s2
	s_delay_alu instid0(SALU_CYCLE_1)
	s_and_b32 vcc_lo, exec_lo, s1
	s_cbranch_vccnz .LBB427_31
	s_branch .LBB427_42
.LBB427_30:
	s_mov_b32 s0, 0
                                        ; implicit-def: $vgpr5
                                        ; implicit-def: $vgpr4
	s_cbranch_execz .LBB427_42
.LBB427_31:
	s_mov_b32 s1, exec_lo
	v_cmpx_gt_u32_e32 0x150, v0
	s_cbranch_execz .LBB427_33
; %bb.32:
	ds_load_2addr_stride64_b64 v[4:7], v3 offset1:7
	s_waitcnt lgkmcnt(0)
	v_dual_add_f32 v4, v6, v4 :: v_dual_add_f32 v5, v7, v5
	ds_store_b64 v3, v[4:5]
.LBB427_33:
	s_or_b32 exec_lo, exec_lo, s1
	s_delay_alu instid0(SALU_CYCLE_1)
	s_mov_b32 s1, exec_lo
	s_waitcnt lgkmcnt(0)
	s_barrier
	buffer_gl0_inv
	v_cmpx_gt_u32_e32 0xe0, v0
	s_cbranch_execz .LBB427_35
; %bb.34:
	ds_load_2addr_b64 v[4:7], v3 offset1:224
	s_waitcnt lgkmcnt(0)
	v_dual_add_f32 v4, v6, v4 :: v_dual_add_f32 v5, v7, v5
	ds_store_b64 v3, v[4:5]
.LBB427_35:
	s_or_b32 exec_lo, exec_lo, s1
	s_delay_alu instid0(SALU_CYCLE_1)
	s_mov_b32 s1, exec_lo
	s_waitcnt lgkmcnt(0)
	s_barrier
	buffer_gl0_inv
	v_cmpx_gt_u32_e32 0x70, v0
	s_cbranch_execz .LBB427_37
; %bb.36:
	ds_load_2addr_b64 v[4:7], v3 offset1:112
	s_waitcnt lgkmcnt(0)
	v_dual_add_f32 v4, v6, v4 :: v_dual_add_f32 v5, v7, v5
	ds_store_b64 v3, v[4:5]
.LBB427_37:
	;; [unrolled: 14-line block ×3, first 2 shown]
	s_or_b32 exec_lo, exec_lo, s1
	s_delay_alu instid0(SALU_CYCLE_1)
	s_mov_b32 s1, exec_lo
	s_waitcnt lgkmcnt(0)
	buffer_gl0_inv
                                        ; implicit-def: $vgpr4
	v_cmpx_gt_u32_e32 28, v0
; %bb.40:
	v_add_nc_u32_e32 v4, 28, v0
                                        ; kill: def $vgpr1 killed $sgpr0 killed $exec
	s_or_b32 s0, s0, exec_lo
                                        ; implicit-def: $vgpr2
; %bb.41:
	s_or_b32 exec_lo, exec_lo, s1
	v_mov_b32_e32 v5, v3
.LBB427_42:
	s_and_saveexec_b32 s1, s0
	s_cbranch_execnz .LBB427_45
; %bb.43:
	s_or_b32 exec_lo, exec_lo, s1
	v_cmp_gt_u32_e32 vcc_lo, 28, v0
	s_and_b32 exec_lo, exec_lo, vcc_lo
	s_cbranch_execnz .LBB427_46
.LBB427_44:
	s_nop 0
	s_sendmsg sendmsg(MSG_DEALLOC_VGPRS)
	s_endpgm
.LBB427_45:
	v_lshlrev_b32_e32 v3, 3, v4
	ds_load_2addr_b32 v[1:2], v5 offset1:1
	ds_load_b64 v[3:4], v3
	s_waitcnt lgkmcnt(0)
	v_dual_add_f32 v2, v4, v2 :: v_dual_add_f32 v1, v3, v1
	s_or_b32 exec_lo, exec_lo, s1
	v_cmp_gt_u32_e32 vcc_lo, 28, v0
	s_and_b32 exec_lo, exec_lo, vcc_lo
	s_cbranch_execz .LBB427_44
.LBB427_46:
	v_mul_f32_e64 v3, v2, -v12
	v_mul_f32_e32 v4, v2, v11
	v_cmp_eq_f32_e32 vcc_lo, 0, v9
	v_cmp_eq_f32_e64 s0, 0, v10
	s_mul_hi_u32 s1, s8, 0xe0
	v_fmac_f32_e32 v3, v11, v1
	v_fmac_f32_e32 v4, v12, v1
	s_mul_i32 s2, s8, 0xe0
	s_and_b32 s3, vcc_lo, s0
	s_mul_i32 s0, s9, 0xe0
	s_and_saveexec_b32 s4, s3
	s_delay_alu instid0(SALU_CYCLE_1)
	s_xor_b32 s3, exec_lo, s4
	s_cbranch_execz .LBB427_48
; %bb.47:
	v_lshlrev_b32_e32 v0, 3, v0
	s_add_i32 s5, s1, s0
	s_add_u32 s4, s10, s2
	s_addc_u32 s5, s11, s5
                                        ; implicit-def: $vgpr9
                                        ; implicit-def: $vgpr10
	global_store_b64 v0, v[3:4], s[4:5]
                                        ; implicit-def: $vgpr0
                                        ; implicit-def: $vgpr3
.LBB427_48:
	s_and_not1_saveexec_b32 s3, s3
	s_cbranch_execz .LBB427_44
; %bb.49:
	v_lshlrev_b32_e32 v2, 3, v0
	s_add_i32 s1, s1, s0
	s_add_u32 s0, s10, s2
	s_addc_u32 s1, s11, s1
	global_load_b64 v[0:1], v2, s[0:1]
	s_waitcnt vmcnt(0)
	v_fmac_f32_e32 v3, v9, v0
	v_fmac_f32_e32 v4, v10, v0
	s_delay_alu instid0(VALU_DEP_2) | instskip(NEXT) | instid1(VALU_DEP_2)
	v_fma_f32 v3, -v10, v1, v3
	v_fmac_f32_e32 v4, v9, v1
	global_store_b64 v2, v[3:4], s[0:1]
	s_nop 0
	s_sendmsg sendmsg(MSG_DEALLOC_VGPRS)
	s_endpgm
	.section	.rodata,"a",@progbits
	.p2align	6, 0x0
	.amdhsa_kernel _ZN9rocsparseL20bsrxmvn_17_32_kernelILj28E21rocsparse_complex_numIfEllfS2_S2_EEvT2_20rocsparse_direction_NS_24const_host_device_scalarIT0_EES3_PKS3_PKT1_SC_S9_PKT3_PKT4_S7_PT5_21rocsparse_index_base_b
		.amdhsa_group_segment_fixed_size 6272
		.amdhsa_private_segment_fixed_size 0
		.amdhsa_kernarg_size 104
		.amdhsa_user_sgpr_count 15
		.amdhsa_user_sgpr_dispatch_ptr 0
		.amdhsa_user_sgpr_queue_ptr 0
		.amdhsa_user_sgpr_kernarg_segment_ptr 1
		.amdhsa_user_sgpr_dispatch_id 0
		.amdhsa_user_sgpr_private_segment_size 0
		.amdhsa_wavefront_size32 1
		.amdhsa_uses_dynamic_stack 0
		.amdhsa_enable_private_segment 0
		.amdhsa_system_sgpr_workgroup_id_x 1
		.amdhsa_system_sgpr_workgroup_id_y 0
		.amdhsa_system_sgpr_workgroup_id_z 0
		.amdhsa_system_sgpr_workgroup_info 0
		.amdhsa_system_vgpr_workitem_id 0
		.amdhsa_next_free_vgpr 20
		.amdhsa_next_free_sgpr 20
		.amdhsa_reserve_vcc 1
		.amdhsa_float_round_mode_32 0
		.amdhsa_float_round_mode_16_64 0
		.amdhsa_float_denorm_mode_32 3
		.amdhsa_float_denorm_mode_16_64 3
		.amdhsa_dx10_clamp 1
		.amdhsa_ieee_mode 1
		.amdhsa_fp16_overflow 0
		.amdhsa_workgroup_processor_mode 1
		.amdhsa_memory_ordered 1
		.amdhsa_forward_progress 0
		.amdhsa_shared_vgpr_count 0
		.amdhsa_exception_fp_ieee_invalid_op 0
		.amdhsa_exception_fp_denorm_src 0
		.amdhsa_exception_fp_ieee_div_zero 0
		.amdhsa_exception_fp_ieee_overflow 0
		.amdhsa_exception_fp_ieee_underflow 0
		.amdhsa_exception_fp_ieee_inexact 0
		.amdhsa_exception_int_div_zero 0
	.end_amdhsa_kernel
	.section	.text._ZN9rocsparseL20bsrxmvn_17_32_kernelILj28E21rocsparse_complex_numIfEllfS2_S2_EEvT2_20rocsparse_direction_NS_24const_host_device_scalarIT0_EES3_PKS3_PKT1_SC_S9_PKT3_PKT4_S7_PT5_21rocsparse_index_base_b,"axG",@progbits,_ZN9rocsparseL20bsrxmvn_17_32_kernelILj28E21rocsparse_complex_numIfEllfS2_S2_EEvT2_20rocsparse_direction_NS_24const_host_device_scalarIT0_EES3_PKS3_PKT1_SC_S9_PKT3_PKT4_S7_PT5_21rocsparse_index_base_b,comdat
.Lfunc_end427:
	.size	_ZN9rocsparseL20bsrxmvn_17_32_kernelILj28E21rocsparse_complex_numIfEllfS2_S2_EEvT2_20rocsparse_direction_NS_24const_host_device_scalarIT0_EES3_PKS3_PKT1_SC_S9_PKT3_PKT4_S7_PT5_21rocsparse_index_base_b, .Lfunc_end427-_ZN9rocsparseL20bsrxmvn_17_32_kernelILj28E21rocsparse_complex_numIfEllfS2_S2_EEvT2_20rocsparse_direction_NS_24const_host_device_scalarIT0_EES3_PKS3_PKT1_SC_S9_PKT3_PKT4_S7_PT5_21rocsparse_index_base_b
                                        ; -- End function
	.section	.AMDGPU.csdata,"",@progbits
; Kernel info:
; codeLenInByte = 1892
; NumSgprs: 22
; NumVgprs: 20
; ScratchSize: 0
; MemoryBound: 0
; FloatMode: 240
; IeeeMode: 1
; LDSByteSize: 6272 bytes/workgroup (compile time only)
; SGPRBlocks: 2
; VGPRBlocks: 2
; NumSGPRsForWavesPerEU: 22
; NumVGPRsForWavesPerEU: 20
; Occupancy: 13
; WaveLimiterHint : 1
; COMPUTE_PGM_RSRC2:SCRATCH_EN: 0
; COMPUTE_PGM_RSRC2:USER_SGPR: 15
; COMPUTE_PGM_RSRC2:TRAP_HANDLER: 0
; COMPUTE_PGM_RSRC2:TGID_X_EN: 1
; COMPUTE_PGM_RSRC2:TGID_Y_EN: 0
; COMPUTE_PGM_RSRC2:TGID_Z_EN: 0
; COMPUTE_PGM_RSRC2:TIDIG_COMP_CNT: 0
	.section	.text._ZN9rocsparseL20bsrxmvn_17_32_kernelILj29E21rocsparse_complex_numIfEllfS2_S2_EEvT2_20rocsparse_direction_NS_24const_host_device_scalarIT0_EES3_PKS3_PKT1_SC_S9_PKT3_PKT4_S7_PT5_21rocsparse_index_base_b,"axG",@progbits,_ZN9rocsparseL20bsrxmvn_17_32_kernelILj29E21rocsparse_complex_numIfEllfS2_S2_EEvT2_20rocsparse_direction_NS_24const_host_device_scalarIT0_EES3_PKS3_PKT1_SC_S9_PKT3_PKT4_S7_PT5_21rocsparse_index_base_b,comdat
	.globl	_ZN9rocsparseL20bsrxmvn_17_32_kernelILj29E21rocsparse_complex_numIfEllfS2_S2_EEvT2_20rocsparse_direction_NS_24const_host_device_scalarIT0_EES3_PKS3_PKT1_SC_S9_PKT3_PKT4_S7_PT5_21rocsparse_index_base_b ; -- Begin function _ZN9rocsparseL20bsrxmvn_17_32_kernelILj29E21rocsparse_complex_numIfEllfS2_S2_EEvT2_20rocsparse_direction_NS_24const_host_device_scalarIT0_EES3_PKS3_PKT1_SC_S9_PKT3_PKT4_S7_PT5_21rocsparse_index_base_b
	.p2align	8
	.type	_ZN9rocsparseL20bsrxmvn_17_32_kernelILj29E21rocsparse_complex_numIfEllfS2_S2_EEvT2_20rocsparse_direction_NS_24const_host_device_scalarIT0_EES3_PKS3_PKT1_SC_S9_PKT3_PKT4_S7_PT5_21rocsparse_index_base_b,@function
_ZN9rocsparseL20bsrxmvn_17_32_kernelILj29E21rocsparse_complex_numIfEllfS2_S2_EEvT2_20rocsparse_direction_NS_24const_host_device_scalarIT0_EES3_PKS3_PKT1_SC_S9_PKT3_PKT4_S7_PT5_21rocsparse_index_base_b: ; @_ZN9rocsparseL20bsrxmvn_17_32_kernelILj29E21rocsparse_complex_numIfEllfS2_S2_EEvT2_20rocsparse_direction_NS_24const_host_device_scalarIT0_EES3_PKS3_PKT1_SC_S9_PKT3_PKT4_S7_PT5_21rocsparse_index_base_b
; %bb.0:
	s_clause 0x2
	s_load_b64 s[12:13], s[0:1], 0x60
	s_load_b64 s[4:5], s[0:1], 0x10
	;; [unrolled: 1-line block ×3, first 2 shown]
	s_mov_b32 s8, s15
	s_waitcnt lgkmcnt(0)
	s_bitcmp1_b32 s13, 0
	v_mov_b32_e32 v11, s4
	s_cselect_b32 s6, -1, 0
	s_delay_alu instid0(SALU_CYCLE_1)
	s_and_b32 vcc_lo, exec_lo, s6
	s_xor_b32 s6, s6, -1
	s_cbranch_vccz .LBB428_15
; %bb.1:
	v_cndmask_b32_e64 v1, 0, 1, s6
	v_mov_b32_e32 v12, s5
	s_and_not1_b32 vcc_lo, exec_lo, s6
	s_cbranch_vccz .LBB428_16
.LBB428_2:
	s_delay_alu instid0(VALU_DEP_2)
	v_cmp_ne_u32_e32 vcc_lo, 1, v1
	v_mov_b32_e32 v9, s2
	s_cbranch_vccz .LBB428_17
.LBB428_3:
	v_cmp_ne_u32_e32 vcc_lo, 1, v1
	v_mov_b32_e32 v10, s3
	s_cbranch_vccnz .LBB428_5
.LBB428_4:
	v_dual_mov_b32 v1, s2 :: v_dual_mov_b32 v2, s3
	flat_load_b32 v10, v[1:2] offset:4
.LBB428_5:
	s_waitcnt vmcnt(0) lgkmcnt(0)
	v_cmp_eq_f32_e32 vcc_lo, 0, v11
	v_cmp_eq_f32_e64 s2, 0, v12
	s_delay_alu instid0(VALU_DEP_1)
	s_and_b32 s4, vcc_lo, s2
	s_mov_b32 s2, -1
	s_and_saveexec_b32 s3, s4
; %bb.6:
	v_cmp_neq_f32_e32 vcc_lo, 1.0, v9
	v_cmp_neq_f32_e64 s2, 0, v10
	s_delay_alu instid0(VALU_DEP_1) | instskip(NEXT) | instid1(SALU_CYCLE_1)
	s_or_b32 s2, vcc_lo, s2
	s_or_not1_b32 s2, s2, exec_lo
; %bb.7:
	s_or_b32 exec_lo, exec_lo, s3
	s_and_saveexec_b32 s3, s2
	s_cbranch_execz .LBB428_44
; %bb.8:
	s_clause 0x1
	s_load_b128 s[4:7], s[0:1], 0x20
	s_load_b64 s[10:11], s[0:1], 0x30
	s_mov_b32 s9, 0
	s_waitcnt lgkmcnt(0)
	s_cmp_eq_u64 s[4:5], 0
	s_cbranch_scc1 .LBB428_10
; %bb.9:
	s_lshl_b64 s[2:3], s[8:9], 3
	s_delay_alu instid0(SALU_CYCLE_1)
	s_add_u32 s2, s4, s2
	s_addc_u32 s3, s5, s3
	s_load_b64 s[2:3], s[2:3], 0x0
	s_waitcnt lgkmcnt(0)
	s_sub_u32 s8, s2, s12
	s_subb_u32 s9, s3, 0
.LBB428_10:
	s_load_b32 s3, s[0:1], 0x8
	v_mul_u32_u24_e32 v1, 0x8d4, v0
	v_mov_b32_e32 v2, 0
	s_delay_alu instid0(VALU_DEP_2) | instskip(NEXT) | instid1(VALU_DEP_1)
	v_lshrrev_b32_e32 v3, 16, v1
	v_mul_lo_u16 v1, v3, 29
	s_delay_alu instid0(VALU_DEP_1)
	v_sub_nc_u16 v13, v0, v1
	v_mov_b32_e32 v1, 0
	s_waitcnt lgkmcnt(0)
	s_cmp_eq_u32 s3, 1
	s_cselect_b32 s2, -1, 0
	s_cmp_lg_u32 s3, 1
	s_cselect_b32 s13, -1, 0
	s_lshl_b64 s[4:5], s[8:9], 3
	s_delay_alu instid0(SALU_CYCLE_1)
	s_add_u32 s6, s6, s4
	s_addc_u32 s7, s7, s5
	s_add_u32 s3, s6, 8
	s_addc_u32 s14, s7, 0
	;; [unrolled: 2-line block ×3, first 2 shown]
	s_cmp_eq_u64 s[10:11], 0
	s_load_b64 s[10:11], s[0:1], 0x58
	s_cselect_b32 s5, s14, s5
	s_cselect_b32 s4, s3, s4
	s_load_b64 s[14:15], s[6:7], 0x0
	s_load_b64 s[16:17], s[4:5], 0x0
	s_waitcnt lgkmcnt(0)
	v_cmp_ge_i64_e64 s3, s[14:15], s[16:17]
	s_delay_alu instid0(VALU_DEP_1)
	s_and_b32 vcc_lo, exec_lo, s3
	s_cbranch_vccnz .LBB428_18
; %bb.11:
	v_dual_mov_b32 v2, 0 :: v_dual_and_b32 v1, 0xffff, v3
	v_cmp_gt_u32_e32 vcc_lo, 0x349, v0
	s_clause 0x1
	s_load_b128 s[4:7], s[0:1], 0x38
	s_load_b64 s[18:19], s[0:1], 0x48
	v_and_b32_e32 v4, 0xffff, v13
	v_subrev_nc_u32_e32 v3, 29, v1
	s_sub_u32 s0, s16, s12
	s_subb_u32 s1, s17, 0
	s_delay_alu instid0(VALU_DEP_1) | instskip(SKIP_1) | instid1(VALU_DEP_2)
	v_cndmask_b32_e32 v1, v3, v1, vcc_lo
	v_cmp_lt_u32_e32 vcc_lo, 0x348, v0
	v_cndmask_b32_e64 v1, v4, v1, s2
	v_cndmask_b32_e64 v14, 0, 1, vcc_lo
	s_sub_u32 s2, s14, s12
	s_subb_u32 s3, s15, 0
	s_mul_hi_u32 s16, s2, 0xd24
	v_lshlrev_b64 v[3:4], 3, v[1:2]
	v_add_co_u32 v1, s14, s14, v14
	s_delay_alu instid0(VALU_DEP_1) | instskip(SKIP_2) | instid1(VALU_DEP_3)
	v_add_co_ci_u32_e64 v6, null, s15, 0, s14
	s_mul_i32 s17, s3, 0xd24
	s_waitcnt lgkmcnt(0)
	v_add_co_u32 v3, vcc_lo, s18, v3
	v_add_co_ci_u32_e32 v4, vcc_lo, s19, v4, vcc_lo
	v_sub_co_u32 v5, vcc_lo, v1, s12
	v_subrev_co_ci_u32_e32 v6, vcc_lo, 0, v6, vcc_lo
	v_lshlrev_b32_e32 v1, 2, v0
	s_mul_i32 s14, s2, 0xd24
	s_add_i32 s16, s16, s17
	s_delay_alu instid0(VALU_DEP_2) | instskip(SKIP_4) | instid1(VALU_DEP_3)
	v_lshlrev_b64 v[7:8], 3, v[5:6]
	s_add_u32 s6, s6, s14
	s_addc_u32 s7, s7, s16
	v_add_co_u32 v5, s6, s6, v1
	v_mov_b32_e32 v1, v2
	v_add_co_u32 v7, vcc_lo, s4, v7
	v_add_co_ci_u32_e64 v6, null, s7, 0, s6
	v_add_co_ci_u32_e32 v8, vcc_lo, s5, v8, vcc_lo
	s_set_inst_prefetch_distance 0x1
	s_branch .LBB428_13
	.p2align	6
.LBB428_12:                             ;   in Loop: Header=BB428_13 Depth=1
	s_or_b32 exec_lo, exec_lo, s4
	s_add_u32 s2, s2, 1
	s_addc_u32 s3, s3, 0
	v_add_co_u32 v7, vcc_lo, v7, 8
	v_cmp_lt_i64_e64 s4, s[2:3], s[0:1]
	v_add_co_ci_u32_e32 v8, vcc_lo, 0, v8, vcc_lo
	s_delay_alu instid0(VALU_DEP_2)
	s_and_b32 vcc_lo, exec_lo, s4
	s_cbranch_vccz .LBB428_18
.LBB428_13:                             ; =>This Inner Loop Header: Depth=1
	v_add_co_u32 v15, s4, v14, s2
	s_delay_alu instid0(VALU_DEP_1) | instskip(SKIP_1) | instid1(VALU_DEP_1)
	v_add_co_ci_u32_e64 v16, null, 0, s3, s4
	s_mov_b32 s4, exec_lo
	v_cmpx_gt_i64_e64 s[0:1], v[15:16]
	s_cbranch_execz .LBB428_12
; %bb.14:                               ;   in Loop: Header=BB428_13 Depth=1
	global_load_b64 v[15:16], v[7:8], off
	s_waitcnt vmcnt(0)
	v_sub_co_u32 v17, vcc_lo, v15, s12
	v_subrev_co_ci_u32_e32 v19, vcc_lo, 0, v16, vcc_lo
	s_delay_alu instid0(VALU_DEP_2) | instskip(NEXT) | instid1(VALU_DEP_1)
	v_mad_u64_u32 v[15:16], null, 0xe8, v17, v[3:4]
	v_mad_u64_u32 v[17:18], null, 0xe8, v19, v[16:17]
	s_delay_alu instid0(VALU_DEP_1)
	v_mov_b32_e32 v16, v17
	global_load_b32 v17, v[5:6], off
	global_load_b64 v[15:16], v[15:16], off
	v_add_co_u32 v5, vcc_lo, 0xd24, v5
	v_add_co_ci_u32_e32 v6, vcc_lo, 0, v6, vcc_lo
	s_waitcnt vmcnt(0)
	v_fmac_f32_e32 v1, v17, v15
	s_delay_alu instid0(VALU_DEP_1) | instskip(NEXT) | instid1(VALU_DEP_1)
	v_dual_fmac_f32 v2, 0, v15 :: v_dual_fmac_f32 v1, 0x80000000, v16
	v_fmac_f32_e32 v2, v17, v16
	s_branch .LBB428_12
.LBB428_15:
	v_dual_mov_b32 v1, s4 :: v_dual_mov_b32 v2, s5
	flat_load_b32 v11, v[1:2]
	v_cndmask_b32_e64 v1, 0, 1, s6
	v_mov_b32_e32 v12, s5
	s_and_not1_b32 vcc_lo, exec_lo, s6
	s_cbranch_vccnz .LBB428_2
.LBB428_16:
	v_dual_mov_b32 v2, s4 :: v_dual_mov_b32 v3, s5
	flat_load_b32 v12, v[2:3] offset:4
	v_cmp_ne_u32_e32 vcc_lo, 1, v1
	v_mov_b32_e32 v9, s2
	s_cbranch_vccnz .LBB428_3
.LBB428_17:
	v_dual_mov_b32 v2, s2 :: v_dual_mov_b32 v3, s3
	flat_load_b32 v9, v[2:3]
	v_cmp_ne_u32_e32 vcc_lo, 1, v1
	v_mov_b32_e32 v10, s3
	s_cbranch_vccz .LBB428_4
	s_branch .LBB428_5
.LBB428_18:
	s_set_inst_prefetch_distance 0x2
	v_lshlrev_b32_e32 v3, 3, v0
	s_and_b32 vcc_lo, exec_lo, s13
	ds_store_b64 v3, v[1:2]
	s_waitcnt lgkmcnt(0)
	s_barrier
	buffer_gl0_inv
	s_cbranch_vccz .LBB428_30
; %bb.19:
	s_mov_b32 s0, exec_lo
	v_cmpx_gt_u16_e32 13, v13
	s_cbranch_execz .LBB428_21
; %bb.20:
	ds_load_2addr_b64 v[4:7], v3 offset1:16
	s_waitcnt lgkmcnt(0)
	v_dual_add_f32 v4, v6, v4 :: v_dual_add_f32 v5, v7, v5
	ds_store_b64 v3, v[4:5]
.LBB428_21:
	s_or_b32 exec_lo, exec_lo, s0
	s_delay_alu instid0(SALU_CYCLE_1)
	s_mov_b32 s0, exec_lo
	s_waitcnt lgkmcnt(0)
	s_barrier
	buffer_gl0_inv
	v_cmpx_gt_u16_e32 8, v13
	s_cbranch_execz .LBB428_23
; %bb.22:
	ds_load_2addr_b64 v[4:7], v3 offset1:8
	s_waitcnt lgkmcnt(0)
	v_dual_add_f32 v4, v6, v4 :: v_dual_add_f32 v5, v7, v5
	ds_store_b64 v3, v[4:5]
.LBB428_23:
	s_or_b32 exec_lo, exec_lo, s0
	s_delay_alu instid0(SALU_CYCLE_1)
	s_mov_b32 s0, exec_lo
	s_waitcnt lgkmcnt(0)
	s_barrier
	buffer_gl0_inv
	;; [unrolled: 14-line block ×3, first 2 shown]
	v_cmpx_gt_u16_e32 2, v13
	s_cbranch_execz .LBB428_27
; %bb.26:
	ds_load_2addr_b64 v[4:7], v3 offset1:2
	s_waitcnt lgkmcnt(0)
	v_dual_add_f32 v4, v6, v4 :: v_dual_add_f32 v5, v7, v5
	ds_store_b64 v3, v[4:5]
.LBB428_27:
	s_or_b32 exec_lo, exec_lo, s0
	s_mov_b32 s1, 0
	s_mov_b32 s0, 0
	s_mov_b32 s2, exec_lo
	s_waitcnt lgkmcnt(0)
	s_barrier
	buffer_gl0_inv
                                        ; implicit-def: $vgpr5
                                        ; implicit-def: $vgpr4
	v_cmpx_gt_u32_e32 29, v0
	s_xor_b32 s2, exec_lo, s2
; %bb.28:
	v_mul_u32_u24_e32 v5, 29, v0
	v_mad_u32_u24 v4, v0, 29, 1
	s_mov_b32 s0, exec_lo
	s_delay_alu instid0(VALU_DEP_2)
	v_lshlrev_b32_e32 v5, 3, v5
; %bb.29:
	s_or_b32 exec_lo, exec_lo, s2
	s_delay_alu instid0(SALU_CYCLE_1)
	s_and_b32 vcc_lo, exec_lo, s1
	s_cbranch_vccnz .LBB428_31
	s_branch .LBB428_42
.LBB428_30:
	s_mov_b32 s0, 0
                                        ; implicit-def: $vgpr5
                                        ; implicit-def: $vgpr4
	s_cbranch_execz .LBB428_42
.LBB428_31:
	s_mov_b32 s1, exec_lo
	v_cmpx_gt_u32_e32 0x179, v0
	s_cbranch_execz .LBB428_33
; %bb.32:
	ds_load_b64 v[4:5], v3 offset:3712
	ds_load_b64 v[6:7], v3
	s_waitcnt lgkmcnt(0)
	v_dual_add_f32 v4, v4, v6 :: v_dual_add_f32 v5, v5, v7
	ds_store_b64 v3, v[4:5]
.LBB428_33:
	s_or_b32 exec_lo, exec_lo, s1
	s_delay_alu instid0(SALU_CYCLE_1)
	s_mov_b32 s1, exec_lo
	s_waitcnt lgkmcnt(0)
	s_barrier
	buffer_gl0_inv
	v_cmpx_gt_u32_e32 0xe8, v0
	s_cbranch_execz .LBB428_35
; %bb.34:
	ds_load_2addr_b64 v[4:7], v3 offset1:232
	s_waitcnt lgkmcnt(0)
	v_dual_add_f32 v4, v6, v4 :: v_dual_add_f32 v5, v7, v5
	ds_store_b64 v3, v[4:5]
.LBB428_35:
	s_or_b32 exec_lo, exec_lo, s1
	s_delay_alu instid0(SALU_CYCLE_1)
	s_mov_b32 s1, exec_lo
	s_waitcnt lgkmcnt(0)
	s_barrier
	buffer_gl0_inv
	v_cmpx_gt_u32_e32 0x74, v0
	s_cbranch_execz .LBB428_37
; %bb.36:
	ds_load_2addr_b64 v[4:7], v3 offset1:116
	s_waitcnt lgkmcnt(0)
	v_dual_add_f32 v4, v6, v4 :: v_dual_add_f32 v5, v7, v5
	ds_store_b64 v3, v[4:5]
.LBB428_37:
	;; [unrolled: 14-line block ×3, first 2 shown]
	s_or_b32 exec_lo, exec_lo, s1
	s_delay_alu instid0(SALU_CYCLE_1)
	s_mov_b32 s1, exec_lo
	s_waitcnt lgkmcnt(0)
	buffer_gl0_inv
                                        ; implicit-def: $vgpr4
	v_cmpx_gt_u32_e32 29, v0
; %bb.40:
	v_add_nc_u32_e32 v4, 29, v0
                                        ; kill: def $vgpr1 killed $sgpr0 killed $exec
	s_or_b32 s0, s0, exec_lo
                                        ; implicit-def: $vgpr2
; %bb.41:
	s_or_b32 exec_lo, exec_lo, s1
	v_mov_b32_e32 v5, v3
.LBB428_42:
	s_and_saveexec_b32 s1, s0
	s_cbranch_execnz .LBB428_45
; %bb.43:
	s_or_b32 exec_lo, exec_lo, s1
	v_cmp_gt_u32_e32 vcc_lo, 29, v0
	s_and_b32 exec_lo, exec_lo, vcc_lo
	s_cbranch_execnz .LBB428_46
.LBB428_44:
	s_nop 0
	s_sendmsg sendmsg(MSG_DEALLOC_VGPRS)
	s_endpgm
.LBB428_45:
	v_lshlrev_b32_e32 v3, 3, v4
	ds_load_2addr_b32 v[1:2], v5 offset1:1
	ds_load_b64 v[3:4], v3
	s_waitcnt lgkmcnt(0)
	v_dual_add_f32 v2, v4, v2 :: v_dual_add_f32 v1, v3, v1
	s_or_b32 exec_lo, exec_lo, s1
	v_cmp_gt_u32_e32 vcc_lo, 29, v0
	s_and_b32 exec_lo, exec_lo, vcc_lo
	s_cbranch_execz .LBB428_44
.LBB428_46:
	v_mul_f32_e64 v3, v2, -v12
	v_mul_f32_e32 v4, v2, v11
	v_cmp_eq_f32_e32 vcc_lo, 0, v9
	v_cmp_eq_f32_e64 s0, 0, v10
	s_mul_hi_u32 s1, s8, 0xe8
	v_fmac_f32_e32 v3, v11, v1
	v_fmac_f32_e32 v4, v12, v1
	s_mul_i32 s2, s8, 0xe8
	s_and_b32 s3, vcc_lo, s0
	s_mul_i32 s0, s9, 0xe8
	s_and_saveexec_b32 s4, s3
	s_delay_alu instid0(SALU_CYCLE_1)
	s_xor_b32 s3, exec_lo, s4
	s_cbranch_execz .LBB428_48
; %bb.47:
	v_lshlrev_b32_e32 v0, 3, v0
	s_add_i32 s5, s1, s0
	s_add_u32 s4, s10, s2
	s_addc_u32 s5, s11, s5
                                        ; implicit-def: $vgpr9
                                        ; implicit-def: $vgpr10
	global_store_b64 v0, v[3:4], s[4:5]
                                        ; implicit-def: $vgpr0
                                        ; implicit-def: $vgpr3
.LBB428_48:
	s_and_not1_saveexec_b32 s3, s3
	s_cbranch_execz .LBB428_44
; %bb.49:
	v_lshlrev_b32_e32 v2, 3, v0
	s_add_i32 s1, s1, s0
	s_add_u32 s0, s10, s2
	s_addc_u32 s1, s11, s1
	global_load_b64 v[0:1], v2, s[0:1]
	s_waitcnt vmcnt(0)
	v_fmac_f32_e32 v3, v9, v0
	v_fmac_f32_e32 v4, v10, v0
	s_delay_alu instid0(VALU_DEP_2) | instskip(NEXT) | instid1(VALU_DEP_2)
	v_fma_f32 v3, -v10, v1, v3
	v_fmac_f32_e32 v4, v9, v1
	global_store_b64 v2, v[3:4], s[0:1]
	s_nop 0
	s_sendmsg sendmsg(MSG_DEALLOC_VGPRS)
	s_endpgm
	.section	.rodata,"a",@progbits
	.p2align	6, 0x0
	.amdhsa_kernel _ZN9rocsparseL20bsrxmvn_17_32_kernelILj29E21rocsparse_complex_numIfEllfS2_S2_EEvT2_20rocsparse_direction_NS_24const_host_device_scalarIT0_EES3_PKS3_PKT1_SC_S9_PKT3_PKT4_S7_PT5_21rocsparse_index_base_b
		.amdhsa_group_segment_fixed_size 6728
		.amdhsa_private_segment_fixed_size 0
		.amdhsa_kernarg_size 104
		.amdhsa_user_sgpr_count 15
		.amdhsa_user_sgpr_dispatch_ptr 0
		.amdhsa_user_sgpr_queue_ptr 0
		.amdhsa_user_sgpr_kernarg_segment_ptr 1
		.amdhsa_user_sgpr_dispatch_id 0
		.amdhsa_user_sgpr_private_segment_size 0
		.amdhsa_wavefront_size32 1
		.amdhsa_uses_dynamic_stack 0
		.amdhsa_enable_private_segment 0
		.amdhsa_system_sgpr_workgroup_id_x 1
		.amdhsa_system_sgpr_workgroup_id_y 0
		.amdhsa_system_sgpr_workgroup_id_z 0
		.amdhsa_system_sgpr_workgroup_info 0
		.amdhsa_system_vgpr_workitem_id 0
		.amdhsa_next_free_vgpr 20
		.amdhsa_next_free_sgpr 20
		.amdhsa_reserve_vcc 1
		.amdhsa_float_round_mode_32 0
		.amdhsa_float_round_mode_16_64 0
		.amdhsa_float_denorm_mode_32 3
		.amdhsa_float_denorm_mode_16_64 3
		.amdhsa_dx10_clamp 1
		.amdhsa_ieee_mode 1
		.amdhsa_fp16_overflow 0
		.amdhsa_workgroup_processor_mode 1
		.amdhsa_memory_ordered 1
		.amdhsa_forward_progress 0
		.amdhsa_shared_vgpr_count 0
		.amdhsa_exception_fp_ieee_invalid_op 0
		.amdhsa_exception_fp_denorm_src 0
		.amdhsa_exception_fp_ieee_div_zero 0
		.amdhsa_exception_fp_ieee_overflow 0
		.amdhsa_exception_fp_ieee_underflow 0
		.amdhsa_exception_fp_ieee_inexact 0
		.amdhsa_exception_int_div_zero 0
	.end_amdhsa_kernel
	.section	.text._ZN9rocsparseL20bsrxmvn_17_32_kernelILj29E21rocsparse_complex_numIfEllfS2_S2_EEvT2_20rocsparse_direction_NS_24const_host_device_scalarIT0_EES3_PKS3_PKT1_SC_S9_PKT3_PKT4_S7_PT5_21rocsparse_index_base_b,"axG",@progbits,_ZN9rocsparseL20bsrxmvn_17_32_kernelILj29E21rocsparse_complex_numIfEllfS2_S2_EEvT2_20rocsparse_direction_NS_24const_host_device_scalarIT0_EES3_PKS3_PKT1_SC_S9_PKT3_PKT4_S7_PT5_21rocsparse_index_base_b,comdat
.Lfunc_end428:
	.size	_ZN9rocsparseL20bsrxmvn_17_32_kernelILj29E21rocsparse_complex_numIfEllfS2_S2_EEvT2_20rocsparse_direction_NS_24const_host_device_scalarIT0_EES3_PKS3_PKT1_SC_S9_PKT3_PKT4_S7_PT5_21rocsparse_index_base_b, .Lfunc_end428-_ZN9rocsparseL20bsrxmvn_17_32_kernelILj29E21rocsparse_complex_numIfEllfS2_S2_EEvT2_20rocsparse_direction_NS_24const_host_device_scalarIT0_EES3_PKS3_PKT1_SC_S9_PKT3_PKT4_S7_PT5_21rocsparse_index_base_b
                                        ; -- End function
	.section	.AMDGPU.csdata,"",@progbits
; Kernel info:
; codeLenInByte = 1904
; NumSgprs: 22
; NumVgprs: 20
; ScratchSize: 0
; MemoryBound: 0
; FloatMode: 240
; IeeeMode: 1
; LDSByteSize: 6728 bytes/workgroup (compile time only)
; SGPRBlocks: 2
; VGPRBlocks: 2
; NumSGPRsForWavesPerEU: 22
; NumVGPRsForWavesPerEU: 20
; Occupancy: 14
; WaveLimiterHint : 1
; COMPUTE_PGM_RSRC2:SCRATCH_EN: 0
; COMPUTE_PGM_RSRC2:USER_SGPR: 15
; COMPUTE_PGM_RSRC2:TRAP_HANDLER: 0
; COMPUTE_PGM_RSRC2:TGID_X_EN: 1
; COMPUTE_PGM_RSRC2:TGID_Y_EN: 0
; COMPUTE_PGM_RSRC2:TGID_Z_EN: 0
; COMPUTE_PGM_RSRC2:TIDIG_COMP_CNT: 0
	.section	.text._ZN9rocsparseL20bsrxmvn_17_32_kernelILj30E21rocsparse_complex_numIfEllfS2_S2_EEvT2_20rocsparse_direction_NS_24const_host_device_scalarIT0_EES3_PKS3_PKT1_SC_S9_PKT3_PKT4_S7_PT5_21rocsparse_index_base_b,"axG",@progbits,_ZN9rocsparseL20bsrxmvn_17_32_kernelILj30E21rocsparse_complex_numIfEllfS2_S2_EEvT2_20rocsparse_direction_NS_24const_host_device_scalarIT0_EES3_PKS3_PKT1_SC_S9_PKT3_PKT4_S7_PT5_21rocsparse_index_base_b,comdat
	.globl	_ZN9rocsparseL20bsrxmvn_17_32_kernelILj30E21rocsparse_complex_numIfEllfS2_S2_EEvT2_20rocsparse_direction_NS_24const_host_device_scalarIT0_EES3_PKS3_PKT1_SC_S9_PKT3_PKT4_S7_PT5_21rocsparse_index_base_b ; -- Begin function _ZN9rocsparseL20bsrxmvn_17_32_kernelILj30E21rocsparse_complex_numIfEllfS2_S2_EEvT2_20rocsparse_direction_NS_24const_host_device_scalarIT0_EES3_PKS3_PKT1_SC_S9_PKT3_PKT4_S7_PT5_21rocsparse_index_base_b
	.p2align	8
	.type	_ZN9rocsparseL20bsrxmvn_17_32_kernelILj30E21rocsparse_complex_numIfEllfS2_S2_EEvT2_20rocsparse_direction_NS_24const_host_device_scalarIT0_EES3_PKS3_PKT1_SC_S9_PKT3_PKT4_S7_PT5_21rocsparse_index_base_b,@function
_ZN9rocsparseL20bsrxmvn_17_32_kernelILj30E21rocsparse_complex_numIfEllfS2_S2_EEvT2_20rocsparse_direction_NS_24const_host_device_scalarIT0_EES3_PKS3_PKT1_SC_S9_PKT3_PKT4_S7_PT5_21rocsparse_index_base_b: ; @_ZN9rocsparseL20bsrxmvn_17_32_kernelILj30E21rocsparse_complex_numIfEllfS2_S2_EEvT2_20rocsparse_direction_NS_24const_host_device_scalarIT0_EES3_PKS3_PKT1_SC_S9_PKT3_PKT4_S7_PT5_21rocsparse_index_base_b
; %bb.0:
	s_clause 0x2
	s_load_b64 s[12:13], s[0:1], 0x60
	s_load_b64 s[4:5], s[0:1], 0x10
	;; [unrolled: 1-line block ×3, first 2 shown]
	s_mov_b32 s8, s15
	s_waitcnt lgkmcnt(0)
	s_bitcmp1_b32 s13, 0
	v_mov_b32_e32 v11, s4
	s_cselect_b32 s6, -1, 0
	s_delay_alu instid0(SALU_CYCLE_1)
	s_and_b32 vcc_lo, exec_lo, s6
	s_xor_b32 s6, s6, -1
	s_cbranch_vccz .LBB429_15
; %bb.1:
	v_cndmask_b32_e64 v1, 0, 1, s6
	v_mov_b32_e32 v12, s5
	s_and_not1_b32 vcc_lo, exec_lo, s6
	s_cbranch_vccz .LBB429_16
.LBB429_2:
	s_delay_alu instid0(VALU_DEP_2)
	v_cmp_ne_u32_e32 vcc_lo, 1, v1
	v_mov_b32_e32 v9, s2
	s_cbranch_vccz .LBB429_17
.LBB429_3:
	v_cmp_ne_u32_e32 vcc_lo, 1, v1
	v_mov_b32_e32 v10, s3
	s_cbranch_vccnz .LBB429_5
.LBB429_4:
	v_dual_mov_b32 v1, s2 :: v_dual_mov_b32 v2, s3
	flat_load_b32 v10, v[1:2] offset:4
.LBB429_5:
	s_waitcnt vmcnt(0) lgkmcnt(0)
	v_cmp_eq_f32_e32 vcc_lo, 0, v11
	v_cmp_eq_f32_e64 s2, 0, v12
	s_delay_alu instid0(VALU_DEP_1)
	s_and_b32 s4, vcc_lo, s2
	s_mov_b32 s2, -1
	s_and_saveexec_b32 s3, s4
; %bb.6:
	v_cmp_neq_f32_e32 vcc_lo, 1.0, v9
	v_cmp_neq_f32_e64 s2, 0, v10
	s_delay_alu instid0(VALU_DEP_1) | instskip(NEXT) | instid1(SALU_CYCLE_1)
	s_or_b32 s2, vcc_lo, s2
	s_or_not1_b32 s2, s2, exec_lo
; %bb.7:
	s_or_b32 exec_lo, exec_lo, s3
	s_and_saveexec_b32 s3, s2
	s_cbranch_execz .LBB429_44
; %bb.8:
	s_clause 0x1
	s_load_b128 s[4:7], s[0:1], 0x20
	s_load_b64 s[10:11], s[0:1], 0x30
	s_mov_b32 s9, 0
	s_waitcnt lgkmcnt(0)
	s_cmp_eq_u64 s[4:5], 0
	s_cbranch_scc1 .LBB429_10
; %bb.9:
	s_lshl_b64 s[2:3], s[8:9], 3
	s_delay_alu instid0(SALU_CYCLE_1)
	s_add_u32 s2, s4, s2
	s_addc_u32 s3, s5, s3
	s_load_b64 s[2:3], s[2:3], 0x0
	s_waitcnt lgkmcnt(0)
	s_sub_u32 s8, s2, s12
	s_subb_u32 s9, s3, 0
.LBB429_10:
	s_load_b32 s3, s[0:1], 0x8
	v_mul_u32_u24_e32 v1, 0x889, v0
	v_mov_b32_e32 v2, 0
	s_delay_alu instid0(VALU_DEP_2) | instskip(NEXT) | instid1(VALU_DEP_1)
	v_lshrrev_b32_e32 v3, 16, v1
	v_mul_lo_u16 v1, v3, 30
	s_delay_alu instid0(VALU_DEP_1)
	v_sub_nc_u16 v13, v0, v1
	v_mov_b32_e32 v1, 0
	s_waitcnt lgkmcnt(0)
	s_cmp_eq_u32 s3, 1
	s_cselect_b32 s2, -1, 0
	s_cmp_lg_u32 s3, 1
	s_cselect_b32 s13, -1, 0
	s_lshl_b64 s[4:5], s[8:9], 3
	s_delay_alu instid0(SALU_CYCLE_1)
	s_add_u32 s6, s6, s4
	s_addc_u32 s7, s7, s5
	s_add_u32 s3, s6, 8
	s_addc_u32 s14, s7, 0
	;; [unrolled: 2-line block ×3, first 2 shown]
	s_cmp_eq_u64 s[10:11], 0
	s_load_b64 s[10:11], s[0:1], 0x58
	s_cselect_b32 s5, s14, s5
	s_cselect_b32 s4, s3, s4
	s_load_b64 s[14:15], s[6:7], 0x0
	s_load_b64 s[16:17], s[4:5], 0x0
	s_waitcnt lgkmcnt(0)
	v_cmp_ge_i64_e64 s3, s[14:15], s[16:17]
	s_delay_alu instid0(VALU_DEP_1)
	s_and_b32 vcc_lo, exec_lo, s3
	s_cbranch_vccnz .LBB429_18
; %bb.11:
	v_dual_mov_b32 v2, 0 :: v_dual_and_b32 v1, 0xffff, v3
	v_cmp_gt_u32_e32 vcc_lo, 0x384, v0
	s_clause 0x1
	s_load_b128 s[4:7], s[0:1], 0x38
	s_load_b64 s[18:19], s[0:1], 0x48
	v_and_b32_e32 v4, 0xffff, v13
	v_subrev_nc_u32_e32 v3, 30, v1
	s_sub_u32 s0, s16, s12
	s_subb_u32 s1, s17, 0
	s_delay_alu instid0(VALU_DEP_1) | instskip(SKIP_1) | instid1(VALU_DEP_2)
	v_cndmask_b32_e32 v1, v3, v1, vcc_lo
	v_cmp_lt_u32_e32 vcc_lo, 0x383, v0
	v_cndmask_b32_e64 v1, v4, v1, s2
	v_cndmask_b32_e64 v14, 0, 1, vcc_lo
	s_sub_u32 s2, s14, s12
	s_subb_u32 s3, s15, 0
	s_mul_hi_u32 s16, s2, 0xe10
	v_lshlrev_b64 v[3:4], 3, v[1:2]
	v_add_co_u32 v1, s14, s14, v14
	s_delay_alu instid0(VALU_DEP_1) | instskip(SKIP_2) | instid1(VALU_DEP_3)
	v_add_co_ci_u32_e64 v6, null, s15, 0, s14
	s_mul_i32 s17, s3, 0xe10
	s_waitcnt lgkmcnt(0)
	v_add_co_u32 v3, vcc_lo, s18, v3
	v_add_co_ci_u32_e32 v4, vcc_lo, s19, v4, vcc_lo
	v_sub_co_u32 v5, vcc_lo, v1, s12
	v_subrev_co_ci_u32_e32 v6, vcc_lo, 0, v6, vcc_lo
	v_lshlrev_b32_e32 v1, 2, v0
	s_mul_i32 s14, s2, 0xe10
	s_add_i32 s16, s16, s17
	s_delay_alu instid0(VALU_DEP_2) | instskip(SKIP_4) | instid1(VALU_DEP_3)
	v_lshlrev_b64 v[7:8], 3, v[5:6]
	s_add_u32 s6, s6, s14
	s_addc_u32 s7, s7, s16
	v_add_co_u32 v5, s6, s6, v1
	v_mov_b32_e32 v1, v2
	v_add_co_u32 v7, vcc_lo, s4, v7
	v_add_co_ci_u32_e64 v6, null, s7, 0, s6
	v_add_co_ci_u32_e32 v8, vcc_lo, s5, v8, vcc_lo
	s_set_inst_prefetch_distance 0x1
	s_branch .LBB429_13
	.p2align	6
.LBB429_12:                             ;   in Loop: Header=BB429_13 Depth=1
	s_or_b32 exec_lo, exec_lo, s4
	s_add_u32 s2, s2, 1
	s_addc_u32 s3, s3, 0
	v_add_co_u32 v7, vcc_lo, v7, 8
	v_cmp_lt_i64_e64 s4, s[2:3], s[0:1]
	v_add_co_ci_u32_e32 v8, vcc_lo, 0, v8, vcc_lo
	s_delay_alu instid0(VALU_DEP_2)
	s_and_b32 vcc_lo, exec_lo, s4
	s_cbranch_vccz .LBB429_18
.LBB429_13:                             ; =>This Inner Loop Header: Depth=1
	v_add_co_u32 v15, s4, v14, s2
	s_delay_alu instid0(VALU_DEP_1) | instskip(SKIP_1) | instid1(VALU_DEP_1)
	v_add_co_ci_u32_e64 v16, null, 0, s3, s4
	s_mov_b32 s4, exec_lo
	v_cmpx_gt_i64_e64 s[0:1], v[15:16]
	s_cbranch_execz .LBB429_12
; %bb.14:                               ;   in Loop: Header=BB429_13 Depth=1
	global_load_b64 v[15:16], v[7:8], off
	s_waitcnt vmcnt(0)
	v_sub_co_u32 v17, vcc_lo, v15, s12
	v_subrev_co_ci_u32_e32 v19, vcc_lo, 0, v16, vcc_lo
	s_delay_alu instid0(VALU_DEP_2) | instskip(NEXT) | instid1(VALU_DEP_1)
	v_mad_u64_u32 v[15:16], null, 0xf0, v17, v[3:4]
	v_mad_u64_u32 v[17:18], null, 0xf0, v19, v[16:17]
	s_delay_alu instid0(VALU_DEP_1)
	v_mov_b32_e32 v16, v17
	global_load_b32 v17, v[5:6], off
	global_load_b64 v[15:16], v[15:16], off
	v_add_co_u32 v5, vcc_lo, 0xe10, v5
	v_add_co_ci_u32_e32 v6, vcc_lo, 0, v6, vcc_lo
	s_waitcnt vmcnt(0)
	v_fmac_f32_e32 v1, v17, v15
	s_delay_alu instid0(VALU_DEP_1) | instskip(NEXT) | instid1(VALU_DEP_1)
	v_dual_fmac_f32 v2, 0, v15 :: v_dual_fmac_f32 v1, 0x80000000, v16
	v_fmac_f32_e32 v2, v17, v16
	s_branch .LBB429_12
.LBB429_15:
	v_dual_mov_b32 v1, s4 :: v_dual_mov_b32 v2, s5
	flat_load_b32 v11, v[1:2]
	v_cndmask_b32_e64 v1, 0, 1, s6
	v_mov_b32_e32 v12, s5
	s_and_not1_b32 vcc_lo, exec_lo, s6
	s_cbranch_vccnz .LBB429_2
.LBB429_16:
	v_dual_mov_b32 v2, s4 :: v_dual_mov_b32 v3, s5
	flat_load_b32 v12, v[2:3] offset:4
	v_cmp_ne_u32_e32 vcc_lo, 1, v1
	v_mov_b32_e32 v9, s2
	s_cbranch_vccnz .LBB429_3
.LBB429_17:
	v_dual_mov_b32 v2, s2 :: v_dual_mov_b32 v3, s3
	flat_load_b32 v9, v[2:3]
	v_cmp_ne_u32_e32 vcc_lo, 1, v1
	v_mov_b32_e32 v10, s3
	s_cbranch_vccz .LBB429_4
	s_branch .LBB429_5
.LBB429_18:
	s_set_inst_prefetch_distance 0x2
	v_lshlrev_b32_e32 v3, 3, v0
	s_and_b32 vcc_lo, exec_lo, s13
	ds_store_b64 v3, v[1:2]
	s_waitcnt lgkmcnt(0)
	s_barrier
	buffer_gl0_inv
	s_cbranch_vccz .LBB429_30
; %bb.19:
	s_mov_b32 s0, exec_lo
	v_cmpx_gt_u16_e32 14, v13
	s_cbranch_execz .LBB429_21
; %bb.20:
	ds_load_2addr_b64 v[4:7], v3 offset1:16
	s_waitcnt lgkmcnt(0)
	v_dual_add_f32 v4, v6, v4 :: v_dual_add_f32 v5, v7, v5
	ds_store_b64 v3, v[4:5]
.LBB429_21:
	s_or_b32 exec_lo, exec_lo, s0
	s_delay_alu instid0(SALU_CYCLE_1)
	s_mov_b32 s0, exec_lo
	s_waitcnt lgkmcnt(0)
	s_barrier
	buffer_gl0_inv
	v_cmpx_gt_u16_e32 8, v13
	s_cbranch_execz .LBB429_23
; %bb.22:
	ds_load_2addr_b64 v[4:7], v3 offset1:8
	s_waitcnt lgkmcnt(0)
	v_dual_add_f32 v4, v6, v4 :: v_dual_add_f32 v5, v7, v5
	ds_store_b64 v3, v[4:5]
.LBB429_23:
	s_or_b32 exec_lo, exec_lo, s0
	s_delay_alu instid0(SALU_CYCLE_1)
	s_mov_b32 s0, exec_lo
	s_waitcnt lgkmcnt(0)
	s_barrier
	buffer_gl0_inv
	;; [unrolled: 14-line block ×3, first 2 shown]
	v_cmpx_gt_u16_e32 2, v13
	s_cbranch_execz .LBB429_27
; %bb.26:
	ds_load_2addr_b64 v[4:7], v3 offset1:2
	s_waitcnt lgkmcnt(0)
	v_dual_add_f32 v4, v6, v4 :: v_dual_add_f32 v5, v7, v5
	ds_store_b64 v3, v[4:5]
.LBB429_27:
	s_or_b32 exec_lo, exec_lo, s0
	s_mov_b32 s1, 0
	s_mov_b32 s0, 0
	s_mov_b32 s2, exec_lo
	s_waitcnt lgkmcnt(0)
	s_barrier
	buffer_gl0_inv
                                        ; implicit-def: $vgpr5
                                        ; implicit-def: $vgpr4
	v_cmpx_gt_u32_e32 30, v0
	s_xor_b32 s2, exec_lo, s2
; %bb.28:
	v_mul_u32_u24_e32 v4, 30, v0
	s_mov_b32 s0, exec_lo
	s_delay_alu instid0(VALU_DEP_1)
	v_lshlrev_b32_e32 v5, 3, v4
	v_or_b32_e32 v4, 1, v4
; %bb.29:
	s_or_b32 exec_lo, exec_lo, s2
	s_delay_alu instid0(SALU_CYCLE_1)
	s_and_b32 vcc_lo, exec_lo, s1
	s_cbranch_vccnz .LBB429_31
	s_branch .LBB429_42
.LBB429_30:
	s_mov_b32 s0, 0
                                        ; implicit-def: $vgpr5
                                        ; implicit-def: $vgpr4
	s_cbranch_execz .LBB429_42
.LBB429_31:
	s_mov_b32 s1, exec_lo
	v_cmpx_gt_u32_e32 0x1a4, v0
	s_cbranch_execz .LBB429_33
; %bb.32:
	ds_load_b64 v[4:5], v3 offset:3840
	ds_load_b64 v[6:7], v3
	s_waitcnt lgkmcnt(0)
	v_dual_add_f32 v4, v4, v6 :: v_dual_add_f32 v5, v5, v7
	ds_store_b64 v3, v[4:5]
.LBB429_33:
	s_or_b32 exec_lo, exec_lo, s1
	s_delay_alu instid0(SALU_CYCLE_1)
	s_mov_b32 s1, exec_lo
	s_waitcnt lgkmcnt(0)
	s_barrier
	buffer_gl0_inv
	v_cmpx_gt_u32_e32 0xf0, v0
	s_cbranch_execz .LBB429_35
; %bb.34:
	ds_load_2addr_b64 v[4:7], v3 offset1:240
	s_waitcnt lgkmcnt(0)
	v_dual_add_f32 v4, v6, v4 :: v_dual_add_f32 v5, v7, v5
	ds_store_b64 v3, v[4:5]
.LBB429_35:
	s_or_b32 exec_lo, exec_lo, s1
	s_delay_alu instid0(SALU_CYCLE_1)
	s_mov_b32 s1, exec_lo
	s_waitcnt lgkmcnt(0)
	s_barrier
	buffer_gl0_inv
	v_cmpx_gt_u32_e32 0x78, v0
	s_cbranch_execz .LBB429_37
; %bb.36:
	ds_load_2addr_b64 v[4:7], v3 offset1:120
	s_waitcnt lgkmcnt(0)
	v_dual_add_f32 v4, v6, v4 :: v_dual_add_f32 v5, v7, v5
	ds_store_b64 v3, v[4:5]
.LBB429_37:
	;; [unrolled: 14-line block ×3, first 2 shown]
	s_or_b32 exec_lo, exec_lo, s1
	s_delay_alu instid0(SALU_CYCLE_1)
	s_mov_b32 s1, exec_lo
	s_waitcnt lgkmcnt(0)
	buffer_gl0_inv
                                        ; implicit-def: $vgpr4
	v_cmpx_gt_u32_e32 30, v0
; %bb.40:
	v_add_nc_u32_e32 v4, 30, v0
                                        ; kill: def $vgpr1 killed $sgpr0 killed $exec
	s_or_b32 s0, s0, exec_lo
                                        ; implicit-def: $vgpr2
; %bb.41:
	s_or_b32 exec_lo, exec_lo, s1
	v_mov_b32_e32 v5, v3
.LBB429_42:
	s_and_saveexec_b32 s1, s0
	s_cbranch_execnz .LBB429_45
; %bb.43:
	s_or_b32 exec_lo, exec_lo, s1
	v_cmp_gt_u32_e32 vcc_lo, 30, v0
	s_and_b32 exec_lo, exec_lo, vcc_lo
	s_cbranch_execnz .LBB429_46
.LBB429_44:
	s_nop 0
	s_sendmsg sendmsg(MSG_DEALLOC_VGPRS)
	s_endpgm
.LBB429_45:
	v_lshlrev_b32_e32 v3, 3, v4
	ds_load_2addr_b32 v[1:2], v5 offset1:1
	ds_load_b64 v[3:4], v3
	s_waitcnt lgkmcnt(0)
	v_dual_add_f32 v2, v4, v2 :: v_dual_add_f32 v1, v3, v1
	s_or_b32 exec_lo, exec_lo, s1
	v_cmp_gt_u32_e32 vcc_lo, 30, v0
	s_and_b32 exec_lo, exec_lo, vcc_lo
	s_cbranch_execz .LBB429_44
.LBB429_46:
	v_mul_f32_e64 v3, v2, -v12
	v_mul_f32_e32 v4, v2, v11
	v_cmp_eq_f32_e32 vcc_lo, 0, v9
	v_cmp_eq_f32_e64 s0, 0, v10
	s_mul_hi_u32 s1, s8, 0xf0
	v_fmac_f32_e32 v3, v11, v1
	v_fmac_f32_e32 v4, v12, v1
	s_mul_i32 s2, s8, 0xf0
	s_and_b32 s3, vcc_lo, s0
	s_mul_i32 s0, s9, 0xf0
	s_and_saveexec_b32 s4, s3
	s_delay_alu instid0(SALU_CYCLE_1)
	s_xor_b32 s3, exec_lo, s4
	s_cbranch_execz .LBB429_48
; %bb.47:
	v_lshlrev_b32_e32 v0, 3, v0
	s_add_i32 s5, s1, s0
	s_add_u32 s4, s10, s2
	s_addc_u32 s5, s11, s5
                                        ; implicit-def: $vgpr9
                                        ; implicit-def: $vgpr10
	global_store_b64 v0, v[3:4], s[4:5]
                                        ; implicit-def: $vgpr0
                                        ; implicit-def: $vgpr3
.LBB429_48:
	s_and_not1_saveexec_b32 s3, s3
	s_cbranch_execz .LBB429_44
; %bb.49:
	v_lshlrev_b32_e32 v2, 3, v0
	s_add_i32 s1, s1, s0
	s_add_u32 s0, s10, s2
	s_addc_u32 s1, s11, s1
	global_load_b64 v[0:1], v2, s[0:1]
	s_waitcnt vmcnt(0)
	v_fmac_f32_e32 v3, v9, v0
	v_fmac_f32_e32 v4, v10, v0
	s_delay_alu instid0(VALU_DEP_2) | instskip(NEXT) | instid1(VALU_DEP_2)
	v_fma_f32 v3, -v10, v1, v3
	v_fmac_f32_e32 v4, v9, v1
	global_store_b64 v2, v[3:4], s[0:1]
	s_nop 0
	s_sendmsg sendmsg(MSG_DEALLOC_VGPRS)
	s_endpgm
	.section	.rodata,"a",@progbits
	.p2align	6, 0x0
	.amdhsa_kernel _ZN9rocsparseL20bsrxmvn_17_32_kernelILj30E21rocsparse_complex_numIfEllfS2_S2_EEvT2_20rocsparse_direction_NS_24const_host_device_scalarIT0_EES3_PKS3_PKT1_SC_S9_PKT3_PKT4_S7_PT5_21rocsparse_index_base_b
		.amdhsa_group_segment_fixed_size 7200
		.amdhsa_private_segment_fixed_size 0
		.amdhsa_kernarg_size 104
		.amdhsa_user_sgpr_count 15
		.amdhsa_user_sgpr_dispatch_ptr 0
		.amdhsa_user_sgpr_queue_ptr 0
		.amdhsa_user_sgpr_kernarg_segment_ptr 1
		.amdhsa_user_sgpr_dispatch_id 0
		.amdhsa_user_sgpr_private_segment_size 0
		.amdhsa_wavefront_size32 1
		.amdhsa_uses_dynamic_stack 0
		.amdhsa_enable_private_segment 0
		.amdhsa_system_sgpr_workgroup_id_x 1
		.amdhsa_system_sgpr_workgroup_id_y 0
		.amdhsa_system_sgpr_workgroup_id_z 0
		.amdhsa_system_sgpr_workgroup_info 0
		.amdhsa_system_vgpr_workitem_id 0
		.amdhsa_next_free_vgpr 20
		.amdhsa_next_free_sgpr 20
		.amdhsa_reserve_vcc 1
		.amdhsa_float_round_mode_32 0
		.amdhsa_float_round_mode_16_64 0
		.amdhsa_float_denorm_mode_32 3
		.amdhsa_float_denorm_mode_16_64 3
		.amdhsa_dx10_clamp 1
		.amdhsa_ieee_mode 1
		.amdhsa_fp16_overflow 0
		.amdhsa_workgroup_processor_mode 1
		.amdhsa_memory_ordered 1
		.amdhsa_forward_progress 0
		.amdhsa_shared_vgpr_count 0
		.amdhsa_exception_fp_ieee_invalid_op 0
		.amdhsa_exception_fp_denorm_src 0
		.amdhsa_exception_fp_ieee_div_zero 0
		.amdhsa_exception_fp_ieee_overflow 0
		.amdhsa_exception_fp_ieee_underflow 0
		.amdhsa_exception_fp_ieee_inexact 0
		.amdhsa_exception_int_div_zero 0
	.end_amdhsa_kernel
	.section	.text._ZN9rocsparseL20bsrxmvn_17_32_kernelILj30E21rocsparse_complex_numIfEllfS2_S2_EEvT2_20rocsparse_direction_NS_24const_host_device_scalarIT0_EES3_PKS3_PKT1_SC_S9_PKT3_PKT4_S7_PT5_21rocsparse_index_base_b,"axG",@progbits,_ZN9rocsparseL20bsrxmvn_17_32_kernelILj30E21rocsparse_complex_numIfEllfS2_S2_EEvT2_20rocsparse_direction_NS_24const_host_device_scalarIT0_EES3_PKS3_PKT1_SC_S9_PKT3_PKT4_S7_PT5_21rocsparse_index_base_b,comdat
.Lfunc_end429:
	.size	_ZN9rocsparseL20bsrxmvn_17_32_kernelILj30E21rocsparse_complex_numIfEllfS2_S2_EEvT2_20rocsparse_direction_NS_24const_host_device_scalarIT0_EES3_PKS3_PKT1_SC_S9_PKT3_PKT4_S7_PT5_21rocsparse_index_base_b, .Lfunc_end429-_ZN9rocsparseL20bsrxmvn_17_32_kernelILj30E21rocsparse_complex_numIfEllfS2_S2_EEvT2_20rocsparse_direction_NS_24const_host_device_scalarIT0_EES3_PKS3_PKT1_SC_S9_PKT3_PKT4_S7_PT5_21rocsparse_index_base_b
                                        ; -- End function
	.section	.AMDGPU.csdata,"",@progbits
; Kernel info:
; codeLenInByte = 1900
; NumSgprs: 22
; NumVgprs: 20
; ScratchSize: 0
; MemoryBound: 0
; FloatMode: 240
; IeeeMode: 1
; LDSByteSize: 7200 bytes/workgroup (compile time only)
; SGPRBlocks: 2
; VGPRBlocks: 2
; NumSGPRsForWavesPerEU: 22
; NumVGPRsForWavesPerEU: 20
; Occupancy: 15
; WaveLimiterHint : 1
; COMPUTE_PGM_RSRC2:SCRATCH_EN: 0
; COMPUTE_PGM_RSRC2:USER_SGPR: 15
; COMPUTE_PGM_RSRC2:TRAP_HANDLER: 0
; COMPUTE_PGM_RSRC2:TGID_X_EN: 1
; COMPUTE_PGM_RSRC2:TGID_Y_EN: 0
; COMPUTE_PGM_RSRC2:TGID_Z_EN: 0
; COMPUTE_PGM_RSRC2:TIDIG_COMP_CNT: 0
	.section	.text._ZN9rocsparseL20bsrxmvn_17_32_kernelILj31E21rocsparse_complex_numIfEllfS2_S2_EEvT2_20rocsparse_direction_NS_24const_host_device_scalarIT0_EES3_PKS3_PKT1_SC_S9_PKT3_PKT4_S7_PT5_21rocsparse_index_base_b,"axG",@progbits,_ZN9rocsparseL20bsrxmvn_17_32_kernelILj31E21rocsparse_complex_numIfEllfS2_S2_EEvT2_20rocsparse_direction_NS_24const_host_device_scalarIT0_EES3_PKS3_PKT1_SC_S9_PKT3_PKT4_S7_PT5_21rocsparse_index_base_b,comdat
	.globl	_ZN9rocsparseL20bsrxmvn_17_32_kernelILj31E21rocsparse_complex_numIfEllfS2_S2_EEvT2_20rocsparse_direction_NS_24const_host_device_scalarIT0_EES3_PKS3_PKT1_SC_S9_PKT3_PKT4_S7_PT5_21rocsparse_index_base_b ; -- Begin function _ZN9rocsparseL20bsrxmvn_17_32_kernelILj31E21rocsparse_complex_numIfEllfS2_S2_EEvT2_20rocsparse_direction_NS_24const_host_device_scalarIT0_EES3_PKS3_PKT1_SC_S9_PKT3_PKT4_S7_PT5_21rocsparse_index_base_b
	.p2align	8
	.type	_ZN9rocsparseL20bsrxmvn_17_32_kernelILj31E21rocsparse_complex_numIfEllfS2_S2_EEvT2_20rocsparse_direction_NS_24const_host_device_scalarIT0_EES3_PKS3_PKT1_SC_S9_PKT3_PKT4_S7_PT5_21rocsparse_index_base_b,@function
_ZN9rocsparseL20bsrxmvn_17_32_kernelILj31E21rocsparse_complex_numIfEllfS2_S2_EEvT2_20rocsparse_direction_NS_24const_host_device_scalarIT0_EES3_PKS3_PKT1_SC_S9_PKT3_PKT4_S7_PT5_21rocsparse_index_base_b: ; @_ZN9rocsparseL20bsrxmvn_17_32_kernelILj31E21rocsparse_complex_numIfEllfS2_S2_EEvT2_20rocsparse_direction_NS_24const_host_device_scalarIT0_EES3_PKS3_PKT1_SC_S9_PKT3_PKT4_S7_PT5_21rocsparse_index_base_b
; %bb.0:
	s_clause 0x2
	s_load_b64 s[12:13], s[0:1], 0x60
	s_load_b64 s[4:5], s[0:1], 0x10
	;; [unrolled: 1-line block ×3, first 2 shown]
	s_mov_b32 s8, s15
	s_waitcnt lgkmcnt(0)
	s_bitcmp1_b32 s13, 0
	v_mov_b32_e32 v11, s4
	s_cselect_b32 s6, -1, 0
	s_delay_alu instid0(SALU_CYCLE_1)
	s_and_b32 vcc_lo, exec_lo, s6
	s_xor_b32 s6, s6, -1
	s_cbranch_vccz .LBB430_15
; %bb.1:
	v_cndmask_b32_e64 v1, 0, 1, s6
	v_mov_b32_e32 v12, s5
	s_and_not1_b32 vcc_lo, exec_lo, s6
	s_cbranch_vccz .LBB430_16
.LBB430_2:
	s_delay_alu instid0(VALU_DEP_2)
	v_cmp_ne_u32_e32 vcc_lo, 1, v1
	v_mov_b32_e32 v9, s2
	s_cbranch_vccz .LBB430_17
.LBB430_3:
	v_cmp_ne_u32_e32 vcc_lo, 1, v1
	v_mov_b32_e32 v10, s3
	s_cbranch_vccnz .LBB430_5
.LBB430_4:
	v_dual_mov_b32 v1, s2 :: v_dual_mov_b32 v2, s3
	flat_load_b32 v10, v[1:2] offset:4
.LBB430_5:
	s_waitcnt vmcnt(0) lgkmcnt(0)
	v_cmp_eq_f32_e32 vcc_lo, 0, v11
	v_cmp_eq_f32_e64 s2, 0, v12
	s_delay_alu instid0(VALU_DEP_1)
	s_and_b32 s4, vcc_lo, s2
	s_mov_b32 s2, -1
	s_and_saveexec_b32 s3, s4
; %bb.6:
	v_cmp_neq_f32_e32 vcc_lo, 1.0, v9
	v_cmp_neq_f32_e64 s2, 0, v10
	s_delay_alu instid0(VALU_DEP_1) | instskip(NEXT) | instid1(SALU_CYCLE_1)
	s_or_b32 s2, vcc_lo, s2
	s_or_not1_b32 s2, s2, exec_lo
; %bb.7:
	s_or_b32 exec_lo, exec_lo, s3
	s_and_saveexec_b32 s3, s2
	s_cbranch_execz .LBB430_44
; %bb.8:
	s_clause 0x1
	s_load_b128 s[4:7], s[0:1], 0x20
	s_load_b64 s[10:11], s[0:1], 0x30
	s_mov_b32 s9, 0
	s_waitcnt lgkmcnt(0)
	s_cmp_eq_u64 s[4:5], 0
	s_cbranch_scc1 .LBB430_10
; %bb.9:
	s_lshl_b64 s[2:3], s[8:9], 3
	s_delay_alu instid0(SALU_CYCLE_1)
	s_add_u32 s2, s4, s2
	s_addc_u32 s3, s5, s3
	s_load_b64 s[2:3], s[2:3], 0x0
	s_waitcnt lgkmcnt(0)
	s_sub_u32 s8, s2, s12
	s_subb_u32 s9, s3, 0
.LBB430_10:
	s_load_b32 s3, s[0:1], 0x8
	v_mul_u32_u24_e32 v1, 0x843, v0
	v_mov_b32_e32 v2, 0
	s_delay_alu instid0(VALU_DEP_2) | instskip(NEXT) | instid1(VALU_DEP_1)
	v_lshrrev_b32_e32 v3, 16, v1
	v_mul_lo_u16 v1, v3, 31
	s_delay_alu instid0(VALU_DEP_1)
	v_sub_nc_u16 v13, v0, v1
	v_mov_b32_e32 v1, 0
	s_waitcnt lgkmcnt(0)
	s_cmp_eq_u32 s3, 1
	s_cselect_b32 s2, -1, 0
	s_cmp_lg_u32 s3, 1
	s_cselect_b32 s13, -1, 0
	s_lshl_b64 s[4:5], s[8:9], 3
	s_delay_alu instid0(SALU_CYCLE_1)
	s_add_u32 s6, s6, s4
	s_addc_u32 s7, s7, s5
	s_add_u32 s3, s6, 8
	s_addc_u32 s14, s7, 0
	;; [unrolled: 2-line block ×3, first 2 shown]
	s_cmp_eq_u64 s[10:11], 0
	s_load_b64 s[10:11], s[0:1], 0x58
	s_cselect_b32 s5, s14, s5
	s_cselect_b32 s4, s3, s4
	s_load_b64 s[14:15], s[6:7], 0x0
	s_load_b64 s[16:17], s[4:5], 0x0
	s_waitcnt lgkmcnt(0)
	v_cmp_ge_i64_e64 s3, s[14:15], s[16:17]
	s_delay_alu instid0(VALU_DEP_1)
	s_and_b32 vcc_lo, exec_lo, s3
	s_cbranch_vccnz .LBB430_18
; %bb.11:
	v_dual_mov_b32 v2, 0 :: v_dual_and_b32 v1, 0xffff, v3
	v_cmp_gt_u32_e32 vcc_lo, 0x3c1, v0
	s_clause 0x1
	s_load_b128 s[4:7], s[0:1], 0x38
	s_load_b64 s[18:19], s[0:1], 0x48
	v_and_b32_e32 v4, 0xffff, v13
	v_subrev_nc_u32_e32 v3, 31, v1
	s_sub_u32 s0, s16, s12
	s_subb_u32 s1, s17, 0
	s_delay_alu instid0(VALU_DEP_1) | instskip(SKIP_1) | instid1(VALU_DEP_2)
	v_cndmask_b32_e32 v1, v3, v1, vcc_lo
	v_cmp_lt_u32_e32 vcc_lo, 0x3c0, v0
	v_cndmask_b32_e64 v1, v4, v1, s2
	v_cndmask_b32_e64 v14, 0, 1, vcc_lo
	s_sub_u32 s2, s14, s12
	s_subb_u32 s3, s15, 0
	s_mul_hi_u32 s16, s2, 0xf04
	v_lshlrev_b64 v[3:4], 3, v[1:2]
	v_add_co_u32 v1, s14, s14, v14
	s_delay_alu instid0(VALU_DEP_1) | instskip(SKIP_2) | instid1(VALU_DEP_3)
	v_add_co_ci_u32_e64 v6, null, s15, 0, s14
	s_mul_i32 s17, s3, 0xf04
	s_waitcnt lgkmcnt(0)
	v_add_co_u32 v3, vcc_lo, s18, v3
	v_add_co_ci_u32_e32 v4, vcc_lo, s19, v4, vcc_lo
	v_sub_co_u32 v5, vcc_lo, v1, s12
	v_subrev_co_ci_u32_e32 v6, vcc_lo, 0, v6, vcc_lo
	v_lshlrev_b32_e32 v1, 2, v0
	s_mul_i32 s14, s2, 0xf04
	s_add_i32 s16, s16, s17
	s_delay_alu instid0(VALU_DEP_2) | instskip(SKIP_4) | instid1(VALU_DEP_3)
	v_lshlrev_b64 v[7:8], 3, v[5:6]
	s_add_u32 s6, s6, s14
	s_addc_u32 s7, s7, s16
	v_add_co_u32 v5, s6, s6, v1
	v_mov_b32_e32 v1, v2
	v_add_co_u32 v7, vcc_lo, s4, v7
	v_add_co_ci_u32_e64 v6, null, s7, 0, s6
	v_add_co_ci_u32_e32 v8, vcc_lo, s5, v8, vcc_lo
	s_set_inst_prefetch_distance 0x1
	s_branch .LBB430_13
	.p2align	6
.LBB430_12:                             ;   in Loop: Header=BB430_13 Depth=1
	s_or_b32 exec_lo, exec_lo, s4
	s_add_u32 s2, s2, 1
	s_addc_u32 s3, s3, 0
	v_add_co_u32 v7, vcc_lo, v7, 8
	v_cmp_lt_i64_e64 s4, s[2:3], s[0:1]
	v_add_co_ci_u32_e32 v8, vcc_lo, 0, v8, vcc_lo
	s_delay_alu instid0(VALU_DEP_2)
	s_and_b32 vcc_lo, exec_lo, s4
	s_cbranch_vccz .LBB430_18
.LBB430_13:                             ; =>This Inner Loop Header: Depth=1
	v_add_co_u32 v15, s4, v14, s2
	s_delay_alu instid0(VALU_DEP_1) | instskip(SKIP_1) | instid1(VALU_DEP_1)
	v_add_co_ci_u32_e64 v16, null, 0, s3, s4
	s_mov_b32 s4, exec_lo
	v_cmpx_gt_i64_e64 s[0:1], v[15:16]
	s_cbranch_execz .LBB430_12
; %bb.14:                               ;   in Loop: Header=BB430_13 Depth=1
	global_load_b64 v[15:16], v[7:8], off
	s_waitcnt vmcnt(0)
	v_sub_co_u32 v17, vcc_lo, v15, s12
	v_subrev_co_ci_u32_e32 v19, vcc_lo, 0, v16, vcc_lo
	s_delay_alu instid0(VALU_DEP_2) | instskip(NEXT) | instid1(VALU_DEP_1)
	v_mad_u64_u32 v[15:16], null, 0xf8, v17, v[3:4]
	v_mad_u64_u32 v[17:18], null, 0xf8, v19, v[16:17]
	s_delay_alu instid0(VALU_DEP_1)
	v_mov_b32_e32 v16, v17
	global_load_b32 v17, v[5:6], off
	global_load_b64 v[15:16], v[15:16], off
	v_add_co_u32 v5, vcc_lo, 0xf04, v5
	v_add_co_ci_u32_e32 v6, vcc_lo, 0, v6, vcc_lo
	s_waitcnt vmcnt(0)
	v_fmac_f32_e32 v1, v17, v15
	s_delay_alu instid0(VALU_DEP_1) | instskip(NEXT) | instid1(VALU_DEP_1)
	v_dual_fmac_f32 v2, 0, v15 :: v_dual_fmac_f32 v1, 0x80000000, v16
	v_fmac_f32_e32 v2, v17, v16
	s_branch .LBB430_12
.LBB430_15:
	v_dual_mov_b32 v1, s4 :: v_dual_mov_b32 v2, s5
	flat_load_b32 v11, v[1:2]
	v_cndmask_b32_e64 v1, 0, 1, s6
	v_mov_b32_e32 v12, s5
	s_and_not1_b32 vcc_lo, exec_lo, s6
	s_cbranch_vccnz .LBB430_2
.LBB430_16:
	v_dual_mov_b32 v2, s4 :: v_dual_mov_b32 v3, s5
	flat_load_b32 v12, v[2:3] offset:4
	v_cmp_ne_u32_e32 vcc_lo, 1, v1
	v_mov_b32_e32 v9, s2
	s_cbranch_vccnz .LBB430_3
.LBB430_17:
	v_dual_mov_b32 v2, s2 :: v_dual_mov_b32 v3, s3
	flat_load_b32 v9, v[2:3]
	v_cmp_ne_u32_e32 vcc_lo, 1, v1
	v_mov_b32_e32 v10, s3
	s_cbranch_vccz .LBB430_4
	s_branch .LBB430_5
.LBB430_18:
	s_set_inst_prefetch_distance 0x2
	v_lshlrev_b32_e32 v3, 3, v0
	s_and_b32 vcc_lo, exec_lo, s13
	ds_store_b64 v3, v[1:2]
	s_waitcnt lgkmcnt(0)
	s_barrier
	buffer_gl0_inv
	s_cbranch_vccz .LBB430_30
; %bb.19:
	s_mov_b32 s0, exec_lo
	v_cmpx_gt_u16_e32 15, v13
	s_cbranch_execz .LBB430_21
; %bb.20:
	ds_load_2addr_b64 v[4:7], v3 offset1:16
	s_waitcnt lgkmcnt(0)
	v_dual_add_f32 v4, v6, v4 :: v_dual_add_f32 v5, v7, v5
	ds_store_b64 v3, v[4:5]
.LBB430_21:
	s_or_b32 exec_lo, exec_lo, s0
	s_delay_alu instid0(SALU_CYCLE_1)
	s_mov_b32 s0, exec_lo
	s_waitcnt lgkmcnt(0)
	s_barrier
	buffer_gl0_inv
	v_cmpx_gt_u16_e32 8, v13
	s_cbranch_execz .LBB430_23
; %bb.22:
	ds_load_2addr_b64 v[4:7], v3 offset1:8
	s_waitcnt lgkmcnt(0)
	v_dual_add_f32 v4, v6, v4 :: v_dual_add_f32 v5, v7, v5
	ds_store_b64 v3, v[4:5]
.LBB430_23:
	s_or_b32 exec_lo, exec_lo, s0
	s_delay_alu instid0(SALU_CYCLE_1)
	s_mov_b32 s0, exec_lo
	s_waitcnt lgkmcnt(0)
	s_barrier
	buffer_gl0_inv
	;; [unrolled: 14-line block ×3, first 2 shown]
	v_cmpx_gt_u16_e32 2, v13
	s_cbranch_execz .LBB430_27
; %bb.26:
	ds_load_2addr_b64 v[4:7], v3 offset1:2
	s_waitcnt lgkmcnt(0)
	v_dual_add_f32 v4, v6, v4 :: v_dual_add_f32 v5, v7, v5
	ds_store_b64 v3, v[4:5]
.LBB430_27:
	s_or_b32 exec_lo, exec_lo, s0
	s_mov_b32 s1, 0
	s_mov_b32 s0, 0
	s_mov_b32 s2, exec_lo
	s_waitcnt lgkmcnt(0)
	s_barrier
	buffer_gl0_inv
                                        ; implicit-def: $vgpr5
                                        ; implicit-def: $vgpr4
	v_cmpx_gt_u32_e32 31, v0
	s_xor_b32 s2, exec_lo, s2
; %bb.28:
	v_mul_u32_u24_e32 v5, 31, v0
	v_mad_u32_u24 v4, v0, 31, 1
	s_mov_b32 s0, exec_lo
	s_delay_alu instid0(VALU_DEP_2)
	v_lshlrev_b32_e32 v5, 3, v5
; %bb.29:
	s_or_b32 exec_lo, exec_lo, s2
	s_delay_alu instid0(SALU_CYCLE_1)
	s_and_b32 vcc_lo, exec_lo, s1
	s_cbranch_vccnz .LBB430_31
	s_branch .LBB430_42
.LBB430_30:
	s_mov_b32 s0, 0
                                        ; implicit-def: $vgpr5
                                        ; implicit-def: $vgpr4
	s_cbranch_execz .LBB430_42
.LBB430_31:
	s_mov_b32 s1, exec_lo
	v_cmpx_gt_u32_e32 0x1d1, v0
	s_cbranch_execz .LBB430_33
; %bb.32:
	ds_load_b64 v[4:5], v3 offset:3968
	ds_load_b64 v[6:7], v3
	s_waitcnt lgkmcnt(0)
	v_dual_add_f32 v4, v4, v6 :: v_dual_add_f32 v5, v5, v7
	ds_store_b64 v3, v[4:5]
.LBB430_33:
	s_or_b32 exec_lo, exec_lo, s1
	s_delay_alu instid0(SALU_CYCLE_1)
	s_mov_b32 s1, exec_lo
	s_waitcnt lgkmcnt(0)
	s_barrier
	buffer_gl0_inv
	v_cmpx_gt_u32_e32 0xf8, v0
	s_cbranch_execz .LBB430_35
; %bb.34:
	ds_load_2addr_b64 v[4:7], v3 offset1:248
	s_waitcnt lgkmcnt(0)
	v_dual_add_f32 v4, v6, v4 :: v_dual_add_f32 v5, v7, v5
	ds_store_b64 v3, v[4:5]
.LBB430_35:
	s_or_b32 exec_lo, exec_lo, s1
	s_delay_alu instid0(SALU_CYCLE_1)
	s_mov_b32 s1, exec_lo
	s_waitcnt lgkmcnt(0)
	s_barrier
	buffer_gl0_inv
	v_cmpx_gt_u32_e32 0x7c, v0
	s_cbranch_execz .LBB430_37
; %bb.36:
	ds_load_2addr_b64 v[4:7], v3 offset1:124
	s_waitcnt lgkmcnt(0)
	v_dual_add_f32 v4, v6, v4 :: v_dual_add_f32 v5, v7, v5
	ds_store_b64 v3, v[4:5]
.LBB430_37:
	;; [unrolled: 14-line block ×3, first 2 shown]
	s_or_b32 exec_lo, exec_lo, s1
	s_delay_alu instid0(SALU_CYCLE_1)
	s_mov_b32 s1, exec_lo
	s_waitcnt lgkmcnt(0)
	buffer_gl0_inv
                                        ; implicit-def: $vgpr4
	v_cmpx_gt_u32_e32 31, v0
; %bb.40:
	v_add_nc_u32_e32 v4, 31, v0
                                        ; kill: def $vgpr1 killed $sgpr0 killed $exec
	s_or_b32 s0, s0, exec_lo
                                        ; implicit-def: $vgpr2
; %bb.41:
	s_or_b32 exec_lo, exec_lo, s1
	v_mov_b32_e32 v5, v3
.LBB430_42:
	s_and_saveexec_b32 s1, s0
	s_cbranch_execnz .LBB430_45
; %bb.43:
	s_or_b32 exec_lo, exec_lo, s1
	v_cmp_gt_u32_e32 vcc_lo, 31, v0
	s_and_b32 exec_lo, exec_lo, vcc_lo
	s_cbranch_execnz .LBB430_46
.LBB430_44:
	s_nop 0
	s_sendmsg sendmsg(MSG_DEALLOC_VGPRS)
	s_endpgm
.LBB430_45:
	v_lshlrev_b32_e32 v3, 3, v4
	ds_load_2addr_b32 v[1:2], v5 offset1:1
	ds_load_b64 v[3:4], v3
	s_waitcnt lgkmcnt(0)
	v_dual_add_f32 v2, v4, v2 :: v_dual_add_f32 v1, v3, v1
	s_or_b32 exec_lo, exec_lo, s1
	v_cmp_gt_u32_e32 vcc_lo, 31, v0
	s_and_b32 exec_lo, exec_lo, vcc_lo
	s_cbranch_execz .LBB430_44
.LBB430_46:
	v_mul_f32_e64 v3, v2, -v12
	v_mul_f32_e32 v4, v2, v11
	v_cmp_eq_f32_e32 vcc_lo, 0, v9
	v_cmp_eq_f32_e64 s0, 0, v10
	s_mul_hi_u32 s1, s8, 0xf8
	v_fmac_f32_e32 v3, v11, v1
	v_fmac_f32_e32 v4, v12, v1
	s_mul_i32 s2, s8, 0xf8
	s_and_b32 s3, vcc_lo, s0
	s_mul_i32 s0, s9, 0xf8
	s_and_saveexec_b32 s4, s3
	s_delay_alu instid0(SALU_CYCLE_1)
	s_xor_b32 s3, exec_lo, s4
	s_cbranch_execz .LBB430_48
; %bb.47:
	v_lshlrev_b32_e32 v0, 3, v0
	s_add_i32 s5, s1, s0
	s_add_u32 s4, s10, s2
	s_addc_u32 s5, s11, s5
                                        ; implicit-def: $vgpr9
                                        ; implicit-def: $vgpr10
	global_store_b64 v0, v[3:4], s[4:5]
                                        ; implicit-def: $vgpr0
                                        ; implicit-def: $vgpr3
.LBB430_48:
	s_and_not1_saveexec_b32 s3, s3
	s_cbranch_execz .LBB430_44
; %bb.49:
	v_lshlrev_b32_e32 v2, 3, v0
	s_add_i32 s1, s1, s0
	s_add_u32 s0, s10, s2
	s_addc_u32 s1, s11, s1
	global_load_b64 v[0:1], v2, s[0:1]
	s_waitcnt vmcnt(0)
	v_fmac_f32_e32 v3, v9, v0
	v_fmac_f32_e32 v4, v10, v0
	s_delay_alu instid0(VALU_DEP_2) | instskip(NEXT) | instid1(VALU_DEP_2)
	v_fma_f32 v3, -v10, v1, v3
	v_fmac_f32_e32 v4, v9, v1
	global_store_b64 v2, v[3:4], s[0:1]
	s_nop 0
	s_sendmsg sendmsg(MSG_DEALLOC_VGPRS)
	s_endpgm
	.section	.rodata,"a",@progbits
	.p2align	6, 0x0
	.amdhsa_kernel _ZN9rocsparseL20bsrxmvn_17_32_kernelILj31E21rocsparse_complex_numIfEllfS2_S2_EEvT2_20rocsparse_direction_NS_24const_host_device_scalarIT0_EES3_PKS3_PKT1_SC_S9_PKT3_PKT4_S7_PT5_21rocsparse_index_base_b
		.amdhsa_group_segment_fixed_size 7688
		.amdhsa_private_segment_fixed_size 0
		.amdhsa_kernarg_size 104
		.amdhsa_user_sgpr_count 15
		.amdhsa_user_sgpr_dispatch_ptr 0
		.amdhsa_user_sgpr_queue_ptr 0
		.amdhsa_user_sgpr_kernarg_segment_ptr 1
		.amdhsa_user_sgpr_dispatch_id 0
		.amdhsa_user_sgpr_private_segment_size 0
		.amdhsa_wavefront_size32 1
		.amdhsa_uses_dynamic_stack 0
		.amdhsa_enable_private_segment 0
		.amdhsa_system_sgpr_workgroup_id_x 1
		.amdhsa_system_sgpr_workgroup_id_y 0
		.amdhsa_system_sgpr_workgroup_id_z 0
		.amdhsa_system_sgpr_workgroup_info 0
		.amdhsa_system_vgpr_workitem_id 0
		.amdhsa_next_free_vgpr 20
		.amdhsa_next_free_sgpr 20
		.amdhsa_reserve_vcc 1
		.amdhsa_float_round_mode_32 0
		.amdhsa_float_round_mode_16_64 0
		.amdhsa_float_denorm_mode_32 3
		.amdhsa_float_denorm_mode_16_64 3
		.amdhsa_dx10_clamp 1
		.amdhsa_ieee_mode 1
		.amdhsa_fp16_overflow 0
		.amdhsa_workgroup_processor_mode 1
		.amdhsa_memory_ordered 1
		.amdhsa_forward_progress 0
		.amdhsa_shared_vgpr_count 0
		.amdhsa_exception_fp_ieee_invalid_op 0
		.amdhsa_exception_fp_denorm_src 0
		.amdhsa_exception_fp_ieee_div_zero 0
		.amdhsa_exception_fp_ieee_overflow 0
		.amdhsa_exception_fp_ieee_underflow 0
		.amdhsa_exception_fp_ieee_inexact 0
		.amdhsa_exception_int_div_zero 0
	.end_amdhsa_kernel
	.section	.text._ZN9rocsparseL20bsrxmvn_17_32_kernelILj31E21rocsparse_complex_numIfEllfS2_S2_EEvT2_20rocsparse_direction_NS_24const_host_device_scalarIT0_EES3_PKS3_PKT1_SC_S9_PKT3_PKT4_S7_PT5_21rocsparse_index_base_b,"axG",@progbits,_ZN9rocsparseL20bsrxmvn_17_32_kernelILj31E21rocsparse_complex_numIfEllfS2_S2_EEvT2_20rocsparse_direction_NS_24const_host_device_scalarIT0_EES3_PKS3_PKT1_SC_S9_PKT3_PKT4_S7_PT5_21rocsparse_index_base_b,comdat
.Lfunc_end430:
	.size	_ZN9rocsparseL20bsrxmvn_17_32_kernelILj31E21rocsparse_complex_numIfEllfS2_S2_EEvT2_20rocsparse_direction_NS_24const_host_device_scalarIT0_EES3_PKS3_PKT1_SC_S9_PKT3_PKT4_S7_PT5_21rocsparse_index_base_b, .Lfunc_end430-_ZN9rocsparseL20bsrxmvn_17_32_kernelILj31E21rocsparse_complex_numIfEllfS2_S2_EEvT2_20rocsparse_direction_NS_24const_host_device_scalarIT0_EES3_PKS3_PKT1_SC_S9_PKT3_PKT4_S7_PT5_21rocsparse_index_base_b
                                        ; -- End function
	.section	.AMDGPU.csdata,"",@progbits
; Kernel info:
; codeLenInByte = 1904
; NumSgprs: 22
; NumVgprs: 20
; ScratchSize: 0
; MemoryBound: 0
; FloatMode: 240
; IeeeMode: 1
; LDSByteSize: 7688 bytes/workgroup (compile time only)
; SGPRBlocks: 2
; VGPRBlocks: 2
; NumSGPRsForWavesPerEU: 22
; NumVGPRsForWavesPerEU: 20
; Occupancy: 16
; WaveLimiterHint : 1
; COMPUTE_PGM_RSRC2:SCRATCH_EN: 0
; COMPUTE_PGM_RSRC2:USER_SGPR: 15
; COMPUTE_PGM_RSRC2:TRAP_HANDLER: 0
; COMPUTE_PGM_RSRC2:TGID_X_EN: 1
; COMPUTE_PGM_RSRC2:TGID_Y_EN: 0
; COMPUTE_PGM_RSRC2:TGID_Z_EN: 0
; COMPUTE_PGM_RSRC2:TIDIG_COMP_CNT: 0
	.section	.text._ZN9rocsparseL20bsrxmvn_17_32_kernelILj32E21rocsparse_complex_numIfEllfS2_S2_EEvT2_20rocsparse_direction_NS_24const_host_device_scalarIT0_EES3_PKS3_PKT1_SC_S9_PKT3_PKT4_S7_PT5_21rocsparse_index_base_b,"axG",@progbits,_ZN9rocsparseL20bsrxmvn_17_32_kernelILj32E21rocsparse_complex_numIfEllfS2_S2_EEvT2_20rocsparse_direction_NS_24const_host_device_scalarIT0_EES3_PKS3_PKT1_SC_S9_PKT3_PKT4_S7_PT5_21rocsparse_index_base_b,comdat
	.globl	_ZN9rocsparseL20bsrxmvn_17_32_kernelILj32E21rocsparse_complex_numIfEllfS2_S2_EEvT2_20rocsparse_direction_NS_24const_host_device_scalarIT0_EES3_PKS3_PKT1_SC_S9_PKT3_PKT4_S7_PT5_21rocsparse_index_base_b ; -- Begin function _ZN9rocsparseL20bsrxmvn_17_32_kernelILj32E21rocsparse_complex_numIfEllfS2_S2_EEvT2_20rocsparse_direction_NS_24const_host_device_scalarIT0_EES3_PKS3_PKT1_SC_S9_PKT3_PKT4_S7_PT5_21rocsparse_index_base_b
	.p2align	8
	.type	_ZN9rocsparseL20bsrxmvn_17_32_kernelILj32E21rocsparse_complex_numIfEllfS2_S2_EEvT2_20rocsparse_direction_NS_24const_host_device_scalarIT0_EES3_PKS3_PKT1_SC_S9_PKT3_PKT4_S7_PT5_21rocsparse_index_base_b,@function
_ZN9rocsparseL20bsrxmvn_17_32_kernelILj32E21rocsparse_complex_numIfEllfS2_S2_EEvT2_20rocsparse_direction_NS_24const_host_device_scalarIT0_EES3_PKS3_PKT1_SC_S9_PKT3_PKT4_S7_PT5_21rocsparse_index_base_b: ; @_ZN9rocsparseL20bsrxmvn_17_32_kernelILj32E21rocsparse_complex_numIfEllfS2_S2_EEvT2_20rocsparse_direction_NS_24const_host_device_scalarIT0_EES3_PKS3_PKT1_SC_S9_PKT3_PKT4_S7_PT5_21rocsparse_index_base_b
; %bb.0:
	s_clause 0x2
	s_load_b64 s[12:13], s[0:1], 0x60
	s_load_b64 s[4:5], s[0:1], 0x10
	;; [unrolled: 1-line block ×3, first 2 shown]
	s_mov_b32 s8, s15
	s_waitcnt lgkmcnt(0)
	s_bitcmp1_b32 s13, 0
	v_mov_b32_e32 v7, s4
	s_cselect_b32 s6, -1, 0
	s_delay_alu instid0(SALU_CYCLE_1)
	s_and_b32 vcc_lo, exec_lo, s6
	s_xor_b32 s6, s6, -1
	s_cbranch_vccz .LBB431_25
; %bb.1:
	v_cndmask_b32_e64 v1, 0, 1, s6
	v_mov_b32_e32 v8, s5
	s_and_not1_b32 vcc_lo, exec_lo, s6
	s_cbranch_vccz .LBB431_26
.LBB431_2:
	s_delay_alu instid0(VALU_DEP_2)
	v_cmp_ne_u32_e32 vcc_lo, 1, v1
	v_mov_b32_e32 v5, s2
	s_cbranch_vccz .LBB431_27
.LBB431_3:
	v_cmp_ne_u32_e32 vcc_lo, 1, v1
	v_mov_b32_e32 v6, s3
	s_cbranch_vccnz .LBB431_5
.LBB431_4:
	v_dual_mov_b32 v1, s2 :: v_dual_mov_b32 v2, s3
	flat_load_b32 v6, v[1:2] offset:4
.LBB431_5:
	s_waitcnt vmcnt(0) lgkmcnt(0)
	v_cmp_eq_f32_e32 vcc_lo, 0, v7
	v_cmp_eq_f32_e64 s2, 0, v8
	s_delay_alu instid0(VALU_DEP_1)
	s_and_b32 s4, vcc_lo, s2
	s_mov_b32 s2, -1
	s_and_saveexec_b32 s3, s4
; %bb.6:
	v_cmp_neq_f32_e32 vcc_lo, 1.0, v5
	v_cmp_neq_f32_e64 s2, 0, v6
	s_delay_alu instid0(VALU_DEP_1) | instskip(NEXT) | instid1(SALU_CYCLE_1)
	s_or_b32 s2, vcc_lo, s2
	s_or_not1_b32 s2, s2, exec_lo
; %bb.7:
	s_or_b32 exec_lo, exec_lo, s3
	s_and_saveexec_b32 s3, s2
	s_cbranch_execz .LBB431_42
; %bb.8:
	s_clause 0x1
	s_load_b128 s[4:7], s[0:1], 0x20
	s_load_b64 s[10:11], s[0:1], 0x30
	s_mov_b32 s9, 0
	s_delay_alu instid0(SALU_CYCLE_1)
	s_mov_b32 s13, s9
	s_waitcnt lgkmcnt(0)
	s_cmp_eq_u64 s[4:5], 0
	s_cbranch_scc1 .LBB431_10
; %bb.9:
	s_lshl_b64 s[2:3], s[8:9], 3
	s_delay_alu instid0(SALU_CYCLE_1)
	s_add_u32 s2, s4, s2
	s_addc_u32 s3, s5, s3
	s_load_b64 s[2:3], s[2:3], 0x0
	s_waitcnt lgkmcnt(0)
	s_sub_u32 s8, s2, s12
	s_subb_u32 s9, s3, 0
.LBB431_10:
	s_load_b32 s3, s[0:1], 0x8
	v_dual_mov_b32 v2, 0 :: v_dual_and_b32 v9, 31, v0
	v_mov_b32_e32 v1, 0
	s_waitcnt lgkmcnt(0)
	s_cmp_eq_u32 s3, 1
	s_cselect_b32 s2, -1, 0
	s_cmp_lg_u32 s3, 1
	s_cselect_b32 s18, -1, 0
	s_lshl_b64 s[4:5], s[8:9], 3
	s_delay_alu instid0(SALU_CYCLE_1)
	s_add_u32 s6, s6, s4
	s_addc_u32 s7, s7, s5
	s_add_u32 s3, s6, 8
	s_addc_u32 s14, s7, 0
	;; [unrolled: 2-line block ×3, first 2 shown]
	s_cmp_eq_u64 s[10:11], 0
	s_cselect_b32 s5, s14, s5
	s_cselect_b32 s4, s3, s4
	s_load_b64 s[14:15], s[6:7], 0x0
	s_load_b64 s[16:17], s[4:5], 0x0
	;; [unrolled: 1-line block ×3, first 2 shown]
	s_waitcnt lgkmcnt(0)
	v_cmp_ge_i64_e64 s3, s[14:15], s[16:17]
	s_delay_alu instid0(VALU_DEP_1)
	s_and_b32 vcc_lo, exec_lo, s3
	s_cbranch_vccnz .LBB431_13
; %bb.11:
	s_clause 0x1
	s_load_b64 s[20:21], s[0:1], 0x48
	s_load_b128 s[4:7], s[0:1], 0x38
	v_lshrrev_b32_e32 v1, 5, v0
	s_sub_u32 s0, s16, s12
	s_subb_u32 s1, s17, 0
	s_delay_alu instid0(VALU_DEP_1)
	v_cndmask_b32_e64 v1, v9, v1, s2
	s_sub_u32 s2, s14, s12
	s_subb_u32 s3, s15, 0
	v_mov_b32_e32 v2, 0
	s_lshl_b64 s[16:17], s[2:3], 12
	v_lshlrev_b32_e32 v1, 3, v1
	v_lshl_or_b32 v3, v0, 2, s16
	v_mov_b32_e32 v4, s17
	s_lshl_b64 s[14:15], s[14:15], 3
	s_lshl_b64 s[22:23], s[12:13], 3
	s_waitcnt lgkmcnt(0)
	v_add_co_u32 v10, s13, s20, v1
	v_mov_b32_e32 v1, v2
	v_add_co_u32 v3, vcc_lo, s6, v3
	v_add_co_ci_u32_e64 v11, null, s21, 0, s13
	v_add_co_ci_u32_e32 v4, vcc_lo, s7, v4, vcc_lo
	s_sub_u32 s6, s14, s22
	s_subb_u32 s7, s15, s23
	s_add_u32 s4, s4, s6
	s_addc_u32 s5, s5, s7
	.p2align	6
.LBB431_12:                             ; =>This Inner Loop Header: Depth=1
	s_load_b64 s[6:7], s[4:5], 0x0
	s_waitcnt lgkmcnt(0)
	s_sub_u32 s6, s6, s12
	s_subb_u32 s7, s7, 0
	s_delay_alu instid0(SALU_CYCLE_1)
	s_lshl_b64 s[6:7], s[6:7], 8
	s_add_u32 s2, s2, 1
	v_add_co_u32 v12, vcc_lo, v10, s6
	v_add_co_ci_u32_e32 v13, vcc_lo, s7, v11, vcc_lo
	s_addc_u32 s3, s3, 0
	s_add_u32 s4, s4, 8
	global_load_b32 v14, v[3:4], off
	global_load_b64 v[12:13], v[12:13], off
	v_cmp_lt_i64_e64 s6, s[2:3], s[0:1]
	v_add_co_u32 v3, vcc_lo, 0x1000, v3
	v_add_co_ci_u32_e32 v4, vcc_lo, 0, v4, vcc_lo
	s_addc_u32 s5, s5, 0
	s_delay_alu instid0(VALU_DEP_3) | instskip(SKIP_2) | instid1(VALU_DEP_1)
	s_and_b32 vcc_lo, exec_lo, s6
	s_waitcnt vmcnt(0)
	v_fmac_f32_e32 v1, v14, v12
	v_dual_fmac_f32 v2, 0, v12 :: v_dual_fmac_f32 v1, 0x80000000, v13
	s_delay_alu instid0(VALU_DEP_1)
	v_fmac_f32_e32 v2, v14, v13
	s_cbranch_vccnz .LBB431_12
.LBB431_13:
	v_lshlrev_b32_e32 v3, 3, v0
	s_and_b32 vcc_lo, exec_lo, s18
	ds_store_b64 v3, v[1:2]
	s_waitcnt lgkmcnt(0)
	s_barrier
	buffer_gl0_inv
	s_cbranch_vccz .LBB431_28
; %bb.14:
	s_mov_b32 s0, exec_lo
	v_cmpx_gt_u32_e32 16, v9
	s_cbranch_execz .LBB431_16
; %bb.15:
	ds_load_2addr_b64 v[10:13], v3 offset1:16
	s_waitcnt lgkmcnt(0)
	v_dual_add_f32 v10, v12, v10 :: v_dual_add_f32 v11, v13, v11
	ds_store_b64 v3, v[10:11]
.LBB431_16:
	s_or_b32 exec_lo, exec_lo, s0
	s_delay_alu instid0(SALU_CYCLE_1)
	s_mov_b32 s0, exec_lo
	s_waitcnt lgkmcnt(0)
	s_barrier
	buffer_gl0_inv
	v_cmpx_gt_u32_e32 8, v9
	s_cbranch_execz .LBB431_18
; %bb.17:
	ds_load_2addr_b64 v[10:13], v3 offset1:8
	s_waitcnt lgkmcnt(0)
	v_dual_add_f32 v10, v12, v10 :: v_dual_add_f32 v11, v13, v11
	ds_store_b64 v3, v[10:11]
.LBB431_18:
	s_or_b32 exec_lo, exec_lo, s0
	s_delay_alu instid0(SALU_CYCLE_1)
	s_mov_b32 s0, exec_lo
	s_waitcnt lgkmcnt(0)
	s_barrier
	buffer_gl0_inv
	;; [unrolled: 14-line block ×3, first 2 shown]
	v_cmpx_gt_u32_e32 2, v9
	s_cbranch_execz .LBB431_22
; %bb.21:
	ds_load_2addr_b64 v[9:12], v3 offset1:2
	s_waitcnt lgkmcnt(0)
	v_dual_add_f32 v9, v11, v9 :: v_dual_add_f32 v10, v12, v10
	ds_store_b64 v3, v[9:10]
.LBB431_22:
	s_or_b32 exec_lo, exec_lo, s0
	s_mov_b32 s1, 0
	s_mov_b32 s0, 0
	s_mov_b32 s2, exec_lo
	s_waitcnt lgkmcnt(0)
	s_barrier
	buffer_gl0_inv
                                        ; implicit-def: $vgpr9
                                        ; implicit-def: $vgpr4
	v_cmpx_gt_u32_e32 32, v0
	s_xor_b32 s2, exec_lo, s2
; %bb.23:
	v_mad_u32_u24 v9, 0xf8, v0, v3
	v_lshl_or_b32 v4, v0, 5, 1
	s_mov_b32 s0, exec_lo
; %bb.24:
	s_or_b32 exec_lo, exec_lo, s2
	s_delay_alu instid0(SALU_CYCLE_1)
	s_and_b32 vcc_lo, exec_lo, s1
	s_cbranch_vccnz .LBB431_29
	s_branch .LBB431_40
.LBB431_25:
	v_dual_mov_b32 v1, s4 :: v_dual_mov_b32 v2, s5
	flat_load_b32 v7, v[1:2]
	v_cndmask_b32_e64 v1, 0, 1, s6
	v_mov_b32_e32 v8, s5
	s_and_not1_b32 vcc_lo, exec_lo, s6
	s_cbranch_vccnz .LBB431_2
.LBB431_26:
	v_dual_mov_b32 v2, s4 :: v_dual_mov_b32 v3, s5
	flat_load_b32 v8, v[2:3] offset:4
	v_cmp_ne_u32_e32 vcc_lo, 1, v1
	v_mov_b32_e32 v5, s2
	s_cbranch_vccnz .LBB431_3
.LBB431_27:
	v_dual_mov_b32 v2, s2 :: v_dual_mov_b32 v3, s3
	flat_load_b32 v5, v[2:3]
	v_cmp_ne_u32_e32 vcc_lo, 1, v1
	v_mov_b32_e32 v6, s3
	s_cbranch_vccz .LBB431_4
	s_branch .LBB431_5
.LBB431_28:
	s_mov_b32 s0, 0
                                        ; implicit-def: $vgpr9
                                        ; implicit-def: $vgpr4
	s_cbranch_execz .LBB431_40
.LBB431_29:
	s_mov_b32 s1, exec_lo
	v_cmpx_gt_u32_e32 0x200, v0
	s_cbranch_execz .LBB431_31
; %bb.30:
	ds_load_2addr_stride64_b64 v[9:12], v3 offset1:8
	s_waitcnt lgkmcnt(0)
	v_dual_add_f32 v9, v11, v9 :: v_dual_add_f32 v10, v12, v10
	ds_store_b64 v3, v[9:10]
.LBB431_31:
	s_or_b32 exec_lo, exec_lo, s1
	s_delay_alu instid0(SALU_CYCLE_1)
	s_mov_b32 s1, exec_lo
	s_waitcnt lgkmcnt(0)
	s_barrier
	buffer_gl0_inv
	v_cmpx_gt_u32_e32 0x100, v0
	s_cbranch_execz .LBB431_33
; %bb.32:
	ds_load_2addr_stride64_b64 v[9:12], v3 offset1:4
	s_waitcnt lgkmcnt(0)
	v_dual_add_f32 v9, v11, v9 :: v_dual_add_f32 v10, v12, v10
	ds_store_b64 v3, v[9:10]
.LBB431_33:
	s_or_b32 exec_lo, exec_lo, s1
	s_delay_alu instid0(SALU_CYCLE_1)
	s_mov_b32 s1, exec_lo
	s_waitcnt lgkmcnt(0)
	s_barrier
	buffer_gl0_inv
	;; [unrolled: 14-line block ×3, first 2 shown]
	v_cmpx_gt_u32_e32 64, v0
	s_cbranch_execz .LBB431_37
; %bb.36:
	ds_load_2addr_stride64_b64 v[9:12], v3 offset1:1
	s_waitcnt lgkmcnt(0)
	v_dual_add_f32 v9, v11, v9 :: v_dual_add_f32 v10, v12, v10
	ds_store_b64 v3, v[9:10]
.LBB431_37:
	s_or_b32 exec_lo, exec_lo, s1
	s_delay_alu instid0(SALU_CYCLE_1)
	s_mov_b32 s1, exec_lo
	s_waitcnt lgkmcnt(0)
	buffer_gl0_inv
                                        ; implicit-def: $vgpr4
	v_cmpx_gt_u32_e32 32, v0
; %bb.38:
	v_or_b32_e32 v4, 32, v0
	s_or_b32 s0, s0, exec_lo
                                        ; implicit-def: $vgpr2
; %bb.39:
	s_or_b32 exec_lo, exec_lo, s1
	v_mov_b32_e32 v9, v3
.LBB431_40:
	s_and_saveexec_b32 s1, s0
	s_cbranch_execnz .LBB431_43
; %bb.41:
	s_or_b32 exec_lo, exec_lo, s1
	v_cmp_gt_u32_e32 vcc_lo, 32, v0
	s_and_b32 exec_lo, exec_lo, vcc_lo
	s_cbranch_execnz .LBB431_44
.LBB431_42:
	s_nop 0
	s_sendmsg sendmsg(MSG_DEALLOC_VGPRS)
	s_endpgm
.LBB431_43:
	v_lshlrev_b32_e32 v3, 3, v4
	ds_load_2addr_b32 v[1:2], v9 offset1:1
	ds_load_b64 v[3:4], v3
	s_waitcnt lgkmcnt(0)
	v_dual_add_f32 v2, v4, v2 :: v_dual_add_f32 v1, v3, v1
	s_or_b32 exec_lo, exec_lo, s1
	v_cmp_gt_u32_e32 vcc_lo, 32, v0
	s_and_b32 exec_lo, exec_lo, vcc_lo
	s_cbranch_execz .LBB431_42
.LBB431_44:
	v_mul_f32_e64 v3, v2, -v8
	v_mul_f32_e32 v4, v2, v7
	v_cmp_eq_f32_e32 vcc_lo, 0, v5
	v_cmp_eq_f32_e64 s0, 0, v6
	s_delay_alu instid0(VALU_DEP_4) | instskip(NEXT) | instid1(VALU_DEP_4)
	v_fmac_f32_e32 v3, v7, v1
	v_fmac_f32_e32 v4, v8, v1
	s_delay_alu instid0(VALU_DEP_3) | instskip(NEXT) | instid1(SALU_CYCLE_1)
	s_and_b32 s0, vcc_lo, s0
	s_and_saveexec_b32 s1, s0
	s_delay_alu instid0(SALU_CYCLE_1)
	s_xor_b32 s0, exec_lo, s1
	s_cbranch_execz .LBB431_46
; %bb.45:
	s_lshl_b64 s[2:3], s[8:9], 8
	v_lshlrev_b32_e32 v0, 3, v0
	s_add_u32 s2, s10, s2
	s_addc_u32 s3, s11, s3
                                        ; implicit-def: $vgpr5
                                        ; implicit-def: $vgpr6
	global_store_b64 v0, v[3:4], s[2:3]
                                        ; implicit-def: $vgpr0
                                        ; implicit-def: $vgpr3
.LBB431_46:
	s_and_not1_saveexec_b32 s0, s0
	s_cbranch_execz .LBB431_42
; %bb.47:
	s_lshl_b64 s[0:1], s[8:9], 8
	v_lshlrev_b32_e32 v2, 3, v0
	s_add_u32 s0, s10, s0
	s_addc_u32 s1, s11, s1
	global_load_b64 v[0:1], v2, s[0:1]
	s_waitcnt vmcnt(0)
	v_fmac_f32_e32 v3, v5, v0
	v_fmac_f32_e32 v4, v6, v0
	s_delay_alu instid0(VALU_DEP_2) | instskip(NEXT) | instid1(VALU_DEP_2)
	v_fma_f32 v3, -v6, v1, v3
	v_fmac_f32_e32 v4, v5, v1
	global_store_b64 v2, v[3:4], s[0:1]
	s_nop 0
	s_sendmsg sendmsg(MSG_DEALLOC_VGPRS)
	s_endpgm
	.section	.rodata,"a",@progbits
	.p2align	6, 0x0
	.amdhsa_kernel _ZN9rocsparseL20bsrxmvn_17_32_kernelILj32E21rocsparse_complex_numIfEllfS2_S2_EEvT2_20rocsparse_direction_NS_24const_host_device_scalarIT0_EES3_PKS3_PKT1_SC_S9_PKT3_PKT4_S7_PT5_21rocsparse_index_base_b
		.amdhsa_group_segment_fixed_size 8192
		.amdhsa_private_segment_fixed_size 0
		.amdhsa_kernarg_size 104
		.amdhsa_user_sgpr_count 15
		.amdhsa_user_sgpr_dispatch_ptr 0
		.amdhsa_user_sgpr_queue_ptr 0
		.amdhsa_user_sgpr_kernarg_segment_ptr 1
		.amdhsa_user_sgpr_dispatch_id 0
		.amdhsa_user_sgpr_private_segment_size 0
		.amdhsa_wavefront_size32 1
		.amdhsa_uses_dynamic_stack 0
		.amdhsa_enable_private_segment 0
		.amdhsa_system_sgpr_workgroup_id_x 1
		.amdhsa_system_sgpr_workgroup_id_y 0
		.amdhsa_system_sgpr_workgroup_id_z 0
		.amdhsa_system_sgpr_workgroup_info 0
		.amdhsa_system_vgpr_workitem_id 0
		.amdhsa_next_free_vgpr 15
		.amdhsa_next_free_sgpr 24
		.amdhsa_reserve_vcc 1
		.amdhsa_float_round_mode_32 0
		.amdhsa_float_round_mode_16_64 0
		.amdhsa_float_denorm_mode_32 3
		.amdhsa_float_denorm_mode_16_64 3
		.amdhsa_dx10_clamp 1
		.amdhsa_ieee_mode 1
		.amdhsa_fp16_overflow 0
		.amdhsa_workgroup_processor_mode 1
		.amdhsa_memory_ordered 1
		.amdhsa_forward_progress 0
		.amdhsa_shared_vgpr_count 0
		.amdhsa_exception_fp_ieee_invalid_op 0
		.amdhsa_exception_fp_denorm_src 0
		.amdhsa_exception_fp_ieee_div_zero 0
		.amdhsa_exception_fp_ieee_overflow 0
		.amdhsa_exception_fp_ieee_underflow 0
		.amdhsa_exception_fp_ieee_inexact 0
		.amdhsa_exception_int_div_zero 0
	.end_amdhsa_kernel
	.section	.text._ZN9rocsparseL20bsrxmvn_17_32_kernelILj32E21rocsparse_complex_numIfEllfS2_S2_EEvT2_20rocsparse_direction_NS_24const_host_device_scalarIT0_EES3_PKS3_PKT1_SC_S9_PKT3_PKT4_S7_PT5_21rocsparse_index_base_b,"axG",@progbits,_ZN9rocsparseL20bsrxmvn_17_32_kernelILj32E21rocsparse_complex_numIfEllfS2_S2_EEvT2_20rocsparse_direction_NS_24const_host_device_scalarIT0_EES3_PKS3_PKT1_SC_S9_PKT3_PKT4_S7_PT5_21rocsparse_index_base_b,comdat
.Lfunc_end431:
	.size	_ZN9rocsparseL20bsrxmvn_17_32_kernelILj32E21rocsparse_complex_numIfEllfS2_S2_EEvT2_20rocsparse_direction_NS_24const_host_device_scalarIT0_EES3_PKS3_PKT1_SC_S9_PKT3_PKT4_S7_PT5_21rocsparse_index_base_b, .Lfunc_end431-_ZN9rocsparseL20bsrxmvn_17_32_kernelILj32E21rocsparse_complex_numIfEllfS2_S2_EEvT2_20rocsparse_direction_NS_24const_host_device_scalarIT0_EES3_PKS3_PKT1_SC_S9_PKT3_PKT4_S7_PT5_21rocsparse_index_base_b
                                        ; -- End function
	.section	.AMDGPU.csdata,"",@progbits
; Kernel info:
; codeLenInByte = 1672
; NumSgprs: 26
; NumVgprs: 15
; ScratchSize: 0
; MemoryBound: 0
; FloatMode: 240
; IeeeMode: 1
; LDSByteSize: 8192 bytes/workgroup (compile time only)
; SGPRBlocks: 3
; VGPRBlocks: 1
; NumSGPRsForWavesPerEU: 26
; NumVGPRsForWavesPerEU: 15
; Occupancy: 16
; WaveLimiterHint : 1
; COMPUTE_PGM_RSRC2:SCRATCH_EN: 0
; COMPUTE_PGM_RSRC2:USER_SGPR: 15
; COMPUTE_PGM_RSRC2:TRAP_HANDLER: 0
; COMPUTE_PGM_RSRC2:TGID_X_EN: 1
; COMPUTE_PGM_RSRC2:TGID_Y_EN: 0
; COMPUTE_PGM_RSRC2:TGID_Z_EN: 0
; COMPUTE_PGM_RSRC2:TIDIG_COMP_CNT: 0
	.section	.text._ZN9rocsparseL20bsrxmvn_17_32_kernelILj17E21rocsparse_complex_numIdEiidS2_S2_EEvT2_20rocsparse_direction_NS_24const_host_device_scalarIT0_EES3_PKS3_PKT1_SC_S9_PKT3_PKT4_S7_PT5_21rocsparse_index_base_b,"axG",@progbits,_ZN9rocsparseL20bsrxmvn_17_32_kernelILj17E21rocsparse_complex_numIdEiidS2_S2_EEvT2_20rocsparse_direction_NS_24const_host_device_scalarIT0_EES3_PKS3_PKT1_SC_S9_PKT3_PKT4_S7_PT5_21rocsparse_index_base_b,comdat
	.globl	_ZN9rocsparseL20bsrxmvn_17_32_kernelILj17E21rocsparse_complex_numIdEiidS2_S2_EEvT2_20rocsparse_direction_NS_24const_host_device_scalarIT0_EES3_PKS3_PKT1_SC_S9_PKT3_PKT4_S7_PT5_21rocsparse_index_base_b ; -- Begin function _ZN9rocsparseL20bsrxmvn_17_32_kernelILj17E21rocsparse_complex_numIdEiidS2_S2_EEvT2_20rocsparse_direction_NS_24const_host_device_scalarIT0_EES3_PKS3_PKT1_SC_S9_PKT3_PKT4_S7_PT5_21rocsparse_index_base_b
	.p2align	8
	.type	_ZN9rocsparseL20bsrxmvn_17_32_kernelILj17E21rocsparse_complex_numIdEiidS2_S2_EEvT2_20rocsparse_direction_NS_24const_host_device_scalarIT0_EES3_PKS3_PKT1_SC_S9_PKT3_PKT4_S7_PT5_21rocsparse_index_base_b,@function
_ZN9rocsparseL20bsrxmvn_17_32_kernelILj17E21rocsparse_complex_numIdEiidS2_S2_EEvT2_20rocsparse_direction_NS_24const_host_device_scalarIT0_EES3_PKS3_PKT1_SC_S9_PKT3_PKT4_S7_PT5_21rocsparse_index_base_b: ; @_ZN9rocsparseL20bsrxmvn_17_32_kernelILj17E21rocsparse_complex_numIdEiidS2_S2_EEvT2_20rocsparse_direction_NS_24const_host_device_scalarIT0_EES3_PKS3_PKT1_SC_S9_PKT3_PKT4_S7_PT5_21rocsparse_index_base_b
; %bb.0:
	s_mov_b32 s12, s15
	s_clause 0x1
	s_load_b64 s[14:15], s[2:3], 0x68
	s_load_b128 s[4:7], s[2:3], 0x8
	s_load_b64 s[16:17], s[0:1], 0x4
	s_mov_b64 s[0:1], src_shared_base
	v_and_b32_e32 v4, 0x3ff, v0
	s_load_b128 s[8:11], s[2:3], 0x50
	v_bfe_u32 v2, v0, 10, 10
	v_bfe_u32 v0, v0, 20, 10
	s_waitcnt lgkmcnt(0)
	s_bitcmp1_b32 s15, 0
	v_mov_b32_e32 v12, s7
	s_cselect_b32 s0, -1, 0
	v_mov_b32_e32 v11, s6
	s_and_b32 vcc_lo, s0, exec_lo
	s_cselect_b32 s13, s1, s5
	s_lshr_b32 s15, s16, 16
	v_mov_b32_e32 v6, s13
	s_mul_i32 s15, s15, s17
	s_xor_b32 s6, s0, -1
	v_mul_lo_u32 v1, s15, v4
	s_delay_alu instid0(VALU_DEP_1) | instskip(SKIP_1) | instid1(VALU_DEP_2)
	v_mad_u32_u24 v1, v2, s17, v1
	v_dual_mov_b32 v2, s8 :: v_dual_mov_b32 v3, s9
	v_add_lshl_u32 v7, v1, v0, 3
	v_dual_mov_b32 v0, s4 :: v_dual_mov_b32 v1, s5
	ds_store_b64 v7, v[0:1] offset:6936
	ds_store_b64 v7, v[2:3] offset:4624
	v_add_nc_u32_e32 v5, 0x1b18, v7
	v_add_nc_u32_e32 v0, 0x1210, v7
	s_delay_alu instid0(VALU_DEP_2)
	v_cndmask_b32_e64 v5, s4, v5, s0
	flat_load_b64 v[9:10], v[5:6]
	s_cbranch_vccnz .LBB432_2
; %bb.1:
	v_dual_mov_b32 v1, s4 :: v_dual_mov_b32 v2, s5
	flat_load_b64 v[11:12], v[1:2] offset:8
.LBB432_2:
	s_and_b32 s4, s0, exec_lo
	s_cselect_b32 s1, s1, s9
	v_cndmask_b32_e64 v0, s8, v0, s0
	v_mov_b32_e32 v1, s1
	v_dual_mov_b32 v7, s10 :: v_dual_mov_b32 v8, s11
	s_and_not1_b32 vcc_lo, exec_lo, s6
	flat_load_b64 v[5:6], v[0:1]
	s_cbranch_vccnz .LBB432_4
; %bb.3:
	v_dual_mov_b32 v0, s8 :: v_dual_mov_b32 v1, s9
	flat_load_b64 v[7:8], v[0:1] offset:8
.LBB432_4:
	s_waitcnt vmcnt(1) lgkmcnt(1)
	v_cmp_eq_f64_e32 vcc_lo, 0, v[9:10]
	v_cmp_eq_f64_e64 s0, 0, v[11:12]
	s_delay_alu instid0(VALU_DEP_1)
	s_and_b32 s4, vcc_lo, s0
	s_mov_b32 s0, -1
	s_and_saveexec_b32 s1, s4
	s_cbranch_execz .LBB432_6
; %bb.5:
	s_waitcnt vmcnt(0) lgkmcnt(0)
	v_cmp_neq_f64_e32 vcc_lo, 1.0, v[5:6]
	v_cmp_neq_f64_e64 s0, 0, v[7:8]
	s_delay_alu instid0(VALU_DEP_1) | instskip(NEXT) | instid1(SALU_CYCLE_1)
	s_or_b32 s0, vcc_lo, s0
	s_or_not1_b32 s0, s0, exec_lo
.LBB432_6:
	s_or_b32 exec_lo, exec_lo, s1
	s_and_saveexec_b32 s1, s0
	s_cbranch_execz .LBB432_43
; %bb.7:
	s_clause 0x1
	s_load_b128 s[4:7], s[2:3], 0x20
	s_load_b64 s[0:1], s[2:3], 0x30
	s_waitcnt lgkmcnt(0)
	s_cmp_eq_u64 s[4:5], 0
	s_cbranch_scc1 .LBB432_9
; %bb.8:
	s_ashr_i32 s13, s12, 31
	s_delay_alu instid0(SALU_CYCLE_1) | instskip(NEXT) | instid1(SALU_CYCLE_1)
	s_lshl_b64 s[8:9], s[12:13], 2
	s_add_u32 s4, s4, s8
	s_addc_u32 s5, s5, s9
	s_load_b32 s4, s[4:5], 0x0
	s_waitcnt lgkmcnt(0)
	s_sub_i32 s12, s4, s14
.LBB432_9:
	s_load_b32 s4, s[2:3], 0x4
	v_mul_u32_u24_e32 v0, 0xf10, v4
	v_mov_b32_e32 v2, 0
	v_mov_b32_e32 v3, 0
	s_delay_alu instid0(VALU_DEP_3) | instskip(NEXT) | instid1(VALU_DEP_1)
	v_lshrrev_b32_e32 v13, 16, v0
	v_mul_lo_u16 v0, v13, 17
	s_delay_alu instid0(VALU_DEP_1) | instskip(NEXT) | instid1(VALU_DEP_4)
	v_sub_nc_u16 v18, v4, v0
	v_dual_mov_b32 v0, v2 :: v_dual_mov_b32 v1, v3
	s_waitcnt lgkmcnt(0)
	s_cmp_eq_u32 s4, 1
	s_cselect_b32 vcc_lo, -1, 0
	s_cmp_lg_u32 s4, 1
	s_cselect_b32 s10, -1, 0
	s_ashr_i32 s13, s12, 31
	s_delay_alu instid0(SALU_CYCLE_1) | instskip(NEXT) | instid1(SALU_CYCLE_1)
	s_lshl_b64 s[4:5], s[12:13], 2
	s_add_u32 s6, s6, s4
	s_addc_u32 s7, s7, s5
	s_add_u32 s8, s6, 4
	s_addc_u32 s9, s7, 0
	;; [unrolled: 2-line block ×3, first 2 shown]
	s_cmp_eq_u64 s[0:1], 0
	s_cselect_b32 s1, s9, s5
	s_cselect_b32 s0, s8, s4
	s_load_b32 s11, s[6:7], 0x0
	s_load_b32 s13, s[0:1], 0x0
	s_load_b64 s[8:9], s[2:3], 0x60
	s_waitcnt lgkmcnt(0)
	s_cmp_ge_i32 s11, s13
	s_cbranch_scc1 .LBB432_14
; %bb.10:
	v_mul_lo_u16 v0, v13, 31
	s_clause 0x1
	s_load_b128 s[4:7], s[2:3], 0x38
	s_load_b64 s[0:1], s[2:3], 0x48
	v_dual_mov_b32 v2, 0 :: v_dual_and_b32 v1, 0xffff, v4
	v_lshrrev_b16 v0, 9, v0
	s_sub_i32 s3, s11, s14
	v_dual_mov_b32 v3, 0 :: v_dual_lshlrev_b32 v14, 3, v4
	s_sub_i32 s2, s13, s14
	s_delay_alu instid0(VALU_DEP_2)
	v_mul_lo_u16 v0, v0, 17
	v_and_b32_e32 v15, 0xffff, v18
	v_mul_u32_u24_e32 v1, 0xe3, v1
	s_mul_i32 s13, s3, 0x908
	s_mul_hi_i32 s11, s3, 0x908
	v_sub_nc_u16 v0, v13, v0
	s_delay_alu instid0(VALU_DEP_2) | instskip(NEXT) | instid1(VALU_DEP_2)
	v_lshrrev_b32_e32 v19, 16, v1
	v_and_b32_e32 v0, 0xff, v0
	s_waitcnt lgkmcnt(0)
	s_add_u32 s6, s6, s13
	s_addc_u32 s7, s7, s11
	v_add_co_u32 v13, s6, s6, v14
	v_dual_cndmask_b32 v15, v15, v0 :: v_dual_mov_b32 v0, v2
	v_mov_b32_e32 v1, v3
	v_add_co_ci_u32_e64 v14, null, s7, 0, s6
	s_set_inst_prefetch_distance 0x1
	s_branch .LBB432_12
	.p2align	6
.LBB432_11:                             ;   in Loop: Header=BB432_12 Depth=1
	s_or_b32 exec_lo, exec_lo, s6
	s_add_i32 s3, s3, 1
	s_delay_alu instid0(SALU_CYCLE_1)
	s_cmp_lt_i32 s3, s2
	s_cbranch_scc0 .LBB432_14
.LBB432_12:                             ; =>This Inner Loop Header: Depth=1
	v_add_nc_u32_e32 v16, s3, v19
	s_mov_b32 s6, exec_lo
	s_delay_alu instid0(VALU_DEP_1)
	v_cmpx_gt_i32_e64 s2, v16
	s_cbranch_execz .LBB432_11
; %bb.13:                               ;   in Loop: Header=BB432_12 Depth=1
	v_ashrrev_i32_e32 v17, 31, v16
	s_delay_alu instid0(VALU_DEP_1) | instskip(NEXT) | instid1(VALU_DEP_1)
	v_lshlrev_b64 v[16:17], 2, v[16:17]
	v_add_co_u32 v16, vcc_lo, s4, v16
	s_delay_alu instid0(VALU_DEP_2) | instskip(SKIP_3) | instid1(VALU_DEP_1)
	v_add_co_ci_u32_e32 v17, vcc_lo, s5, v17, vcc_lo
	global_load_b32 v16, v[16:17], off
	s_waitcnt vmcnt(0)
	v_subrev_nc_u32_e32 v20, s14, v16
	v_mad_u64_u32 v[16:17], null, v20, 17, v[15:16]
	s_delay_alu instid0(VALU_DEP_1) | instskip(NEXT) | instid1(VALU_DEP_1)
	v_ashrrev_i32_e32 v17, 31, v16
	v_lshlrev_b64 v[16:17], 4, v[16:17]
	s_delay_alu instid0(VALU_DEP_1) | instskip(NEXT) | instid1(VALU_DEP_2)
	v_add_co_u32 v16, vcc_lo, s0, v16
	v_add_co_ci_u32_e32 v17, vcc_lo, s1, v17, vcc_lo
	global_load_b64 v[24:25], v[13:14], off
	global_load_b128 v[20:23], v[16:17], off
	v_add_co_u32 v13, vcc_lo, 0x908, v13
	v_add_co_ci_u32_e32 v14, vcc_lo, 0, v14, vcc_lo
	s_waitcnt vmcnt(0)
	v_fma_f64 v[0:1], v[24:25], v[20:21], v[0:1]
	v_fma_f64 v[2:3], v[20:21], 0, v[2:3]
	s_delay_alu instid0(VALU_DEP_2) | instskip(NEXT) | instid1(VALU_DEP_2)
	v_fma_f64 v[0:1], 0x80000000, v[22:23], v[0:1]
	v_fma_f64 v[2:3], v[24:25], v[22:23], v[2:3]
	s_branch .LBB432_11
.LBB432_14:
	s_set_inst_prefetch_distance 0x2
	v_lshlrev_b32_e32 v17, 4, v4
	s_and_b32 vcc_lo, exec_lo, s10
	ds_store_b128 v17, v[0:3]
	s_waitcnt vmcnt(0) lgkmcnt(0)
	s_barrier
	buffer_gl0_inv
	s_cbranch_vccz .LBB432_26
; %bb.15:
	s_mov_b32 s0, exec_lo
	v_cmpx_eq_u16_e32 0, v18
	s_cbranch_execz .LBB432_17
; %bb.16:
	ds_load_b128 v[13:16], v17 offset:256
	ds_load_b128 v[19:22], v17
	s_waitcnt lgkmcnt(0)
	v_add_f64 v[13:14], v[13:14], v[19:20]
	v_add_f64 v[15:16], v[15:16], v[21:22]
	ds_store_b128 v17, v[13:16]
.LBB432_17:
	s_or_b32 exec_lo, exec_lo, s0
	s_delay_alu instid0(SALU_CYCLE_1)
	s_mov_b32 s0, exec_lo
	s_waitcnt lgkmcnt(0)
	s_barrier
	buffer_gl0_inv
	v_cmpx_gt_u16_e32 8, v18
	s_cbranch_execz .LBB432_19
; %bb.18:
	ds_load_b128 v[13:16], v17 offset:128
	ds_load_b128 v[19:22], v17
	s_waitcnt lgkmcnt(0)
	v_add_f64 v[13:14], v[13:14], v[19:20]
	v_add_f64 v[15:16], v[15:16], v[21:22]
	ds_store_b128 v17, v[13:16]
.LBB432_19:
	s_or_b32 exec_lo, exec_lo, s0
	s_delay_alu instid0(SALU_CYCLE_1)
	s_mov_b32 s0, exec_lo
	s_waitcnt lgkmcnt(0)
	s_barrier
	buffer_gl0_inv
	v_cmpx_gt_u16_e32 4, v18
	;; [unrolled: 16-line block ×3, first 2 shown]
	s_cbranch_execz .LBB432_23
; %bb.22:
	ds_load_b128 v[13:16], v17
	ds_load_b128 v[18:21], v17 offset:32
	s_waitcnt lgkmcnt(0)
	v_add_f64 v[13:14], v[18:19], v[13:14]
	v_add_f64 v[15:16], v[20:21], v[15:16]
	ds_store_b128 v17, v[13:16]
.LBB432_23:
	s_or_b32 exec_lo, exec_lo, s0
	v_dual_mov_b32 v16, v3 :: v_dual_mov_b32 v15, v2
	v_dual_mov_b32 v14, v1 :: v_dual_mov_b32 v13, v0
	s_mov_b32 s0, exec_lo
	s_waitcnt lgkmcnt(0)
	s_barrier
	buffer_gl0_inv
	v_cmpx_gt_u32_e32 17, v4
	s_cbranch_execz .LBB432_25
; %bb.24:
	v_mul_u32_u24_e32 v13, 17, v4
	s_delay_alu instid0(VALU_DEP_1)
	v_lshlrev_b32_e32 v18, 4, v13
	ds_load_b128 v[13:16], v18
	ds_load_b128 v[18:21], v18 offset:16
	s_waitcnt lgkmcnt(0)
	v_add_f64 v[13:14], v[18:19], v[13:14]
	v_add_f64 v[15:16], v[20:21], v[15:16]
.LBB432_25:
	s_or_b32 exec_lo, exec_lo, s0
	v_cmp_gt_u32_e64 s0, 17, v4
	s_branch .LBB432_38
.LBB432_26:
                                        ; implicit-def: $vgpr15_vgpr16
                                        ; implicit-def: $vgpr13_vgpr14
	v_cmp_gt_u32_e64 s0, 17, v4
	s_cbranch_execz .LBB432_38
; %bb.27:
	s_delay_alu instid0(VALU_DEP_1)
	s_and_saveexec_b32 s1, s0
	s_cbranch_execz .LBB432_29
; %bb.28:
	ds_load_b128 v[13:16], v17 offset:4352
	ds_load_b128 v[18:21], v17
	s_waitcnt lgkmcnt(0)
	v_add_f64 v[13:14], v[13:14], v[18:19]
	v_add_f64 v[15:16], v[15:16], v[20:21]
	ds_store_b128 v17, v[13:16]
.LBB432_29:
	s_or_b32 exec_lo, exec_lo, s1
	s_delay_alu instid0(SALU_CYCLE_1)
	s_mov_b32 s1, exec_lo
	s_waitcnt lgkmcnt(0)
	s_barrier
	buffer_gl0_inv
	v_cmpx_gt_u32_e32 0x88, v4
	s_cbranch_execz .LBB432_31
; %bb.30:
	ds_load_b128 v[13:16], v17 offset:2176
	ds_load_b128 v[18:21], v17
	s_waitcnt lgkmcnt(0)
	v_add_f64 v[13:14], v[13:14], v[18:19]
	v_add_f64 v[15:16], v[15:16], v[20:21]
	ds_store_b128 v17, v[13:16]
.LBB432_31:
	s_or_b32 exec_lo, exec_lo, s1
	s_delay_alu instid0(SALU_CYCLE_1)
	s_mov_b32 s1, exec_lo
	s_waitcnt lgkmcnt(0)
	s_barrier
	buffer_gl0_inv
	v_cmpx_gt_u32_e32 0x44, v4
	;; [unrolled: 16-line block ×3, first 2 shown]
	s_cbranch_execz .LBB432_35
; %bb.34:
	ds_load_b128 v[13:16], v17 offset:544
	ds_load_b128 v[18:21], v17
	s_waitcnt lgkmcnt(0)
	v_add_f64 v[13:14], v[13:14], v[18:19]
	v_add_f64 v[15:16], v[15:16], v[20:21]
	ds_store_b128 v17, v[13:16]
.LBB432_35:
	s_or_b32 exec_lo, exec_lo, s1
	s_waitcnt lgkmcnt(0)
	buffer_gl0_inv
	s_and_saveexec_b32 s1, s0
	s_cbranch_execz .LBB432_37
; %bb.36:
	ds_load_b128 v[0:3], v17 offset:272
	ds_load_b128 v[13:16], v17
	s_waitcnt lgkmcnt(0)
	v_add_f64 v[0:1], v[0:1], v[13:14]
	v_add_f64 v[2:3], v[2:3], v[15:16]
.LBB432_37:
	s_or_b32 exec_lo, exec_lo, s1
	s_delay_alu instid0(VALU_DEP_1) | instskip(NEXT) | instid1(VALU_DEP_3)
	v_dual_mov_b32 v16, v3 :: v_dual_mov_b32 v15, v2
	v_dual_mov_b32 v14, v1 :: v_dual_mov_b32 v13, v0
.LBB432_38:
	v_cmp_gt_u32_e32 vcc_lo, 17, v4
	s_and_b32 exec_lo, exec_lo, vcc_lo
	s_cbranch_execz .LBB432_43
; %bb.39:
	s_delay_alu instid0(VALU_DEP_3) | instskip(SKIP_3) | instid1(VALU_DEP_4)
	v_mul_f64 v[0:1], v[15:16], -v[11:12]
	v_mul_f64 v[2:3], v[9:10], v[15:16]
	v_cmp_eq_f64_e32 vcc_lo, 0, v[5:6]
	v_cmp_eq_f64_e64 s0, 0, v[7:8]
	v_fma_f64 v[0:1], v[9:10], v[13:14], v[0:1]
	s_delay_alu instid0(VALU_DEP_4) | instskip(NEXT) | instid1(VALU_DEP_3)
	v_fma_f64 v[2:3], v[11:12], v[13:14], v[2:3]
	s_and_b32 s0, vcc_lo, s0
	s_delay_alu instid0(SALU_CYCLE_1) | instskip(NEXT) | instid1(SALU_CYCLE_1)
	s_and_saveexec_b32 s1, s0
	s_xor_b32 s0, exec_lo, s1
	s_cbranch_execz .LBB432_41
; %bb.40:
	v_mad_u64_u32 v[5:6], null, s12, 17, v[4:5]
	v_mov_b32_e32 v6, 0
                                        ; implicit-def: $vgpr7_vgpr8
	s_delay_alu instid0(VALU_DEP_1) | instskip(NEXT) | instid1(VALU_DEP_1)
	v_lshlrev_b64 v[4:5], 4, v[5:6]
	v_add_co_u32 v4, vcc_lo, s8, v4
	s_delay_alu instid0(VALU_DEP_2)
	v_add_co_ci_u32_e32 v5, vcc_lo, s9, v5, vcc_lo
	global_store_b128 v[4:5], v[0:3], off
                                        ; implicit-def: $vgpr4
                                        ; implicit-def: $vgpr5_vgpr6
                                        ; implicit-def: $vgpr0_vgpr1
.LBB432_41:
	s_and_not1_saveexec_b32 s0, s0
	s_cbranch_execz .LBB432_43
; %bb.42:
	v_mad_u64_u32 v[9:10], null, s12, 17, v[4:5]
	v_mov_b32_e32 v10, 0
	s_delay_alu instid0(VALU_DEP_1) | instskip(NEXT) | instid1(VALU_DEP_1)
	v_lshlrev_b64 v[9:10], 4, v[9:10]
	v_add_co_u32 v13, vcc_lo, s8, v9
	s_delay_alu instid0(VALU_DEP_2) | instskip(SKIP_4) | instid1(VALU_DEP_2)
	v_add_co_ci_u32_e32 v14, vcc_lo, s9, v10, vcc_lo
	global_load_b128 v[9:12], v[13:14], off
	s_waitcnt vmcnt(0)
	v_fma_f64 v[0:1], v[5:6], v[9:10], v[0:1]
	v_fma_f64 v[2:3], v[7:8], v[9:10], v[2:3]
	v_fma_f64 v[0:1], -v[7:8], v[11:12], v[0:1]
	s_delay_alu instid0(VALU_DEP_2)
	v_fma_f64 v[2:3], v[5:6], v[11:12], v[2:3]
	global_store_b128 v[13:14], v[0:3], off
.LBB432_43:
	s_nop 0
	s_sendmsg sendmsg(MSG_DEALLOC_VGPRS)
	s_endpgm
	.section	.rodata,"a",@progbits
	.p2align	6, 0x0
	.amdhsa_kernel _ZN9rocsparseL20bsrxmvn_17_32_kernelILj17E21rocsparse_complex_numIdEiidS2_S2_EEvT2_20rocsparse_direction_NS_24const_host_device_scalarIT0_EES3_PKS3_PKT1_SC_S9_PKT3_PKT4_S7_PT5_21rocsparse_index_base_b
		.amdhsa_group_segment_fixed_size 9248
		.amdhsa_private_segment_fixed_size 0
		.amdhsa_kernarg_size 112
		.amdhsa_user_sgpr_count 15
		.amdhsa_user_sgpr_dispatch_ptr 1
		.amdhsa_user_sgpr_queue_ptr 0
		.amdhsa_user_sgpr_kernarg_segment_ptr 1
		.amdhsa_user_sgpr_dispatch_id 0
		.amdhsa_user_sgpr_private_segment_size 0
		.amdhsa_wavefront_size32 1
		.amdhsa_uses_dynamic_stack 0
		.amdhsa_enable_private_segment 0
		.amdhsa_system_sgpr_workgroup_id_x 1
		.amdhsa_system_sgpr_workgroup_id_y 0
		.amdhsa_system_sgpr_workgroup_id_z 0
		.amdhsa_system_sgpr_workgroup_info 0
		.amdhsa_system_vgpr_workitem_id 2
		.amdhsa_next_free_vgpr 26
		.amdhsa_next_free_sgpr 18
		.amdhsa_reserve_vcc 1
		.amdhsa_float_round_mode_32 0
		.amdhsa_float_round_mode_16_64 0
		.amdhsa_float_denorm_mode_32 3
		.amdhsa_float_denorm_mode_16_64 3
		.amdhsa_dx10_clamp 1
		.amdhsa_ieee_mode 1
		.amdhsa_fp16_overflow 0
		.amdhsa_workgroup_processor_mode 1
		.amdhsa_memory_ordered 1
		.amdhsa_forward_progress 0
		.amdhsa_shared_vgpr_count 0
		.amdhsa_exception_fp_ieee_invalid_op 0
		.amdhsa_exception_fp_denorm_src 0
		.amdhsa_exception_fp_ieee_div_zero 0
		.amdhsa_exception_fp_ieee_overflow 0
		.amdhsa_exception_fp_ieee_underflow 0
		.amdhsa_exception_fp_ieee_inexact 0
		.amdhsa_exception_int_div_zero 0
	.end_amdhsa_kernel
	.section	.text._ZN9rocsparseL20bsrxmvn_17_32_kernelILj17E21rocsparse_complex_numIdEiidS2_S2_EEvT2_20rocsparse_direction_NS_24const_host_device_scalarIT0_EES3_PKS3_PKT1_SC_S9_PKT3_PKT4_S7_PT5_21rocsparse_index_base_b,"axG",@progbits,_ZN9rocsparseL20bsrxmvn_17_32_kernelILj17E21rocsparse_complex_numIdEiidS2_S2_EEvT2_20rocsparse_direction_NS_24const_host_device_scalarIT0_EES3_PKS3_PKT1_SC_S9_PKT3_PKT4_S7_PT5_21rocsparse_index_base_b,comdat
.Lfunc_end432:
	.size	_ZN9rocsparseL20bsrxmvn_17_32_kernelILj17E21rocsparse_complex_numIdEiidS2_S2_EEvT2_20rocsparse_direction_NS_24const_host_device_scalarIT0_EES3_PKS3_PKT1_SC_S9_PKT3_PKT4_S7_PT5_21rocsparse_index_base_b, .Lfunc_end432-_ZN9rocsparseL20bsrxmvn_17_32_kernelILj17E21rocsparse_complex_numIdEiidS2_S2_EEvT2_20rocsparse_direction_NS_24const_host_device_scalarIT0_EES3_PKS3_PKT1_SC_S9_PKT3_PKT4_S7_PT5_21rocsparse_index_base_b
                                        ; -- End function
	.section	.AMDGPU.csdata,"",@progbits
; Kernel info:
; codeLenInByte = 2084
; NumSgprs: 20
; NumVgprs: 26
; ScratchSize: 0
; MemoryBound: 0
; FloatMode: 240
; IeeeMode: 1
; LDSByteSize: 9248 bytes/workgroup (compile time only)
; SGPRBlocks: 2
; VGPRBlocks: 3
; NumSGPRsForWavesPerEU: 20
; NumVGPRsForWavesPerEU: 26
; Occupancy: 15
; WaveLimiterHint : 1
; COMPUTE_PGM_RSRC2:SCRATCH_EN: 0
; COMPUTE_PGM_RSRC2:USER_SGPR: 15
; COMPUTE_PGM_RSRC2:TRAP_HANDLER: 0
; COMPUTE_PGM_RSRC2:TGID_X_EN: 1
; COMPUTE_PGM_RSRC2:TGID_Y_EN: 0
; COMPUTE_PGM_RSRC2:TGID_Z_EN: 0
; COMPUTE_PGM_RSRC2:TIDIG_COMP_CNT: 2
	.section	.text._ZN9rocsparseL20bsrxmvn_17_32_kernelILj18E21rocsparse_complex_numIdEiidS2_S2_EEvT2_20rocsparse_direction_NS_24const_host_device_scalarIT0_EES3_PKS3_PKT1_SC_S9_PKT3_PKT4_S7_PT5_21rocsparse_index_base_b,"axG",@progbits,_ZN9rocsparseL20bsrxmvn_17_32_kernelILj18E21rocsparse_complex_numIdEiidS2_S2_EEvT2_20rocsparse_direction_NS_24const_host_device_scalarIT0_EES3_PKS3_PKT1_SC_S9_PKT3_PKT4_S7_PT5_21rocsparse_index_base_b,comdat
	.globl	_ZN9rocsparseL20bsrxmvn_17_32_kernelILj18E21rocsparse_complex_numIdEiidS2_S2_EEvT2_20rocsparse_direction_NS_24const_host_device_scalarIT0_EES3_PKS3_PKT1_SC_S9_PKT3_PKT4_S7_PT5_21rocsparse_index_base_b ; -- Begin function _ZN9rocsparseL20bsrxmvn_17_32_kernelILj18E21rocsparse_complex_numIdEiidS2_S2_EEvT2_20rocsparse_direction_NS_24const_host_device_scalarIT0_EES3_PKS3_PKT1_SC_S9_PKT3_PKT4_S7_PT5_21rocsparse_index_base_b
	.p2align	8
	.type	_ZN9rocsparseL20bsrxmvn_17_32_kernelILj18E21rocsparse_complex_numIdEiidS2_S2_EEvT2_20rocsparse_direction_NS_24const_host_device_scalarIT0_EES3_PKS3_PKT1_SC_S9_PKT3_PKT4_S7_PT5_21rocsparse_index_base_b,@function
_ZN9rocsparseL20bsrxmvn_17_32_kernelILj18E21rocsparse_complex_numIdEiidS2_S2_EEvT2_20rocsparse_direction_NS_24const_host_device_scalarIT0_EES3_PKS3_PKT1_SC_S9_PKT3_PKT4_S7_PT5_21rocsparse_index_base_b: ; @_ZN9rocsparseL20bsrxmvn_17_32_kernelILj18E21rocsparse_complex_numIdEiidS2_S2_EEvT2_20rocsparse_direction_NS_24const_host_device_scalarIT0_EES3_PKS3_PKT1_SC_S9_PKT3_PKT4_S7_PT5_21rocsparse_index_base_b
; %bb.0:
	s_mov_b32 s12, s15
	s_clause 0x1
	s_load_b64 s[14:15], s[2:3], 0x68
	s_load_b128 s[4:7], s[2:3], 0x8
	s_load_b64 s[16:17], s[0:1], 0x4
	s_mov_b64 s[0:1], src_shared_base
	v_and_b32_e32 v4, 0x3ff, v0
	s_load_b128 s[8:11], s[2:3], 0x50
	v_bfe_u32 v2, v0, 10, 10
	v_bfe_u32 v0, v0, 20, 10
	s_waitcnt lgkmcnt(0)
	s_bitcmp1_b32 s15, 0
	v_mov_b32_e32 v12, s7
	s_cselect_b32 s0, -1, 0
	v_mov_b32_e32 v11, s6
	s_and_b32 vcc_lo, s0, exec_lo
	s_cselect_b32 s13, s1, s5
	s_lshr_b32 s15, s16, 16
	v_mov_b32_e32 v6, s13
	s_mul_i32 s15, s15, s17
	s_xor_b32 s6, s0, -1
	v_mul_lo_u32 v1, s15, v4
	s_delay_alu instid0(VALU_DEP_1) | instskip(SKIP_1) | instid1(VALU_DEP_2)
	v_mad_u32_u24 v1, v2, s17, v1
	v_dual_mov_b32 v2, s8 :: v_dual_mov_b32 v3, s9
	v_add_lshl_u32 v7, v1, v0, 3
	v_dual_mov_b32 v0, s4 :: v_dual_mov_b32 v1, s5
	ds_store_b64 v7, v[0:1] offset:7776
	ds_store_b64 v7, v[2:3] offset:5184
	v_add_nc_u32_e32 v5, 0x1e60, v7
	v_add_nc_u32_e32 v0, 0x1440, v7
	s_delay_alu instid0(VALU_DEP_2)
	v_cndmask_b32_e64 v5, s4, v5, s0
	flat_load_b64 v[9:10], v[5:6]
	s_cbranch_vccnz .LBB433_2
; %bb.1:
	v_dual_mov_b32 v1, s4 :: v_dual_mov_b32 v2, s5
	flat_load_b64 v[11:12], v[1:2] offset:8
.LBB433_2:
	s_and_b32 s4, s0, exec_lo
	s_cselect_b32 s1, s1, s9
	v_cndmask_b32_e64 v0, s8, v0, s0
	v_mov_b32_e32 v1, s1
	v_dual_mov_b32 v7, s10 :: v_dual_mov_b32 v8, s11
	s_and_not1_b32 vcc_lo, exec_lo, s6
	flat_load_b64 v[5:6], v[0:1]
	s_cbranch_vccnz .LBB433_4
; %bb.3:
	v_dual_mov_b32 v0, s8 :: v_dual_mov_b32 v1, s9
	flat_load_b64 v[7:8], v[0:1] offset:8
.LBB433_4:
	s_waitcnt vmcnt(1) lgkmcnt(1)
	v_cmp_eq_f64_e32 vcc_lo, 0, v[9:10]
	v_cmp_eq_f64_e64 s0, 0, v[11:12]
	s_delay_alu instid0(VALU_DEP_1)
	s_and_b32 s4, vcc_lo, s0
	s_mov_b32 s0, -1
	s_and_saveexec_b32 s1, s4
	s_cbranch_execz .LBB433_6
; %bb.5:
	s_waitcnt vmcnt(0) lgkmcnt(0)
	v_cmp_neq_f64_e32 vcc_lo, 1.0, v[5:6]
	v_cmp_neq_f64_e64 s0, 0, v[7:8]
	s_delay_alu instid0(VALU_DEP_1) | instskip(NEXT) | instid1(SALU_CYCLE_1)
	s_or_b32 s0, vcc_lo, s0
	s_or_not1_b32 s0, s0, exec_lo
.LBB433_6:
	s_or_b32 exec_lo, exec_lo, s1
	s_and_saveexec_b32 s1, s0
	s_cbranch_execz .LBB433_43
; %bb.7:
	s_clause 0x1
	s_load_b128 s[4:7], s[2:3], 0x20
	s_load_b64 s[0:1], s[2:3], 0x30
	s_waitcnt lgkmcnt(0)
	s_cmp_eq_u64 s[4:5], 0
	s_cbranch_scc1 .LBB433_9
; %bb.8:
	s_ashr_i32 s13, s12, 31
	s_delay_alu instid0(SALU_CYCLE_1) | instskip(NEXT) | instid1(SALU_CYCLE_1)
	s_lshl_b64 s[8:9], s[12:13], 2
	s_add_u32 s4, s4, s8
	s_addc_u32 s5, s5, s9
	s_load_b32 s4, s[4:5], 0x0
	s_waitcnt lgkmcnt(0)
	s_sub_i32 s12, s4, s14
.LBB433_9:
	s_load_b32 s4, s[2:3], 0x4
	v_mul_u32_u24_e32 v0, 0xe39, v4
	v_mov_b32_e32 v2, 0
	v_mov_b32_e32 v3, 0
	s_delay_alu instid0(VALU_DEP_3) | instskip(NEXT) | instid1(VALU_DEP_1)
	v_lshrrev_b32_e32 v13, 16, v0
	v_mul_lo_u16 v0, v13, 18
	s_delay_alu instid0(VALU_DEP_1) | instskip(NEXT) | instid1(VALU_DEP_4)
	v_sub_nc_u16 v18, v4, v0
	v_dual_mov_b32 v0, v2 :: v_dual_mov_b32 v1, v3
	s_waitcnt lgkmcnt(0)
	s_cmp_eq_u32 s4, 1
	s_cselect_b32 vcc_lo, -1, 0
	s_cmp_lg_u32 s4, 1
	s_cselect_b32 s10, -1, 0
	s_ashr_i32 s13, s12, 31
	s_delay_alu instid0(SALU_CYCLE_1) | instskip(NEXT) | instid1(SALU_CYCLE_1)
	s_lshl_b64 s[4:5], s[12:13], 2
	s_add_u32 s6, s6, s4
	s_addc_u32 s7, s7, s5
	s_add_u32 s8, s6, 4
	s_addc_u32 s9, s7, 0
	;; [unrolled: 2-line block ×3, first 2 shown]
	s_cmp_eq_u64 s[0:1], 0
	s_cselect_b32 s1, s9, s5
	s_cselect_b32 s0, s8, s4
	s_load_b32 s11, s[6:7], 0x0
	s_load_b32 s13, s[0:1], 0x0
	s_load_b64 s[8:9], s[2:3], 0x60
	s_waitcnt lgkmcnt(0)
	s_cmp_ge_i32 s11, s13
	s_cbranch_scc1 .LBB433_14
; %bb.10:
	v_mul_lo_u16 v0, v13, 15
	s_clause 0x1
	s_load_b128 s[4:7], s[2:3], 0x38
	s_load_b64 s[0:1], s[2:3], 0x48
	v_dual_mov_b32 v2, 0 :: v_dual_and_b32 v1, 0xffff, v4
	v_lshrrev_b16 v0, 8, v0
	s_sub_i32 s3, s11, s14
	v_dual_mov_b32 v3, 0 :: v_dual_lshlrev_b32 v14, 3, v4
	s_sub_i32 s2, s13, s14
	s_delay_alu instid0(VALU_DEP_2)
	v_mul_lo_u16 v0, v0, 18
	v_and_b32_e32 v15, 0xffff, v18
	v_mul_u32_u24_e32 v1, 0x195, v1
	s_mul_i32 s13, s3, 0xa20
	s_mul_hi_i32 s11, s3, 0xa20
	v_sub_nc_u16 v0, v13, v0
	s_delay_alu instid0(VALU_DEP_2) | instskip(NEXT) | instid1(VALU_DEP_2)
	v_lshrrev_b32_e32 v19, 17, v1
	v_and_b32_e32 v0, 0xff, v0
	s_waitcnt lgkmcnt(0)
	s_add_u32 s6, s6, s13
	s_addc_u32 s7, s7, s11
	v_add_co_u32 v13, s6, s6, v14
	v_dual_cndmask_b32 v15, v15, v0 :: v_dual_mov_b32 v0, v2
	v_mov_b32_e32 v1, v3
	v_add_co_ci_u32_e64 v14, null, s7, 0, s6
	s_set_inst_prefetch_distance 0x1
	s_branch .LBB433_12
	.p2align	6
.LBB433_11:                             ;   in Loop: Header=BB433_12 Depth=1
	s_or_b32 exec_lo, exec_lo, s6
	s_add_i32 s3, s3, 1
	s_delay_alu instid0(SALU_CYCLE_1)
	s_cmp_lt_i32 s3, s2
	s_cbranch_scc0 .LBB433_14
.LBB433_12:                             ; =>This Inner Loop Header: Depth=1
	v_add_nc_u32_e32 v16, s3, v19
	s_mov_b32 s6, exec_lo
	s_delay_alu instid0(VALU_DEP_1)
	v_cmpx_gt_i32_e64 s2, v16
	s_cbranch_execz .LBB433_11
; %bb.13:                               ;   in Loop: Header=BB433_12 Depth=1
	v_ashrrev_i32_e32 v17, 31, v16
	s_delay_alu instid0(VALU_DEP_1) | instskip(NEXT) | instid1(VALU_DEP_1)
	v_lshlrev_b64 v[16:17], 2, v[16:17]
	v_add_co_u32 v16, vcc_lo, s4, v16
	s_delay_alu instid0(VALU_DEP_2) | instskip(SKIP_3) | instid1(VALU_DEP_1)
	v_add_co_ci_u32_e32 v17, vcc_lo, s5, v17, vcc_lo
	global_load_b32 v16, v[16:17], off
	s_waitcnt vmcnt(0)
	v_subrev_nc_u32_e32 v20, s14, v16
	v_mad_u64_u32 v[16:17], null, v20, 18, v[15:16]
	s_delay_alu instid0(VALU_DEP_1) | instskip(NEXT) | instid1(VALU_DEP_1)
	v_ashrrev_i32_e32 v17, 31, v16
	v_lshlrev_b64 v[16:17], 4, v[16:17]
	s_delay_alu instid0(VALU_DEP_1) | instskip(NEXT) | instid1(VALU_DEP_2)
	v_add_co_u32 v16, vcc_lo, s0, v16
	v_add_co_ci_u32_e32 v17, vcc_lo, s1, v17, vcc_lo
	global_load_b64 v[24:25], v[13:14], off
	global_load_b128 v[20:23], v[16:17], off
	v_add_co_u32 v13, vcc_lo, 0xa20, v13
	v_add_co_ci_u32_e32 v14, vcc_lo, 0, v14, vcc_lo
	s_waitcnt vmcnt(0)
	v_fma_f64 v[0:1], v[24:25], v[20:21], v[0:1]
	v_fma_f64 v[2:3], v[20:21], 0, v[2:3]
	s_delay_alu instid0(VALU_DEP_2) | instskip(NEXT) | instid1(VALU_DEP_2)
	v_fma_f64 v[0:1], 0x80000000, v[22:23], v[0:1]
	v_fma_f64 v[2:3], v[24:25], v[22:23], v[2:3]
	s_branch .LBB433_11
.LBB433_14:
	s_set_inst_prefetch_distance 0x2
	v_lshlrev_b32_e32 v17, 4, v4
	s_and_b32 vcc_lo, exec_lo, s10
	ds_store_b128 v17, v[0:3]
	s_waitcnt vmcnt(0) lgkmcnt(0)
	s_barrier
	buffer_gl0_inv
	s_cbranch_vccz .LBB433_26
; %bb.15:
	v_cmp_gt_u16_e32 vcc_lo, 2, v18
	s_and_saveexec_b32 s0, vcc_lo
	s_cbranch_execz .LBB433_17
; %bb.16:
	ds_load_b128 v[13:16], v17 offset:256
	ds_load_b128 v[19:22], v17
	s_waitcnt lgkmcnt(0)
	v_add_f64 v[13:14], v[13:14], v[19:20]
	v_add_f64 v[15:16], v[15:16], v[21:22]
	ds_store_b128 v17, v[13:16]
.LBB433_17:
	s_or_b32 exec_lo, exec_lo, s0
	s_delay_alu instid0(SALU_CYCLE_1)
	s_mov_b32 s1, exec_lo
	s_waitcnt lgkmcnt(0)
	s_barrier
	buffer_gl0_inv
	v_cmpx_gt_u16_e32 8, v18
	s_cbranch_execz .LBB433_19
; %bb.18:
	ds_load_b128 v[13:16], v17 offset:128
	ds_load_b128 v[19:22], v17
	s_waitcnt lgkmcnt(0)
	v_add_f64 v[13:14], v[13:14], v[19:20]
	v_add_f64 v[15:16], v[15:16], v[21:22]
	ds_store_b128 v17, v[13:16]
.LBB433_19:
	s_or_b32 exec_lo, exec_lo, s1
	s_delay_alu instid0(SALU_CYCLE_1)
	s_mov_b32 s1, exec_lo
	s_waitcnt lgkmcnt(0)
	s_barrier
	buffer_gl0_inv
	v_cmpx_gt_u16_e32 4, v18
	s_cbranch_execz .LBB433_21
; %bb.20:
	ds_load_b128 v[13:16], v17 offset:64
	ds_load_b128 v[18:21], v17
	s_waitcnt lgkmcnt(0)
	v_add_f64 v[13:14], v[13:14], v[18:19]
	v_add_f64 v[15:16], v[15:16], v[20:21]
	ds_store_b128 v17, v[13:16]
.LBB433_21:
	s_or_b32 exec_lo, exec_lo, s1
	s_waitcnt lgkmcnt(0)
	s_barrier
	buffer_gl0_inv
	s_and_saveexec_b32 s0, vcc_lo
	s_cbranch_execz .LBB433_23
; %bb.22:
	ds_load_b128 v[13:16], v17
	ds_load_b128 v[18:21], v17 offset:32
	s_waitcnt lgkmcnt(0)
	v_add_f64 v[13:14], v[18:19], v[13:14]
	v_add_f64 v[15:16], v[20:21], v[15:16]
	ds_store_b128 v17, v[13:16]
.LBB433_23:
	s_or_b32 exec_lo, exec_lo, s0
	v_dual_mov_b32 v16, v3 :: v_dual_mov_b32 v15, v2
	v_dual_mov_b32 v14, v1 :: v_dual_mov_b32 v13, v0
	s_mov_b32 s0, exec_lo
	s_waitcnt lgkmcnt(0)
	s_barrier
	buffer_gl0_inv
	v_cmpx_gt_u32_e32 18, v4
	s_cbranch_execz .LBB433_25
; %bb.24:
	v_mul_u32_u24_e32 v13, 18, v4
	s_delay_alu instid0(VALU_DEP_1)
	v_lshlrev_b32_e32 v18, 4, v13
	ds_load_b128 v[13:16], v18
	ds_load_b128 v[18:21], v18 offset:16
	s_waitcnt lgkmcnt(0)
	v_add_f64 v[13:14], v[18:19], v[13:14]
	v_add_f64 v[15:16], v[20:21], v[15:16]
.LBB433_25:
	s_or_b32 exec_lo, exec_lo, s0
	s_branch .LBB433_38
.LBB433_26:
                                        ; implicit-def: $vgpr15_vgpr16
                                        ; implicit-def: $vgpr13_vgpr14
	s_cbranch_execz .LBB433_38
; %bb.27:
	v_cmp_gt_u32_e32 vcc_lo, 36, v4
	s_and_saveexec_b32 s0, vcc_lo
	s_cbranch_execz .LBB433_29
; %bb.28:
	ds_load_b128 v[13:16], v17 offset:4608
	ds_load_b128 v[18:21], v17
	s_waitcnt lgkmcnt(0)
	v_add_f64 v[13:14], v[13:14], v[18:19]
	v_add_f64 v[15:16], v[15:16], v[20:21]
	ds_store_b128 v17, v[13:16]
.LBB433_29:
	s_or_b32 exec_lo, exec_lo, s0
	s_delay_alu instid0(SALU_CYCLE_1)
	s_mov_b32 s1, exec_lo
	s_waitcnt lgkmcnt(0)
	s_barrier
	buffer_gl0_inv
	v_cmpx_gt_u32_e32 0x90, v4
	s_cbranch_execz .LBB433_31
; %bb.30:
	ds_load_b128 v[13:16], v17 offset:2304
	ds_load_b128 v[18:21], v17
	s_waitcnt lgkmcnt(0)
	v_add_f64 v[13:14], v[13:14], v[18:19]
	v_add_f64 v[15:16], v[15:16], v[20:21]
	ds_store_b128 v17, v[13:16]
.LBB433_31:
	s_or_b32 exec_lo, exec_lo, s1
	s_delay_alu instid0(SALU_CYCLE_1)
	s_mov_b32 s1, exec_lo
	s_waitcnt lgkmcnt(0)
	s_barrier
	buffer_gl0_inv
	v_cmpx_gt_u32_e32 0x48, v4
	s_cbranch_execz .LBB433_33
; %bb.32:
	ds_load_b128 v[13:16], v17 offset:1152
	ds_load_b128 v[18:21], v17
	s_waitcnt lgkmcnt(0)
	v_add_f64 v[13:14], v[13:14], v[18:19]
	v_add_f64 v[15:16], v[15:16], v[20:21]
	ds_store_b128 v17, v[13:16]
.LBB433_33:
	s_or_b32 exec_lo, exec_lo, s1
	s_waitcnt lgkmcnt(0)
	s_barrier
	buffer_gl0_inv
	s_and_saveexec_b32 s0, vcc_lo
	s_cbranch_execz .LBB433_35
; %bb.34:
	ds_load_b128 v[13:16], v17 offset:576
	ds_load_b128 v[18:21], v17
	s_waitcnt lgkmcnt(0)
	v_add_f64 v[13:14], v[13:14], v[18:19]
	v_add_f64 v[15:16], v[15:16], v[20:21]
	ds_store_b128 v17, v[13:16]
.LBB433_35:
	s_or_b32 exec_lo, exec_lo, s0
	s_delay_alu instid0(SALU_CYCLE_1)
	s_mov_b32 s0, exec_lo
	s_waitcnt lgkmcnt(0)
	buffer_gl0_inv
	v_cmpx_gt_u32_e32 18, v4
	s_cbranch_execz .LBB433_37
; %bb.36:
	ds_load_b128 v[0:3], v17 offset:288
	ds_load_b128 v[13:16], v17
	s_waitcnt lgkmcnt(0)
	v_add_f64 v[0:1], v[0:1], v[13:14]
	v_add_f64 v[2:3], v[2:3], v[15:16]
.LBB433_37:
	s_or_b32 exec_lo, exec_lo, s0
	s_delay_alu instid0(VALU_DEP_1) | instskip(NEXT) | instid1(VALU_DEP_3)
	v_dual_mov_b32 v16, v3 :: v_dual_mov_b32 v15, v2
	v_dual_mov_b32 v14, v1 :: v_dual_mov_b32 v13, v0
.LBB433_38:
	v_cmp_gt_u32_e32 vcc_lo, 18, v4
	s_and_b32 exec_lo, exec_lo, vcc_lo
	s_cbranch_execz .LBB433_43
; %bb.39:
	s_delay_alu instid0(VALU_DEP_2) | instskip(SKIP_3) | instid1(VALU_DEP_4)
	v_mul_f64 v[0:1], v[15:16], -v[11:12]
	v_mul_f64 v[2:3], v[9:10], v[15:16]
	v_cmp_eq_f64_e32 vcc_lo, 0, v[5:6]
	v_cmp_eq_f64_e64 s0, 0, v[7:8]
	v_fma_f64 v[0:1], v[9:10], v[13:14], v[0:1]
	s_delay_alu instid0(VALU_DEP_4) | instskip(NEXT) | instid1(VALU_DEP_3)
	v_fma_f64 v[2:3], v[11:12], v[13:14], v[2:3]
	s_and_b32 s0, vcc_lo, s0
	s_delay_alu instid0(SALU_CYCLE_1) | instskip(NEXT) | instid1(SALU_CYCLE_1)
	s_and_saveexec_b32 s1, s0
	s_xor_b32 s0, exec_lo, s1
	s_cbranch_execz .LBB433_41
; %bb.40:
	v_mad_u64_u32 v[5:6], null, s12, 18, v[4:5]
	v_mov_b32_e32 v6, 0
                                        ; implicit-def: $vgpr7_vgpr8
	s_delay_alu instid0(VALU_DEP_1) | instskip(NEXT) | instid1(VALU_DEP_1)
	v_lshlrev_b64 v[4:5], 4, v[5:6]
	v_add_co_u32 v4, vcc_lo, s8, v4
	s_delay_alu instid0(VALU_DEP_2)
	v_add_co_ci_u32_e32 v5, vcc_lo, s9, v5, vcc_lo
	global_store_b128 v[4:5], v[0:3], off
                                        ; implicit-def: $vgpr4
                                        ; implicit-def: $vgpr5_vgpr6
                                        ; implicit-def: $vgpr0_vgpr1
.LBB433_41:
	s_and_not1_saveexec_b32 s0, s0
	s_cbranch_execz .LBB433_43
; %bb.42:
	v_mad_u64_u32 v[9:10], null, s12, 18, v[4:5]
	v_mov_b32_e32 v10, 0
	s_delay_alu instid0(VALU_DEP_1) | instskip(NEXT) | instid1(VALU_DEP_1)
	v_lshlrev_b64 v[9:10], 4, v[9:10]
	v_add_co_u32 v13, vcc_lo, s8, v9
	s_delay_alu instid0(VALU_DEP_2) | instskip(SKIP_4) | instid1(VALU_DEP_2)
	v_add_co_ci_u32_e32 v14, vcc_lo, s9, v10, vcc_lo
	global_load_b128 v[9:12], v[13:14], off
	s_waitcnt vmcnt(0)
	v_fma_f64 v[0:1], v[5:6], v[9:10], v[0:1]
	v_fma_f64 v[2:3], v[7:8], v[9:10], v[2:3]
	v_fma_f64 v[0:1], -v[7:8], v[11:12], v[0:1]
	s_delay_alu instid0(VALU_DEP_2)
	v_fma_f64 v[2:3], v[5:6], v[11:12], v[2:3]
	global_store_b128 v[13:14], v[0:3], off
.LBB433_43:
	s_nop 0
	s_sendmsg sendmsg(MSG_DEALLOC_VGPRS)
	s_endpgm
	.section	.rodata,"a",@progbits
	.p2align	6, 0x0
	.amdhsa_kernel _ZN9rocsparseL20bsrxmvn_17_32_kernelILj18E21rocsparse_complex_numIdEiidS2_S2_EEvT2_20rocsparse_direction_NS_24const_host_device_scalarIT0_EES3_PKS3_PKT1_SC_S9_PKT3_PKT4_S7_PT5_21rocsparse_index_base_b
		.amdhsa_group_segment_fixed_size 10368
		.amdhsa_private_segment_fixed_size 0
		.amdhsa_kernarg_size 112
		.amdhsa_user_sgpr_count 15
		.amdhsa_user_sgpr_dispatch_ptr 1
		.amdhsa_user_sgpr_queue_ptr 0
		.amdhsa_user_sgpr_kernarg_segment_ptr 1
		.amdhsa_user_sgpr_dispatch_id 0
		.amdhsa_user_sgpr_private_segment_size 0
		.amdhsa_wavefront_size32 1
		.amdhsa_uses_dynamic_stack 0
		.amdhsa_enable_private_segment 0
		.amdhsa_system_sgpr_workgroup_id_x 1
		.amdhsa_system_sgpr_workgroup_id_y 0
		.amdhsa_system_sgpr_workgroup_id_z 0
		.amdhsa_system_sgpr_workgroup_info 0
		.amdhsa_system_vgpr_workitem_id 2
		.amdhsa_next_free_vgpr 26
		.amdhsa_next_free_sgpr 18
		.amdhsa_reserve_vcc 1
		.amdhsa_float_round_mode_32 0
		.amdhsa_float_round_mode_16_64 0
		.amdhsa_float_denorm_mode_32 3
		.amdhsa_float_denorm_mode_16_64 3
		.amdhsa_dx10_clamp 1
		.amdhsa_ieee_mode 1
		.amdhsa_fp16_overflow 0
		.amdhsa_workgroup_processor_mode 1
		.amdhsa_memory_ordered 1
		.amdhsa_forward_progress 0
		.amdhsa_shared_vgpr_count 0
		.amdhsa_exception_fp_ieee_invalid_op 0
		.amdhsa_exception_fp_denorm_src 0
		.amdhsa_exception_fp_ieee_div_zero 0
		.amdhsa_exception_fp_ieee_overflow 0
		.amdhsa_exception_fp_ieee_underflow 0
		.amdhsa_exception_fp_ieee_inexact 0
		.amdhsa_exception_int_div_zero 0
	.end_amdhsa_kernel
	.section	.text._ZN9rocsparseL20bsrxmvn_17_32_kernelILj18E21rocsparse_complex_numIdEiidS2_S2_EEvT2_20rocsparse_direction_NS_24const_host_device_scalarIT0_EES3_PKS3_PKT1_SC_S9_PKT3_PKT4_S7_PT5_21rocsparse_index_base_b,"axG",@progbits,_ZN9rocsparseL20bsrxmvn_17_32_kernelILj18E21rocsparse_complex_numIdEiidS2_S2_EEvT2_20rocsparse_direction_NS_24const_host_device_scalarIT0_EES3_PKS3_PKT1_SC_S9_PKT3_PKT4_S7_PT5_21rocsparse_index_base_b,comdat
.Lfunc_end433:
	.size	_ZN9rocsparseL20bsrxmvn_17_32_kernelILj18E21rocsparse_complex_numIdEiidS2_S2_EEvT2_20rocsparse_direction_NS_24const_host_device_scalarIT0_EES3_PKS3_PKT1_SC_S9_PKT3_PKT4_S7_PT5_21rocsparse_index_base_b, .Lfunc_end433-_ZN9rocsparseL20bsrxmvn_17_32_kernelILj18E21rocsparse_complex_numIdEiidS2_S2_EEvT2_20rocsparse_direction_NS_24const_host_device_scalarIT0_EES3_PKS3_PKT1_SC_S9_PKT3_PKT4_S7_PT5_21rocsparse_index_base_b
                                        ; -- End function
	.section	.AMDGPU.csdata,"",@progbits
; Kernel info:
; codeLenInByte = 2060
; NumSgprs: 20
; NumVgprs: 26
; ScratchSize: 0
; MemoryBound: 0
; FloatMode: 240
; IeeeMode: 1
; LDSByteSize: 10368 bytes/workgroup (compile time only)
; SGPRBlocks: 2
; VGPRBlocks: 3
; NumSGPRsForWavesPerEU: 20
; NumVGPRsForWavesPerEU: 26
; Occupancy: 14
; WaveLimiterHint : 1
; COMPUTE_PGM_RSRC2:SCRATCH_EN: 0
; COMPUTE_PGM_RSRC2:USER_SGPR: 15
; COMPUTE_PGM_RSRC2:TRAP_HANDLER: 0
; COMPUTE_PGM_RSRC2:TGID_X_EN: 1
; COMPUTE_PGM_RSRC2:TGID_Y_EN: 0
; COMPUTE_PGM_RSRC2:TGID_Z_EN: 0
; COMPUTE_PGM_RSRC2:TIDIG_COMP_CNT: 2
	.section	.text._ZN9rocsparseL20bsrxmvn_17_32_kernelILj19E21rocsparse_complex_numIdEiidS2_S2_EEvT2_20rocsparse_direction_NS_24const_host_device_scalarIT0_EES3_PKS3_PKT1_SC_S9_PKT3_PKT4_S7_PT5_21rocsparse_index_base_b,"axG",@progbits,_ZN9rocsparseL20bsrxmvn_17_32_kernelILj19E21rocsparse_complex_numIdEiidS2_S2_EEvT2_20rocsparse_direction_NS_24const_host_device_scalarIT0_EES3_PKS3_PKT1_SC_S9_PKT3_PKT4_S7_PT5_21rocsparse_index_base_b,comdat
	.globl	_ZN9rocsparseL20bsrxmvn_17_32_kernelILj19E21rocsparse_complex_numIdEiidS2_S2_EEvT2_20rocsparse_direction_NS_24const_host_device_scalarIT0_EES3_PKS3_PKT1_SC_S9_PKT3_PKT4_S7_PT5_21rocsparse_index_base_b ; -- Begin function _ZN9rocsparseL20bsrxmvn_17_32_kernelILj19E21rocsparse_complex_numIdEiidS2_S2_EEvT2_20rocsparse_direction_NS_24const_host_device_scalarIT0_EES3_PKS3_PKT1_SC_S9_PKT3_PKT4_S7_PT5_21rocsparse_index_base_b
	.p2align	8
	.type	_ZN9rocsparseL20bsrxmvn_17_32_kernelILj19E21rocsparse_complex_numIdEiidS2_S2_EEvT2_20rocsparse_direction_NS_24const_host_device_scalarIT0_EES3_PKS3_PKT1_SC_S9_PKT3_PKT4_S7_PT5_21rocsparse_index_base_b,@function
_ZN9rocsparseL20bsrxmvn_17_32_kernelILj19E21rocsparse_complex_numIdEiidS2_S2_EEvT2_20rocsparse_direction_NS_24const_host_device_scalarIT0_EES3_PKS3_PKT1_SC_S9_PKT3_PKT4_S7_PT5_21rocsparse_index_base_b: ; @_ZN9rocsparseL20bsrxmvn_17_32_kernelILj19E21rocsparse_complex_numIdEiidS2_S2_EEvT2_20rocsparse_direction_NS_24const_host_device_scalarIT0_EES3_PKS3_PKT1_SC_S9_PKT3_PKT4_S7_PT5_21rocsparse_index_base_b
; %bb.0:
	s_mov_b32 s12, s15
	s_clause 0x1
	s_load_b64 s[14:15], s[2:3], 0x68
	s_load_b128 s[4:7], s[2:3], 0x8
	s_load_b64 s[16:17], s[0:1], 0x4
	s_mov_b64 s[0:1], src_shared_base
	v_and_b32_e32 v4, 0x3ff, v0
	s_load_b128 s[8:11], s[2:3], 0x50
	v_bfe_u32 v2, v0, 10, 10
	v_bfe_u32 v0, v0, 20, 10
	s_waitcnt lgkmcnt(0)
	s_bitcmp1_b32 s15, 0
	v_mov_b32_e32 v12, s7
	s_cselect_b32 s0, -1, 0
	v_mov_b32_e32 v11, s6
	s_and_b32 vcc_lo, s0, exec_lo
	s_cselect_b32 s13, s1, s5
	s_lshr_b32 s15, s16, 16
	v_mov_b32_e32 v6, s13
	s_mul_i32 s15, s15, s17
	s_xor_b32 s6, s0, -1
	v_mul_lo_u32 v1, s15, v4
	s_delay_alu instid0(VALU_DEP_1) | instskip(SKIP_1) | instid1(VALU_DEP_2)
	v_mad_u32_u24 v1, v2, s17, v1
	v_dual_mov_b32 v2, s8 :: v_dual_mov_b32 v3, s9
	v_add_lshl_u32 v7, v1, v0, 3
	v_dual_mov_b32 v0, s4 :: v_dual_mov_b32 v1, s5
	ds_store_b64 v7, v[0:1] offset:8664
	ds_store_b64 v7, v[2:3] offset:5776
	v_add_nc_u32_e32 v5, 0x21d8, v7
	v_add_nc_u32_e32 v0, 0x1690, v7
	s_delay_alu instid0(VALU_DEP_2)
	v_cndmask_b32_e64 v5, s4, v5, s0
	flat_load_b64 v[9:10], v[5:6]
	s_cbranch_vccnz .LBB434_2
; %bb.1:
	v_dual_mov_b32 v1, s4 :: v_dual_mov_b32 v2, s5
	flat_load_b64 v[11:12], v[1:2] offset:8
.LBB434_2:
	s_and_b32 s4, s0, exec_lo
	s_cselect_b32 s1, s1, s9
	v_cndmask_b32_e64 v0, s8, v0, s0
	v_mov_b32_e32 v1, s1
	v_dual_mov_b32 v7, s10 :: v_dual_mov_b32 v8, s11
	s_and_not1_b32 vcc_lo, exec_lo, s6
	flat_load_b64 v[5:6], v[0:1]
	s_cbranch_vccnz .LBB434_4
; %bb.3:
	v_dual_mov_b32 v0, s8 :: v_dual_mov_b32 v1, s9
	flat_load_b64 v[7:8], v[0:1] offset:8
.LBB434_4:
	s_waitcnt vmcnt(1) lgkmcnt(1)
	v_cmp_eq_f64_e32 vcc_lo, 0, v[9:10]
	v_cmp_eq_f64_e64 s0, 0, v[11:12]
	s_delay_alu instid0(VALU_DEP_1)
	s_and_b32 s4, vcc_lo, s0
	s_mov_b32 s0, -1
	s_and_saveexec_b32 s1, s4
	s_cbranch_execz .LBB434_6
; %bb.5:
	s_waitcnt vmcnt(0) lgkmcnt(0)
	v_cmp_neq_f64_e32 vcc_lo, 1.0, v[5:6]
	v_cmp_neq_f64_e64 s0, 0, v[7:8]
	s_delay_alu instid0(VALU_DEP_1) | instskip(NEXT) | instid1(SALU_CYCLE_1)
	s_or_b32 s0, vcc_lo, s0
	s_or_not1_b32 s0, s0, exec_lo
.LBB434_6:
	s_or_b32 exec_lo, exec_lo, s1
	s_and_saveexec_b32 s1, s0
	s_cbranch_execz .LBB434_43
; %bb.7:
	s_clause 0x1
	s_load_b128 s[4:7], s[2:3], 0x20
	s_load_b64 s[0:1], s[2:3], 0x30
	s_waitcnt lgkmcnt(0)
	s_cmp_eq_u64 s[4:5], 0
	s_cbranch_scc1 .LBB434_9
; %bb.8:
	s_ashr_i32 s13, s12, 31
	s_delay_alu instid0(SALU_CYCLE_1) | instskip(NEXT) | instid1(SALU_CYCLE_1)
	s_lshl_b64 s[8:9], s[12:13], 2
	s_add_u32 s4, s4, s8
	s_addc_u32 s5, s5, s9
	s_load_b32 s4, s[4:5], 0x0
	s_waitcnt lgkmcnt(0)
	s_sub_i32 s12, s4, s14
.LBB434_9:
	s_load_b32 s4, s[2:3], 0x4
	v_mul_u32_u24_e32 v0, 0xd7a, v4
	v_mov_b32_e32 v2, 0
	v_mov_b32_e32 v3, 0
	s_delay_alu instid0(VALU_DEP_3) | instskip(NEXT) | instid1(VALU_DEP_1)
	v_lshrrev_b32_e32 v13, 16, v0
	v_mul_lo_u16 v0, v13, 19
	s_delay_alu instid0(VALU_DEP_1) | instskip(NEXT) | instid1(VALU_DEP_4)
	v_sub_nc_u16 v18, v4, v0
	v_dual_mov_b32 v0, v2 :: v_dual_mov_b32 v1, v3
	s_waitcnt lgkmcnt(0)
	s_cmp_eq_u32 s4, 1
	s_cselect_b32 vcc_lo, -1, 0
	s_cmp_lg_u32 s4, 1
	s_cselect_b32 s10, -1, 0
	s_ashr_i32 s13, s12, 31
	s_delay_alu instid0(SALU_CYCLE_1) | instskip(NEXT) | instid1(SALU_CYCLE_1)
	s_lshl_b64 s[4:5], s[12:13], 2
	s_add_u32 s6, s6, s4
	s_addc_u32 s7, s7, s5
	s_add_u32 s8, s6, 4
	s_addc_u32 s9, s7, 0
	;; [unrolled: 2-line block ×3, first 2 shown]
	s_cmp_eq_u64 s[0:1], 0
	s_cselect_b32 s1, s9, s5
	s_cselect_b32 s0, s8, s4
	s_load_b32 s11, s[6:7], 0x0
	s_load_b32 s13, s[0:1], 0x0
	s_load_b64 s[8:9], s[2:3], 0x60
	s_waitcnt lgkmcnt(0)
	s_cmp_ge_i32 s11, s13
	s_cbranch_scc1 .LBB434_14
; %bb.10:
	v_mul_lo_u16 v0, v13, 14
	s_clause 0x1
	s_load_b128 s[4:7], s[2:3], 0x38
	s_load_b64 s[0:1], s[2:3], 0x48
	v_dual_mov_b32 v2, 0 :: v_dual_and_b32 v1, 0xffff, v4
	v_lshrrev_b16 v0, 8, v0
	s_sub_i32 s3, s11, s14
	v_dual_mov_b32 v3, 0 :: v_dual_lshlrev_b32 v14, 3, v4
	s_sub_i32 s2, s13, s14
	s_delay_alu instid0(VALU_DEP_2)
	v_mul_lo_u16 v0, v0, 19
	v_and_b32_e32 v15, 0xffff, v18
	v_mul_u32_u24_e32 v1, 0xb6, v1
	s_mul_i32 s13, s3, 0xb48
	s_mul_hi_i32 s11, s3, 0xb48
	v_sub_nc_u16 v0, v13, v0
	s_delay_alu instid0(VALU_DEP_2) | instskip(NEXT) | instid1(VALU_DEP_2)
	v_lshrrev_b32_e32 v19, 16, v1
	v_and_b32_e32 v0, 0xff, v0
	s_waitcnt lgkmcnt(0)
	s_add_u32 s6, s6, s13
	s_addc_u32 s7, s7, s11
	v_add_co_u32 v13, s6, s6, v14
	v_dual_cndmask_b32 v15, v15, v0 :: v_dual_mov_b32 v0, v2
	v_mov_b32_e32 v1, v3
	v_add_co_ci_u32_e64 v14, null, s7, 0, s6
	s_set_inst_prefetch_distance 0x1
	s_branch .LBB434_12
	.p2align	6
.LBB434_11:                             ;   in Loop: Header=BB434_12 Depth=1
	s_or_b32 exec_lo, exec_lo, s6
	s_add_i32 s3, s3, 1
	s_delay_alu instid0(SALU_CYCLE_1)
	s_cmp_lt_i32 s3, s2
	s_cbranch_scc0 .LBB434_14
.LBB434_12:                             ; =>This Inner Loop Header: Depth=1
	v_add_nc_u32_e32 v16, s3, v19
	s_mov_b32 s6, exec_lo
	s_delay_alu instid0(VALU_DEP_1)
	v_cmpx_gt_i32_e64 s2, v16
	s_cbranch_execz .LBB434_11
; %bb.13:                               ;   in Loop: Header=BB434_12 Depth=1
	v_ashrrev_i32_e32 v17, 31, v16
	s_delay_alu instid0(VALU_DEP_1) | instskip(NEXT) | instid1(VALU_DEP_1)
	v_lshlrev_b64 v[16:17], 2, v[16:17]
	v_add_co_u32 v16, vcc_lo, s4, v16
	s_delay_alu instid0(VALU_DEP_2) | instskip(SKIP_3) | instid1(VALU_DEP_1)
	v_add_co_ci_u32_e32 v17, vcc_lo, s5, v17, vcc_lo
	global_load_b32 v16, v[16:17], off
	s_waitcnt vmcnt(0)
	v_subrev_nc_u32_e32 v20, s14, v16
	v_mad_u64_u32 v[16:17], null, v20, 19, v[15:16]
	s_delay_alu instid0(VALU_DEP_1) | instskip(NEXT) | instid1(VALU_DEP_1)
	v_ashrrev_i32_e32 v17, 31, v16
	v_lshlrev_b64 v[16:17], 4, v[16:17]
	s_delay_alu instid0(VALU_DEP_1) | instskip(NEXT) | instid1(VALU_DEP_2)
	v_add_co_u32 v16, vcc_lo, s0, v16
	v_add_co_ci_u32_e32 v17, vcc_lo, s1, v17, vcc_lo
	global_load_b64 v[24:25], v[13:14], off
	global_load_b128 v[20:23], v[16:17], off
	v_add_co_u32 v13, vcc_lo, 0xb48, v13
	v_add_co_ci_u32_e32 v14, vcc_lo, 0, v14, vcc_lo
	s_waitcnt vmcnt(0)
	v_fma_f64 v[0:1], v[24:25], v[20:21], v[0:1]
	v_fma_f64 v[2:3], v[20:21], 0, v[2:3]
	s_delay_alu instid0(VALU_DEP_2) | instskip(NEXT) | instid1(VALU_DEP_2)
	v_fma_f64 v[0:1], 0x80000000, v[22:23], v[0:1]
	v_fma_f64 v[2:3], v[24:25], v[22:23], v[2:3]
	s_branch .LBB434_11
.LBB434_14:
	s_set_inst_prefetch_distance 0x2
	v_lshlrev_b32_e32 v17, 4, v4
	s_and_b32 vcc_lo, exec_lo, s10
	ds_store_b128 v17, v[0:3]
	s_waitcnt vmcnt(0) lgkmcnt(0)
	s_barrier
	buffer_gl0_inv
	s_cbranch_vccz .LBB434_26
; %bb.15:
	s_mov_b32 s0, exec_lo
	v_cmpx_gt_u16_e32 3, v18
	s_cbranch_execz .LBB434_17
; %bb.16:
	ds_load_b128 v[13:16], v17 offset:256
	ds_load_b128 v[19:22], v17
	s_waitcnt lgkmcnt(0)
	v_add_f64 v[13:14], v[13:14], v[19:20]
	v_add_f64 v[15:16], v[15:16], v[21:22]
	ds_store_b128 v17, v[13:16]
.LBB434_17:
	s_or_b32 exec_lo, exec_lo, s0
	s_delay_alu instid0(SALU_CYCLE_1)
	s_mov_b32 s0, exec_lo
	s_waitcnt lgkmcnt(0)
	s_barrier
	buffer_gl0_inv
	v_cmpx_gt_u16_e32 8, v18
	s_cbranch_execz .LBB434_19
; %bb.18:
	ds_load_b128 v[13:16], v17 offset:128
	ds_load_b128 v[19:22], v17
	s_waitcnt lgkmcnt(0)
	v_add_f64 v[13:14], v[13:14], v[19:20]
	v_add_f64 v[15:16], v[15:16], v[21:22]
	ds_store_b128 v17, v[13:16]
.LBB434_19:
	s_or_b32 exec_lo, exec_lo, s0
	s_delay_alu instid0(SALU_CYCLE_1)
	s_mov_b32 s0, exec_lo
	s_waitcnt lgkmcnt(0)
	s_barrier
	buffer_gl0_inv
	;; [unrolled: 16-line block ×3, first 2 shown]
	v_cmpx_gt_u16_e32 2, v18
	s_cbranch_execz .LBB434_23
; %bb.22:
	ds_load_b128 v[13:16], v17
	ds_load_b128 v[18:21], v17 offset:32
	s_waitcnt lgkmcnt(0)
	v_add_f64 v[13:14], v[18:19], v[13:14]
	v_add_f64 v[15:16], v[20:21], v[15:16]
	ds_store_b128 v17, v[13:16]
.LBB434_23:
	s_or_b32 exec_lo, exec_lo, s0
	v_dual_mov_b32 v16, v3 :: v_dual_mov_b32 v15, v2
	v_dual_mov_b32 v14, v1 :: v_dual_mov_b32 v13, v0
	s_mov_b32 s0, exec_lo
	s_waitcnt lgkmcnt(0)
	s_barrier
	buffer_gl0_inv
	v_cmpx_gt_u32_e32 19, v4
	s_cbranch_execz .LBB434_25
; %bb.24:
	v_mul_u32_u24_e32 v13, 19, v4
	s_delay_alu instid0(VALU_DEP_1)
	v_lshlrev_b32_e32 v18, 4, v13
	ds_load_b128 v[13:16], v18
	ds_load_b128 v[18:21], v18 offset:16
	s_waitcnt lgkmcnt(0)
	v_add_f64 v[13:14], v[18:19], v[13:14]
	v_add_f64 v[15:16], v[20:21], v[15:16]
.LBB434_25:
	s_or_b32 exec_lo, exec_lo, s0
	s_branch .LBB434_38
.LBB434_26:
                                        ; implicit-def: $vgpr15_vgpr16
                                        ; implicit-def: $vgpr13_vgpr14
	s_cbranch_execz .LBB434_38
; %bb.27:
	s_mov_b32 s0, exec_lo
	v_cmpx_gt_u32_e32 57, v4
	s_cbranch_execz .LBB434_29
; %bb.28:
	ds_load_b128 v[13:16], v17 offset:4864
	ds_load_b128 v[18:21], v17
	s_waitcnt lgkmcnt(0)
	v_add_f64 v[13:14], v[13:14], v[18:19]
	v_add_f64 v[15:16], v[15:16], v[20:21]
	ds_store_b128 v17, v[13:16]
.LBB434_29:
	s_or_b32 exec_lo, exec_lo, s0
	s_delay_alu instid0(SALU_CYCLE_1)
	s_mov_b32 s0, exec_lo
	s_waitcnt lgkmcnt(0)
	s_barrier
	buffer_gl0_inv
	v_cmpx_gt_u32_e32 0x98, v4
	s_cbranch_execz .LBB434_31
; %bb.30:
	ds_load_b128 v[13:16], v17 offset:2432
	ds_load_b128 v[18:21], v17
	s_waitcnt lgkmcnt(0)
	v_add_f64 v[13:14], v[13:14], v[18:19]
	v_add_f64 v[15:16], v[15:16], v[20:21]
	ds_store_b128 v17, v[13:16]
.LBB434_31:
	s_or_b32 exec_lo, exec_lo, s0
	s_delay_alu instid0(SALU_CYCLE_1)
	s_mov_b32 s0, exec_lo
	s_waitcnt lgkmcnt(0)
	s_barrier
	buffer_gl0_inv
	;; [unrolled: 16-line block ×3, first 2 shown]
	v_cmpx_gt_u32_e32 38, v4
	s_cbranch_execz .LBB434_35
; %bb.34:
	ds_load_b128 v[13:16], v17 offset:608
	ds_load_b128 v[18:21], v17
	s_waitcnt lgkmcnt(0)
	v_add_f64 v[13:14], v[13:14], v[18:19]
	v_add_f64 v[15:16], v[15:16], v[20:21]
	ds_store_b128 v17, v[13:16]
.LBB434_35:
	s_or_b32 exec_lo, exec_lo, s0
	s_delay_alu instid0(SALU_CYCLE_1)
	s_mov_b32 s0, exec_lo
	s_waitcnt lgkmcnt(0)
	buffer_gl0_inv
	v_cmpx_gt_u32_e32 19, v4
	s_cbranch_execz .LBB434_37
; %bb.36:
	ds_load_b128 v[0:3], v17 offset:304
	ds_load_b128 v[13:16], v17
	s_waitcnt lgkmcnt(0)
	v_add_f64 v[0:1], v[0:1], v[13:14]
	v_add_f64 v[2:3], v[2:3], v[15:16]
.LBB434_37:
	s_or_b32 exec_lo, exec_lo, s0
	s_delay_alu instid0(VALU_DEP_1) | instskip(NEXT) | instid1(VALU_DEP_3)
	v_dual_mov_b32 v16, v3 :: v_dual_mov_b32 v15, v2
	v_dual_mov_b32 v14, v1 :: v_dual_mov_b32 v13, v0
.LBB434_38:
	v_cmp_gt_u32_e32 vcc_lo, 19, v4
	s_and_b32 exec_lo, exec_lo, vcc_lo
	s_cbranch_execz .LBB434_43
; %bb.39:
	s_delay_alu instid0(VALU_DEP_2) | instskip(SKIP_3) | instid1(VALU_DEP_4)
	v_mul_f64 v[0:1], v[15:16], -v[11:12]
	v_mul_f64 v[2:3], v[9:10], v[15:16]
	v_cmp_eq_f64_e32 vcc_lo, 0, v[5:6]
	v_cmp_eq_f64_e64 s0, 0, v[7:8]
	v_fma_f64 v[0:1], v[9:10], v[13:14], v[0:1]
	s_delay_alu instid0(VALU_DEP_4) | instskip(NEXT) | instid1(VALU_DEP_3)
	v_fma_f64 v[2:3], v[11:12], v[13:14], v[2:3]
	s_and_b32 s0, vcc_lo, s0
	s_delay_alu instid0(SALU_CYCLE_1) | instskip(NEXT) | instid1(SALU_CYCLE_1)
	s_and_saveexec_b32 s1, s0
	s_xor_b32 s0, exec_lo, s1
	s_cbranch_execz .LBB434_41
; %bb.40:
	v_mad_u64_u32 v[5:6], null, s12, 19, v[4:5]
	v_mov_b32_e32 v6, 0
                                        ; implicit-def: $vgpr7_vgpr8
	s_delay_alu instid0(VALU_DEP_1) | instskip(NEXT) | instid1(VALU_DEP_1)
	v_lshlrev_b64 v[4:5], 4, v[5:6]
	v_add_co_u32 v4, vcc_lo, s8, v4
	s_delay_alu instid0(VALU_DEP_2)
	v_add_co_ci_u32_e32 v5, vcc_lo, s9, v5, vcc_lo
	global_store_b128 v[4:5], v[0:3], off
                                        ; implicit-def: $vgpr4
                                        ; implicit-def: $vgpr5_vgpr6
                                        ; implicit-def: $vgpr0_vgpr1
.LBB434_41:
	s_and_not1_saveexec_b32 s0, s0
	s_cbranch_execz .LBB434_43
; %bb.42:
	v_mad_u64_u32 v[9:10], null, s12, 19, v[4:5]
	v_mov_b32_e32 v10, 0
	s_delay_alu instid0(VALU_DEP_1) | instskip(NEXT) | instid1(VALU_DEP_1)
	v_lshlrev_b64 v[9:10], 4, v[9:10]
	v_add_co_u32 v13, vcc_lo, s8, v9
	s_delay_alu instid0(VALU_DEP_2) | instskip(SKIP_4) | instid1(VALU_DEP_2)
	v_add_co_ci_u32_e32 v14, vcc_lo, s9, v10, vcc_lo
	global_load_b128 v[9:12], v[13:14], off
	s_waitcnt vmcnt(0)
	v_fma_f64 v[0:1], v[5:6], v[9:10], v[0:1]
	v_fma_f64 v[2:3], v[7:8], v[9:10], v[2:3]
	v_fma_f64 v[0:1], -v[7:8], v[11:12], v[0:1]
	s_delay_alu instid0(VALU_DEP_2)
	v_fma_f64 v[2:3], v[5:6], v[11:12], v[2:3]
	global_store_b128 v[13:14], v[0:3], off
.LBB434_43:
	s_nop 0
	s_sendmsg sendmsg(MSG_DEALLOC_VGPRS)
	s_endpgm
	.section	.rodata,"a",@progbits
	.p2align	6, 0x0
	.amdhsa_kernel _ZN9rocsparseL20bsrxmvn_17_32_kernelILj19E21rocsparse_complex_numIdEiidS2_S2_EEvT2_20rocsparse_direction_NS_24const_host_device_scalarIT0_EES3_PKS3_PKT1_SC_S9_PKT3_PKT4_S7_PT5_21rocsparse_index_base_b
		.amdhsa_group_segment_fixed_size 11552
		.amdhsa_private_segment_fixed_size 0
		.amdhsa_kernarg_size 112
		.amdhsa_user_sgpr_count 15
		.amdhsa_user_sgpr_dispatch_ptr 1
		.amdhsa_user_sgpr_queue_ptr 0
		.amdhsa_user_sgpr_kernarg_segment_ptr 1
		.amdhsa_user_sgpr_dispatch_id 0
		.amdhsa_user_sgpr_private_segment_size 0
		.amdhsa_wavefront_size32 1
		.amdhsa_uses_dynamic_stack 0
		.amdhsa_enable_private_segment 0
		.amdhsa_system_sgpr_workgroup_id_x 1
		.amdhsa_system_sgpr_workgroup_id_y 0
		.amdhsa_system_sgpr_workgroup_id_z 0
		.amdhsa_system_sgpr_workgroup_info 0
		.amdhsa_system_vgpr_workitem_id 2
		.amdhsa_next_free_vgpr 26
		.amdhsa_next_free_sgpr 18
		.amdhsa_reserve_vcc 1
		.amdhsa_float_round_mode_32 0
		.amdhsa_float_round_mode_16_64 0
		.amdhsa_float_denorm_mode_32 3
		.amdhsa_float_denorm_mode_16_64 3
		.amdhsa_dx10_clamp 1
		.amdhsa_ieee_mode 1
		.amdhsa_fp16_overflow 0
		.amdhsa_workgroup_processor_mode 1
		.amdhsa_memory_ordered 1
		.amdhsa_forward_progress 0
		.amdhsa_shared_vgpr_count 0
		.amdhsa_exception_fp_ieee_invalid_op 0
		.amdhsa_exception_fp_denorm_src 0
		.amdhsa_exception_fp_ieee_div_zero 0
		.amdhsa_exception_fp_ieee_overflow 0
		.amdhsa_exception_fp_ieee_underflow 0
		.amdhsa_exception_fp_ieee_inexact 0
		.amdhsa_exception_int_div_zero 0
	.end_amdhsa_kernel
	.section	.text._ZN9rocsparseL20bsrxmvn_17_32_kernelILj19E21rocsparse_complex_numIdEiidS2_S2_EEvT2_20rocsparse_direction_NS_24const_host_device_scalarIT0_EES3_PKS3_PKT1_SC_S9_PKT3_PKT4_S7_PT5_21rocsparse_index_base_b,"axG",@progbits,_ZN9rocsparseL20bsrxmvn_17_32_kernelILj19E21rocsparse_complex_numIdEiidS2_S2_EEvT2_20rocsparse_direction_NS_24const_host_device_scalarIT0_EES3_PKS3_PKT1_SC_S9_PKT3_PKT4_S7_PT5_21rocsparse_index_base_b,comdat
.Lfunc_end434:
	.size	_ZN9rocsparseL20bsrxmvn_17_32_kernelILj19E21rocsparse_complex_numIdEiidS2_S2_EEvT2_20rocsparse_direction_NS_24const_host_device_scalarIT0_EES3_PKS3_PKT1_SC_S9_PKT3_PKT4_S7_PT5_21rocsparse_index_base_b, .Lfunc_end434-_ZN9rocsparseL20bsrxmvn_17_32_kernelILj19E21rocsparse_complex_numIdEiidS2_S2_EEvT2_20rocsparse_direction_NS_24const_host_device_scalarIT0_EES3_PKS3_PKT1_SC_S9_PKT3_PKT4_S7_PT5_21rocsparse_index_base_b
                                        ; -- End function
	.section	.AMDGPU.csdata,"",@progbits
; Kernel info:
; codeLenInByte = 2076
; NumSgprs: 20
; NumVgprs: 26
; ScratchSize: 0
; MemoryBound: 0
; FloatMode: 240
; IeeeMode: 1
; LDSByteSize: 11552 bytes/workgroup (compile time only)
; SGPRBlocks: 2
; VGPRBlocks: 3
; NumSGPRsForWavesPerEU: 20
; NumVGPRsForWavesPerEU: 26
; Occupancy: 15
; WaveLimiterHint : 1
; COMPUTE_PGM_RSRC2:SCRATCH_EN: 0
; COMPUTE_PGM_RSRC2:USER_SGPR: 15
; COMPUTE_PGM_RSRC2:TRAP_HANDLER: 0
; COMPUTE_PGM_RSRC2:TGID_X_EN: 1
; COMPUTE_PGM_RSRC2:TGID_Y_EN: 0
; COMPUTE_PGM_RSRC2:TGID_Z_EN: 0
; COMPUTE_PGM_RSRC2:TIDIG_COMP_CNT: 2
	.section	.text._ZN9rocsparseL20bsrxmvn_17_32_kernelILj20E21rocsparse_complex_numIdEiidS2_S2_EEvT2_20rocsparse_direction_NS_24const_host_device_scalarIT0_EES3_PKS3_PKT1_SC_S9_PKT3_PKT4_S7_PT5_21rocsparse_index_base_b,"axG",@progbits,_ZN9rocsparseL20bsrxmvn_17_32_kernelILj20E21rocsparse_complex_numIdEiidS2_S2_EEvT2_20rocsparse_direction_NS_24const_host_device_scalarIT0_EES3_PKS3_PKT1_SC_S9_PKT3_PKT4_S7_PT5_21rocsparse_index_base_b,comdat
	.globl	_ZN9rocsparseL20bsrxmvn_17_32_kernelILj20E21rocsparse_complex_numIdEiidS2_S2_EEvT2_20rocsparse_direction_NS_24const_host_device_scalarIT0_EES3_PKS3_PKT1_SC_S9_PKT3_PKT4_S7_PT5_21rocsparse_index_base_b ; -- Begin function _ZN9rocsparseL20bsrxmvn_17_32_kernelILj20E21rocsparse_complex_numIdEiidS2_S2_EEvT2_20rocsparse_direction_NS_24const_host_device_scalarIT0_EES3_PKS3_PKT1_SC_S9_PKT3_PKT4_S7_PT5_21rocsparse_index_base_b
	.p2align	8
	.type	_ZN9rocsparseL20bsrxmvn_17_32_kernelILj20E21rocsparse_complex_numIdEiidS2_S2_EEvT2_20rocsparse_direction_NS_24const_host_device_scalarIT0_EES3_PKS3_PKT1_SC_S9_PKT3_PKT4_S7_PT5_21rocsparse_index_base_b,@function
_ZN9rocsparseL20bsrxmvn_17_32_kernelILj20E21rocsparse_complex_numIdEiidS2_S2_EEvT2_20rocsparse_direction_NS_24const_host_device_scalarIT0_EES3_PKS3_PKT1_SC_S9_PKT3_PKT4_S7_PT5_21rocsparse_index_base_b: ; @_ZN9rocsparseL20bsrxmvn_17_32_kernelILj20E21rocsparse_complex_numIdEiidS2_S2_EEvT2_20rocsparse_direction_NS_24const_host_device_scalarIT0_EES3_PKS3_PKT1_SC_S9_PKT3_PKT4_S7_PT5_21rocsparse_index_base_b
; %bb.0:
	s_mov_b32 s12, s15
	s_clause 0x1
	s_load_b64 s[14:15], s[2:3], 0x68
	s_load_b128 s[4:7], s[2:3], 0x8
	s_load_b64 s[16:17], s[0:1], 0x4
	s_mov_b64 s[0:1], src_shared_base
	v_and_b32_e32 v4, 0x3ff, v0
	s_load_b128 s[8:11], s[2:3], 0x50
	v_bfe_u32 v2, v0, 10, 10
	v_bfe_u32 v0, v0, 20, 10
	s_waitcnt lgkmcnt(0)
	s_bitcmp1_b32 s15, 0
	v_mov_b32_e32 v12, s7
	s_cselect_b32 s0, -1, 0
	v_mov_b32_e32 v11, s6
	s_and_b32 vcc_lo, s0, exec_lo
	s_cselect_b32 s13, s1, s5
	s_lshr_b32 s15, s16, 16
	v_mov_b32_e32 v6, s13
	s_mul_i32 s15, s15, s17
	s_xor_b32 s6, s0, -1
	v_mul_lo_u32 v1, s15, v4
	s_delay_alu instid0(VALU_DEP_1) | instskip(SKIP_1) | instid1(VALU_DEP_2)
	v_mad_u32_u24 v1, v2, s17, v1
	v_dual_mov_b32 v2, s8 :: v_dual_mov_b32 v3, s9
	v_add_lshl_u32 v7, v1, v0, 3
	v_dual_mov_b32 v0, s4 :: v_dual_mov_b32 v1, s5
	ds_store_b64 v7, v[0:1] offset:9600
	ds_store_b64 v7, v[2:3] offset:6400
	v_add_nc_u32_e32 v5, 0x2580, v7
	v_add_nc_u32_e32 v0, 0x1900, v7
	s_delay_alu instid0(VALU_DEP_2)
	v_cndmask_b32_e64 v5, s4, v5, s0
	flat_load_b64 v[9:10], v[5:6]
	s_cbranch_vccnz .LBB435_2
; %bb.1:
	v_dual_mov_b32 v1, s4 :: v_dual_mov_b32 v2, s5
	flat_load_b64 v[11:12], v[1:2] offset:8
.LBB435_2:
	s_and_b32 s4, s0, exec_lo
	s_cselect_b32 s1, s1, s9
	v_cndmask_b32_e64 v0, s8, v0, s0
	v_mov_b32_e32 v1, s1
	v_dual_mov_b32 v7, s10 :: v_dual_mov_b32 v8, s11
	s_and_not1_b32 vcc_lo, exec_lo, s6
	flat_load_b64 v[5:6], v[0:1]
	s_cbranch_vccnz .LBB435_4
; %bb.3:
	v_dual_mov_b32 v0, s8 :: v_dual_mov_b32 v1, s9
	flat_load_b64 v[7:8], v[0:1] offset:8
.LBB435_4:
	s_waitcnt vmcnt(1) lgkmcnt(1)
	v_cmp_eq_f64_e32 vcc_lo, 0, v[9:10]
	v_cmp_eq_f64_e64 s0, 0, v[11:12]
	s_delay_alu instid0(VALU_DEP_1)
	s_and_b32 s4, vcc_lo, s0
	s_mov_b32 s0, -1
	s_and_saveexec_b32 s1, s4
	s_cbranch_execz .LBB435_6
; %bb.5:
	s_waitcnt vmcnt(0) lgkmcnt(0)
	v_cmp_neq_f64_e32 vcc_lo, 1.0, v[5:6]
	v_cmp_neq_f64_e64 s0, 0, v[7:8]
	s_delay_alu instid0(VALU_DEP_1) | instskip(NEXT) | instid1(SALU_CYCLE_1)
	s_or_b32 s0, vcc_lo, s0
	s_or_not1_b32 s0, s0, exec_lo
.LBB435_6:
	s_or_b32 exec_lo, exec_lo, s1
	s_and_saveexec_b32 s1, s0
	s_cbranch_execz .LBB435_43
; %bb.7:
	s_clause 0x1
	s_load_b128 s[4:7], s[2:3], 0x20
	s_load_b64 s[0:1], s[2:3], 0x30
	s_waitcnt lgkmcnt(0)
	s_cmp_eq_u64 s[4:5], 0
	s_cbranch_scc1 .LBB435_9
; %bb.8:
	s_ashr_i32 s13, s12, 31
	s_delay_alu instid0(SALU_CYCLE_1) | instskip(NEXT) | instid1(SALU_CYCLE_1)
	s_lshl_b64 s[8:9], s[12:13], 2
	s_add_u32 s4, s4, s8
	s_addc_u32 s5, s5, s9
	s_load_b32 s4, s[4:5], 0x0
	s_waitcnt lgkmcnt(0)
	s_sub_i32 s12, s4, s14
.LBB435_9:
	s_load_b32 s4, s[2:3], 0x4
	v_mul_u32_u24_e32 v0, 0xccd, v4
	v_mov_b32_e32 v2, 0
	v_mov_b32_e32 v3, 0
	s_delay_alu instid0(VALU_DEP_3) | instskip(NEXT) | instid1(VALU_DEP_1)
	v_lshrrev_b32_e32 v13, 16, v0
	v_mul_lo_u16 v0, v13, 20
	s_delay_alu instid0(VALU_DEP_1) | instskip(NEXT) | instid1(VALU_DEP_4)
	v_sub_nc_u16 v18, v4, v0
	v_dual_mov_b32 v0, v2 :: v_dual_mov_b32 v1, v3
	s_waitcnt lgkmcnt(0)
	s_cmp_eq_u32 s4, 1
	s_cselect_b32 vcc_lo, -1, 0
	s_cmp_lg_u32 s4, 1
	s_cselect_b32 s10, -1, 0
	s_ashr_i32 s13, s12, 31
	s_delay_alu instid0(SALU_CYCLE_1) | instskip(NEXT) | instid1(SALU_CYCLE_1)
	s_lshl_b64 s[4:5], s[12:13], 2
	s_add_u32 s6, s6, s4
	s_addc_u32 s7, s7, s5
	s_add_u32 s8, s6, 4
	s_addc_u32 s9, s7, 0
	;; [unrolled: 2-line block ×3, first 2 shown]
	s_cmp_eq_u64 s[0:1], 0
	s_cselect_b32 s1, s9, s5
	s_cselect_b32 s0, s8, s4
	s_load_b32 s11, s[6:7], 0x0
	s_load_b32 s13, s[0:1], 0x0
	s_load_b64 s[8:9], s[2:3], 0x60
	s_waitcnt lgkmcnt(0)
	s_cmp_ge_i32 s11, s13
	s_cbranch_scc1 .LBB435_14
; %bb.10:
	v_mul_lo_u16 v0, v13, 13
	s_clause 0x1
	s_load_b128 s[4:7], s[2:3], 0x38
	s_load_b64 s[0:1], s[2:3], 0x48
	v_dual_mov_b32 v2, 0 :: v_dual_and_b32 v1, 0xffff, v4
	v_lshrrev_b16 v0, 8, v0
	s_sub_i32 s3, s11, s14
	v_dual_mov_b32 v3, 0 :: v_dual_lshlrev_b32 v14, 3, v4
	s_sub_i32 s2, s13, s14
	s_delay_alu instid0(VALU_DEP_2)
	v_mul_lo_u16 v0, v0, 20
	v_and_b32_e32 v15, 0xffff, v18
	v_mul_u32_u24_e32 v1, 0xa4, v1
	s_mul_i32 s13, s3, 0xc80
	s_mul_hi_i32 s11, s3, 0xc80
	v_sub_nc_u16 v0, v13, v0
	s_delay_alu instid0(VALU_DEP_2) | instskip(NEXT) | instid1(VALU_DEP_2)
	v_lshrrev_b32_e32 v19, 16, v1
	v_and_b32_e32 v0, 0xff, v0
	s_waitcnt lgkmcnt(0)
	s_add_u32 s6, s6, s13
	s_addc_u32 s7, s7, s11
	v_add_co_u32 v13, s6, s6, v14
	v_dual_cndmask_b32 v15, v15, v0 :: v_dual_mov_b32 v0, v2
	v_mov_b32_e32 v1, v3
	v_add_co_ci_u32_e64 v14, null, s7, 0, s6
	s_set_inst_prefetch_distance 0x1
	s_branch .LBB435_12
	.p2align	6
.LBB435_11:                             ;   in Loop: Header=BB435_12 Depth=1
	s_or_b32 exec_lo, exec_lo, s6
	s_add_i32 s3, s3, 1
	s_delay_alu instid0(SALU_CYCLE_1)
	s_cmp_lt_i32 s3, s2
	s_cbranch_scc0 .LBB435_14
.LBB435_12:                             ; =>This Inner Loop Header: Depth=1
	v_add_nc_u32_e32 v16, s3, v19
	s_mov_b32 s6, exec_lo
	s_delay_alu instid0(VALU_DEP_1)
	v_cmpx_gt_i32_e64 s2, v16
	s_cbranch_execz .LBB435_11
; %bb.13:                               ;   in Loop: Header=BB435_12 Depth=1
	v_ashrrev_i32_e32 v17, 31, v16
	s_delay_alu instid0(VALU_DEP_1) | instskip(NEXT) | instid1(VALU_DEP_1)
	v_lshlrev_b64 v[16:17], 2, v[16:17]
	v_add_co_u32 v16, vcc_lo, s4, v16
	s_delay_alu instid0(VALU_DEP_2) | instskip(SKIP_3) | instid1(VALU_DEP_1)
	v_add_co_ci_u32_e32 v17, vcc_lo, s5, v17, vcc_lo
	global_load_b32 v16, v[16:17], off
	s_waitcnt vmcnt(0)
	v_subrev_nc_u32_e32 v20, s14, v16
	v_mad_u64_u32 v[16:17], null, v20, 20, v[15:16]
	s_delay_alu instid0(VALU_DEP_1) | instskip(NEXT) | instid1(VALU_DEP_1)
	v_ashrrev_i32_e32 v17, 31, v16
	v_lshlrev_b64 v[16:17], 4, v[16:17]
	s_delay_alu instid0(VALU_DEP_1) | instskip(NEXT) | instid1(VALU_DEP_2)
	v_add_co_u32 v16, vcc_lo, s0, v16
	v_add_co_ci_u32_e32 v17, vcc_lo, s1, v17, vcc_lo
	global_load_b64 v[24:25], v[13:14], off
	global_load_b128 v[20:23], v[16:17], off
	v_add_co_u32 v13, vcc_lo, 0xc80, v13
	v_add_co_ci_u32_e32 v14, vcc_lo, 0, v14, vcc_lo
	s_waitcnt vmcnt(0)
	v_fma_f64 v[0:1], v[24:25], v[20:21], v[0:1]
	v_fma_f64 v[2:3], v[20:21], 0, v[2:3]
	s_delay_alu instid0(VALU_DEP_2) | instskip(NEXT) | instid1(VALU_DEP_2)
	v_fma_f64 v[0:1], 0x80000000, v[22:23], v[0:1]
	v_fma_f64 v[2:3], v[24:25], v[22:23], v[2:3]
	s_branch .LBB435_11
.LBB435_14:
	s_set_inst_prefetch_distance 0x2
	v_lshlrev_b32_e32 v17, 4, v4
	s_and_b32 vcc_lo, exec_lo, s10
	ds_store_b128 v17, v[0:3]
	s_waitcnt vmcnt(0) lgkmcnt(0)
	s_barrier
	buffer_gl0_inv
	s_cbranch_vccz .LBB435_26
; %bb.15:
	v_cmp_gt_u16_e32 vcc_lo, 4, v18
	s_and_saveexec_b32 s0, vcc_lo
	s_cbranch_execz .LBB435_17
; %bb.16:
	ds_load_b128 v[13:16], v17 offset:256
	ds_load_b128 v[19:22], v17
	s_waitcnt lgkmcnt(0)
	v_add_f64 v[13:14], v[13:14], v[19:20]
	v_add_f64 v[15:16], v[15:16], v[21:22]
	ds_store_b128 v17, v[13:16]
.LBB435_17:
	s_or_b32 exec_lo, exec_lo, s0
	s_delay_alu instid0(SALU_CYCLE_1)
	s_mov_b32 s1, exec_lo
	s_waitcnt lgkmcnt(0)
	s_barrier
	buffer_gl0_inv
	v_cmpx_gt_u16_e32 8, v18
	s_cbranch_execz .LBB435_19
; %bb.18:
	ds_load_b128 v[13:16], v17 offset:128
	ds_load_b128 v[19:22], v17
	s_waitcnt lgkmcnt(0)
	v_add_f64 v[13:14], v[13:14], v[19:20]
	v_add_f64 v[15:16], v[15:16], v[21:22]
	ds_store_b128 v17, v[13:16]
.LBB435_19:
	s_or_b32 exec_lo, exec_lo, s1
	s_waitcnt lgkmcnt(0)
	s_barrier
	buffer_gl0_inv
	s_and_saveexec_b32 s0, vcc_lo
	s_cbranch_execz .LBB435_21
; %bb.20:
	ds_load_b128 v[13:16], v17 offset:64
	ds_load_b128 v[19:22], v17
	s_waitcnt lgkmcnt(0)
	v_add_f64 v[13:14], v[13:14], v[19:20]
	v_add_f64 v[15:16], v[15:16], v[21:22]
	ds_store_b128 v17, v[13:16]
.LBB435_21:
	s_or_b32 exec_lo, exec_lo, s0
	s_delay_alu instid0(SALU_CYCLE_1)
	s_mov_b32 s0, exec_lo
	s_waitcnt lgkmcnt(0)
	s_barrier
	buffer_gl0_inv
	v_cmpx_gt_u16_e32 2, v18
	s_cbranch_execz .LBB435_23
; %bb.22:
	ds_load_b128 v[13:16], v17
	ds_load_b128 v[18:21], v17 offset:32
	s_waitcnt lgkmcnt(0)
	v_add_f64 v[13:14], v[18:19], v[13:14]
	v_add_f64 v[15:16], v[20:21], v[15:16]
	ds_store_b128 v17, v[13:16]
.LBB435_23:
	s_or_b32 exec_lo, exec_lo, s0
	v_dual_mov_b32 v16, v3 :: v_dual_mov_b32 v15, v2
	v_dual_mov_b32 v14, v1 :: v_dual_mov_b32 v13, v0
	s_mov_b32 s0, exec_lo
	s_waitcnt lgkmcnt(0)
	s_barrier
	buffer_gl0_inv
	v_cmpx_gt_u32_e32 20, v4
	s_cbranch_execz .LBB435_25
; %bb.24:
	v_mul_u32_u24_e32 v13, 20, v4
	s_delay_alu instid0(VALU_DEP_1)
	v_lshlrev_b32_e32 v18, 4, v13
	ds_load_b128 v[13:16], v18
	ds_load_b128 v[18:21], v18 offset:16
	s_waitcnt lgkmcnt(0)
	v_add_f64 v[13:14], v[18:19], v[13:14]
	v_add_f64 v[15:16], v[20:21], v[15:16]
.LBB435_25:
	s_or_b32 exec_lo, exec_lo, s0
	s_branch .LBB435_38
.LBB435_26:
                                        ; implicit-def: $vgpr15_vgpr16
                                        ; implicit-def: $vgpr13_vgpr14
	s_cbranch_execz .LBB435_38
; %bb.27:
	v_cmp_gt_u32_e32 vcc_lo, 0x50, v4
	s_and_saveexec_b32 s0, vcc_lo
	s_cbranch_execz .LBB435_29
; %bb.28:
	ds_load_b128 v[13:16], v17 offset:5120
	ds_load_b128 v[18:21], v17
	s_waitcnt lgkmcnt(0)
	v_add_f64 v[13:14], v[13:14], v[18:19]
	v_add_f64 v[15:16], v[15:16], v[20:21]
	ds_store_b128 v17, v[13:16]
.LBB435_29:
	s_or_b32 exec_lo, exec_lo, s0
	s_delay_alu instid0(SALU_CYCLE_1)
	s_mov_b32 s1, exec_lo
	s_waitcnt lgkmcnt(0)
	s_barrier
	buffer_gl0_inv
	v_cmpx_gt_u32_e32 0xa0, v4
	s_cbranch_execz .LBB435_31
; %bb.30:
	ds_load_b128 v[13:16], v17 offset:2560
	ds_load_b128 v[18:21], v17
	s_waitcnt lgkmcnt(0)
	v_add_f64 v[13:14], v[13:14], v[18:19]
	v_add_f64 v[15:16], v[15:16], v[20:21]
	ds_store_b128 v17, v[13:16]
.LBB435_31:
	s_or_b32 exec_lo, exec_lo, s1
	s_waitcnt lgkmcnt(0)
	s_barrier
	buffer_gl0_inv
	s_and_saveexec_b32 s0, vcc_lo
	s_cbranch_execz .LBB435_33
; %bb.32:
	ds_load_b128 v[13:16], v17 offset:1280
	ds_load_b128 v[18:21], v17
	s_waitcnt lgkmcnt(0)
	v_add_f64 v[13:14], v[13:14], v[18:19]
	v_add_f64 v[15:16], v[15:16], v[20:21]
	ds_store_b128 v17, v[13:16]
.LBB435_33:
	s_or_b32 exec_lo, exec_lo, s0
	s_delay_alu instid0(SALU_CYCLE_1)
	s_mov_b32 s0, exec_lo
	s_waitcnt lgkmcnt(0)
	s_barrier
	buffer_gl0_inv
	v_cmpx_gt_u32_e32 40, v4
	s_cbranch_execz .LBB435_35
; %bb.34:
	ds_load_b128 v[13:16], v17 offset:640
	ds_load_b128 v[18:21], v17
	s_waitcnt lgkmcnt(0)
	v_add_f64 v[13:14], v[13:14], v[18:19]
	v_add_f64 v[15:16], v[15:16], v[20:21]
	ds_store_b128 v17, v[13:16]
.LBB435_35:
	s_or_b32 exec_lo, exec_lo, s0
	s_delay_alu instid0(SALU_CYCLE_1)
	s_mov_b32 s0, exec_lo
	s_waitcnt lgkmcnt(0)
	buffer_gl0_inv
	v_cmpx_gt_u32_e32 20, v4
	s_cbranch_execz .LBB435_37
; %bb.36:
	ds_load_b128 v[0:3], v17 offset:320
	ds_load_b128 v[13:16], v17
	s_waitcnt lgkmcnt(0)
	v_add_f64 v[0:1], v[0:1], v[13:14]
	v_add_f64 v[2:3], v[2:3], v[15:16]
.LBB435_37:
	s_or_b32 exec_lo, exec_lo, s0
	s_delay_alu instid0(VALU_DEP_1) | instskip(NEXT) | instid1(VALU_DEP_3)
	v_dual_mov_b32 v16, v3 :: v_dual_mov_b32 v15, v2
	v_dual_mov_b32 v14, v1 :: v_dual_mov_b32 v13, v0
.LBB435_38:
	v_cmp_gt_u32_e32 vcc_lo, 20, v4
	s_and_b32 exec_lo, exec_lo, vcc_lo
	s_cbranch_execz .LBB435_43
; %bb.39:
	s_delay_alu instid0(VALU_DEP_2) | instskip(SKIP_3) | instid1(VALU_DEP_4)
	v_mul_f64 v[0:1], v[15:16], -v[11:12]
	v_mul_f64 v[2:3], v[9:10], v[15:16]
	v_cmp_eq_f64_e32 vcc_lo, 0, v[5:6]
	v_cmp_eq_f64_e64 s0, 0, v[7:8]
	v_fma_f64 v[0:1], v[9:10], v[13:14], v[0:1]
	s_delay_alu instid0(VALU_DEP_4) | instskip(NEXT) | instid1(VALU_DEP_3)
	v_fma_f64 v[2:3], v[11:12], v[13:14], v[2:3]
	s_and_b32 s0, vcc_lo, s0
	s_delay_alu instid0(SALU_CYCLE_1) | instskip(NEXT) | instid1(SALU_CYCLE_1)
	s_and_saveexec_b32 s1, s0
	s_xor_b32 s0, exec_lo, s1
	s_cbranch_execz .LBB435_41
; %bb.40:
	v_mad_u64_u32 v[5:6], null, s12, 20, v[4:5]
	v_mov_b32_e32 v6, 0
                                        ; implicit-def: $vgpr7_vgpr8
	s_delay_alu instid0(VALU_DEP_1) | instskip(NEXT) | instid1(VALU_DEP_1)
	v_lshlrev_b64 v[4:5], 4, v[5:6]
	v_add_co_u32 v4, vcc_lo, s8, v4
	s_delay_alu instid0(VALU_DEP_2)
	v_add_co_ci_u32_e32 v5, vcc_lo, s9, v5, vcc_lo
	global_store_b128 v[4:5], v[0:3], off
                                        ; implicit-def: $vgpr4
                                        ; implicit-def: $vgpr5_vgpr6
                                        ; implicit-def: $vgpr0_vgpr1
.LBB435_41:
	s_and_not1_saveexec_b32 s0, s0
	s_cbranch_execz .LBB435_43
; %bb.42:
	v_mad_u64_u32 v[9:10], null, s12, 20, v[4:5]
	v_mov_b32_e32 v10, 0
	s_delay_alu instid0(VALU_DEP_1) | instskip(NEXT) | instid1(VALU_DEP_1)
	v_lshlrev_b64 v[9:10], 4, v[9:10]
	v_add_co_u32 v13, vcc_lo, s8, v9
	s_delay_alu instid0(VALU_DEP_2) | instskip(SKIP_4) | instid1(VALU_DEP_2)
	v_add_co_ci_u32_e32 v14, vcc_lo, s9, v10, vcc_lo
	global_load_b128 v[9:12], v[13:14], off
	s_waitcnt vmcnt(0)
	v_fma_f64 v[0:1], v[5:6], v[9:10], v[0:1]
	v_fma_f64 v[2:3], v[7:8], v[9:10], v[2:3]
	v_fma_f64 v[0:1], -v[7:8], v[11:12], v[0:1]
	s_delay_alu instid0(VALU_DEP_2)
	v_fma_f64 v[2:3], v[5:6], v[11:12], v[2:3]
	global_store_b128 v[13:14], v[0:3], off
.LBB435_43:
	s_nop 0
	s_sendmsg sendmsg(MSG_DEALLOC_VGPRS)
	s_endpgm
	.section	.rodata,"a",@progbits
	.p2align	6, 0x0
	.amdhsa_kernel _ZN9rocsparseL20bsrxmvn_17_32_kernelILj20E21rocsparse_complex_numIdEiidS2_S2_EEvT2_20rocsparse_direction_NS_24const_host_device_scalarIT0_EES3_PKS3_PKT1_SC_S9_PKT3_PKT4_S7_PT5_21rocsparse_index_base_b
		.amdhsa_group_segment_fixed_size 12800
		.amdhsa_private_segment_fixed_size 0
		.amdhsa_kernarg_size 112
		.amdhsa_user_sgpr_count 15
		.amdhsa_user_sgpr_dispatch_ptr 1
		.amdhsa_user_sgpr_queue_ptr 0
		.amdhsa_user_sgpr_kernarg_segment_ptr 1
		.amdhsa_user_sgpr_dispatch_id 0
		.amdhsa_user_sgpr_private_segment_size 0
		.amdhsa_wavefront_size32 1
		.amdhsa_uses_dynamic_stack 0
		.amdhsa_enable_private_segment 0
		.amdhsa_system_sgpr_workgroup_id_x 1
		.amdhsa_system_sgpr_workgroup_id_y 0
		.amdhsa_system_sgpr_workgroup_id_z 0
		.amdhsa_system_sgpr_workgroup_info 0
		.amdhsa_system_vgpr_workitem_id 2
		.amdhsa_next_free_vgpr 26
		.amdhsa_next_free_sgpr 18
		.amdhsa_reserve_vcc 1
		.amdhsa_float_round_mode_32 0
		.amdhsa_float_round_mode_16_64 0
		.amdhsa_float_denorm_mode_32 3
		.amdhsa_float_denorm_mode_16_64 3
		.amdhsa_dx10_clamp 1
		.amdhsa_ieee_mode 1
		.amdhsa_fp16_overflow 0
		.amdhsa_workgroup_processor_mode 1
		.amdhsa_memory_ordered 1
		.amdhsa_forward_progress 0
		.amdhsa_shared_vgpr_count 0
		.amdhsa_exception_fp_ieee_invalid_op 0
		.amdhsa_exception_fp_denorm_src 0
		.amdhsa_exception_fp_ieee_div_zero 0
		.amdhsa_exception_fp_ieee_overflow 0
		.amdhsa_exception_fp_ieee_underflow 0
		.amdhsa_exception_fp_ieee_inexact 0
		.amdhsa_exception_int_div_zero 0
	.end_amdhsa_kernel
	.section	.text._ZN9rocsparseL20bsrxmvn_17_32_kernelILj20E21rocsparse_complex_numIdEiidS2_S2_EEvT2_20rocsparse_direction_NS_24const_host_device_scalarIT0_EES3_PKS3_PKT1_SC_S9_PKT3_PKT4_S7_PT5_21rocsparse_index_base_b,"axG",@progbits,_ZN9rocsparseL20bsrxmvn_17_32_kernelILj20E21rocsparse_complex_numIdEiidS2_S2_EEvT2_20rocsparse_direction_NS_24const_host_device_scalarIT0_EES3_PKS3_PKT1_SC_S9_PKT3_PKT4_S7_PT5_21rocsparse_index_base_b,comdat
.Lfunc_end435:
	.size	_ZN9rocsparseL20bsrxmvn_17_32_kernelILj20E21rocsparse_complex_numIdEiidS2_S2_EEvT2_20rocsparse_direction_NS_24const_host_device_scalarIT0_EES3_PKS3_PKT1_SC_S9_PKT3_PKT4_S7_PT5_21rocsparse_index_base_b, .Lfunc_end435-_ZN9rocsparseL20bsrxmvn_17_32_kernelILj20E21rocsparse_complex_numIdEiidS2_S2_EEvT2_20rocsparse_direction_NS_24const_host_device_scalarIT0_EES3_PKS3_PKT1_SC_S9_PKT3_PKT4_S7_PT5_21rocsparse_index_base_b
                                        ; -- End function
	.section	.AMDGPU.csdata,"",@progbits
; Kernel info:
; codeLenInByte = 2060
; NumSgprs: 20
; NumVgprs: 26
; ScratchSize: 0
; MemoryBound: 0
; FloatMode: 240
; IeeeMode: 1
; LDSByteSize: 12800 bytes/workgroup (compile time only)
; SGPRBlocks: 2
; VGPRBlocks: 3
; NumSGPRsForWavesPerEU: 20
; NumVGPRsForWavesPerEU: 26
; Occupancy: 13
; WaveLimiterHint : 1
; COMPUTE_PGM_RSRC2:SCRATCH_EN: 0
; COMPUTE_PGM_RSRC2:USER_SGPR: 15
; COMPUTE_PGM_RSRC2:TRAP_HANDLER: 0
; COMPUTE_PGM_RSRC2:TGID_X_EN: 1
; COMPUTE_PGM_RSRC2:TGID_Y_EN: 0
; COMPUTE_PGM_RSRC2:TGID_Z_EN: 0
; COMPUTE_PGM_RSRC2:TIDIG_COMP_CNT: 2
	.section	.text._ZN9rocsparseL20bsrxmvn_17_32_kernelILj21E21rocsparse_complex_numIdEiidS2_S2_EEvT2_20rocsparse_direction_NS_24const_host_device_scalarIT0_EES3_PKS3_PKT1_SC_S9_PKT3_PKT4_S7_PT5_21rocsparse_index_base_b,"axG",@progbits,_ZN9rocsparseL20bsrxmvn_17_32_kernelILj21E21rocsparse_complex_numIdEiidS2_S2_EEvT2_20rocsparse_direction_NS_24const_host_device_scalarIT0_EES3_PKS3_PKT1_SC_S9_PKT3_PKT4_S7_PT5_21rocsparse_index_base_b,comdat
	.globl	_ZN9rocsparseL20bsrxmvn_17_32_kernelILj21E21rocsparse_complex_numIdEiidS2_S2_EEvT2_20rocsparse_direction_NS_24const_host_device_scalarIT0_EES3_PKS3_PKT1_SC_S9_PKT3_PKT4_S7_PT5_21rocsparse_index_base_b ; -- Begin function _ZN9rocsparseL20bsrxmvn_17_32_kernelILj21E21rocsparse_complex_numIdEiidS2_S2_EEvT2_20rocsparse_direction_NS_24const_host_device_scalarIT0_EES3_PKS3_PKT1_SC_S9_PKT3_PKT4_S7_PT5_21rocsparse_index_base_b
	.p2align	8
	.type	_ZN9rocsparseL20bsrxmvn_17_32_kernelILj21E21rocsparse_complex_numIdEiidS2_S2_EEvT2_20rocsparse_direction_NS_24const_host_device_scalarIT0_EES3_PKS3_PKT1_SC_S9_PKT3_PKT4_S7_PT5_21rocsparse_index_base_b,@function
_ZN9rocsparseL20bsrxmvn_17_32_kernelILj21E21rocsparse_complex_numIdEiidS2_S2_EEvT2_20rocsparse_direction_NS_24const_host_device_scalarIT0_EES3_PKS3_PKT1_SC_S9_PKT3_PKT4_S7_PT5_21rocsparse_index_base_b: ; @_ZN9rocsparseL20bsrxmvn_17_32_kernelILj21E21rocsparse_complex_numIdEiidS2_S2_EEvT2_20rocsparse_direction_NS_24const_host_device_scalarIT0_EES3_PKS3_PKT1_SC_S9_PKT3_PKT4_S7_PT5_21rocsparse_index_base_b
; %bb.0:
	s_mov_b32 s12, s15
	s_clause 0x1
	s_load_b64 s[14:15], s[2:3], 0x68
	s_load_b128 s[4:7], s[2:3], 0x8
	s_load_b64 s[16:17], s[0:1], 0x4
	s_mov_b64 s[0:1], src_shared_base
	v_and_b32_e32 v4, 0x3ff, v0
	s_load_b128 s[8:11], s[2:3], 0x50
	v_bfe_u32 v2, v0, 10, 10
	v_bfe_u32 v0, v0, 20, 10
	s_waitcnt lgkmcnt(0)
	s_bitcmp1_b32 s15, 0
	v_mov_b32_e32 v12, s7
	s_cselect_b32 s0, -1, 0
	v_mov_b32_e32 v11, s6
	s_and_b32 vcc_lo, s0, exec_lo
	s_cselect_b32 s13, s1, s5
	s_lshr_b32 s15, s16, 16
	v_mov_b32_e32 v6, s13
	s_mul_i32 s15, s15, s17
	s_xor_b32 s6, s0, -1
	v_mul_lo_u32 v1, s15, v4
	s_delay_alu instid0(VALU_DEP_1) | instskip(SKIP_1) | instid1(VALU_DEP_2)
	v_mad_u32_u24 v1, v2, s17, v1
	v_dual_mov_b32 v2, s8 :: v_dual_mov_b32 v3, s9
	v_add_lshl_u32 v7, v1, v0, 3
	v_dual_mov_b32 v0, s4 :: v_dual_mov_b32 v1, s5
	ds_store_b64 v7, v[0:1] offset:10584
	ds_store_b64 v7, v[2:3] offset:7056
	v_add_nc_u32_e32 v5, 0x2958, v7
	v_add_nc_u32_e32 v0, 0x1b90, v7
	s_delay_alu instid0(VALU_DEP_2)
	v_cndmask_b32_e64 v5, s4, v5, s0
	flat_load_b64 v[9:10], v[5:6]
	s_cbranch_vccnz .LBB436_2
; %bb.1:
	v_dual_mov_b32 v1, s4 :: v_dual_mov_b32 v2, s5
	flat_load_b64 v[11:12], v[1:2] offset:8
.LBB436_2:
	s_and_b32 s4, s0, exec_lo
	s_cselect_b32 s1, s1, s9
	v_cndmask_b32_e64 v0, s8, v0, s0
	v_mov_b32_e32 v1, s1
	v_dual_mov_b32 v7, s10 :: v_dual_mov_b32 v8, s11
	s_and_not1_b32 vcc_lo, exec_lo, s6
	flat_load_b64 v[5:6], v[0:1]
	s_cbranch_vccnz .LBB436_4
; %bb.3:
	v_dual_mov_b32 v0, s8 :: v_dual_mov_b32 v1, s9
	flat_load_b64 v[7:8], v[0:1] offset:8
.LBB436_4:
	s_waitcnt vmcnt(1) lgkmcnt(1)
	v_cmp_eq_f64_e32 vcc_lo, 0, v[9:10]
	v_cmp_eq_f64_e64 s0, 0, v[11:12]
	s_delay_alu instid0(VALU_DEP_1)
	s_and_b32 s4, vcc_lo, s0
	s_mov_b32 s0, -1
	s_and_saveexec_b32 s1, s4
	s_cbranch_execz .LBB436_6
; %bb.5:
	s_waitcnt vmcnt(0) lgkmcnt(0)
	v_cmp_neq_f64_e32 vcc_lo, 1.0, v[5:6]
	v_cmp_neq_f64_e64 s0, 0, v[7:8]
	s_delay_alu instid0(VALU_DEP_1) | instskip(NEXT) | instid1(SALU_CYCLE_1)
	s_or_b32 s0, vcc_lo, s0
	s_or_not1_b32 s0, s0, exec_lo
.LBB436_6:
	s_or_b32 exec_lo, exec_lo, s1
	s_and_saveexec_b32 s1, s0
	s_cbranch_execz .LBB436_43
; %bb.7:
	s_clause 0x1
	s_load_b128 s[4:7], s[2:3], 0x20
	s_load_b64 s[0:1], s[2:3], 0x30
	s_waitcnt lgkmcnt(0)
	s_cmp_eq_u64 s[4:5], 0
	s_cbranch_scc1 .LBB436_9
; %bb.8:
	s_ashr_i32 s13, s12, 31
	s_delay_alu instid0(SALU_CYCLE_1) | instskip(NEXT) | instid1(SALU_CYCLE_1)
	s_lshl_b64 s[8:9], s[12:13], 2
	s_add_u32 s4, s4, s8
	s_addc_u32 s5, s5, s9
	s_load_b32 s4, s[4:5], 0x0
	s_waitcnt lgkmcnt(0)
	s_sub_i32 s12, s4, s14
.LBB436_9:
	s_load_b32 s4, s[2:3], 0x4
	v_mul_u32_u24_e32 v0, 0xc31, v4
	v_mov_b32_e32 v2, 0
	v_mov_b32_e32 v3, 0
	s_delay_alu instid0(VALU_DEP_3) | instskip(NEXT) | instid1(VALU_DEP_1)
	v_lshrrev_b32_e32 v13, 16, v0
	v_mul_lo_u16 v0, v13, 21
	s_delay_alu instid0(VALU_DEP_1) | instskip(NEXT) | instid1(VALU_DEP_4)
	v_sub_nc_u16 v18, v4, v0
	v_dual_mov_b32 v0, v2 :: v_dual_mov_b32 v1, v3
	s_waitcnt lgkmcnt(0)
	s_cmp_eq_u32 s4, 1
	s_cselect_b32 vcc_lo, -1, 0
	s_cmp_lg_u32 s4, 1
	s_cselect_b32 s10, -1, 0
	s_ashr_i32 s13, s12, 31
	s_delay_alu instid0(SALU_CYCLE_1) | instskip(NEXT) | instid1(SALU_CYCLE_1)
	s_lshl_b64 s[4:5], s[12:13], 2
	s_add_u32 s6, s6, s4
	s_addc_u32 s7, s7, s5
	s_add_u32 s8, s6, 4
	s_addc_u32 s9, s7, 0
	;; [unrolled: 2-line block ×3, first 2 shown]
	s_cmp_eq_u64 s[0:1], 0
	s_cselect_b32 s1, s9, s5
	s_cselect_b32 s0, s8, s4
	s_load_b32 s11, s[6:7], 0x0
	s_load_b32 s13, s[0:1], 0x0
	s_load_b64 s[8:9], s[2:3], 0x60
	s_waitcnt lgkmcnt(0)
	s_cmp_ge_i32 s11, s13
	s_cbranch_scc1 .LBB436_14
; %bb.10:
	v_mul_lo_u16 v0, v13, 25
	s_clause 0x1
	s_load_b128 s[4:7], s[2:3], 0x38
	s_load_b64 s[0:1], s[2:3], 0x48
	v_dual_mov_b32 v2, 0 :: v_dual_and_b32 v1, 0xffff, v4
	v_lshrrev_b16 v0, 9, v0
	s_sub_i32 s3, s11, s14
	v_dual_mov_b32 v3, 0 :: v_dual_lshlrev_b32 v14, 3, v4
	s_sub_i32 s2, s13, s14
	s_delay_alu instid0(VALU_DEP_2)
	v_mul_lo_u16 v0, v0, 21
	v_and_b32_e32 v15, 0xffff, v18
	v_mul_u32_u24_e32 v1, 0x253, v1
	s_mul_i32 s13, s3, 0xdc8
	s_mul_hi_i32 s11, s3, 0xdc8
	v_sub_nc_u16 v0, v13, v0
	s_delay_alu instid0(VALU_DEP_2) | instskip(NEXT) | instid1(VALU_DEP_2)
	v_lshrrev_b32_e32 v19, 18, v1
	v_and_b32_e32 v0, 0xff, v0
	s_waitcnt lgkmcnt(0)
	s_add_u32 s6, s6, s13
	s_addc_u32 s7, s7, s11
	v_add_co_u32 v13, s6, s6, v14
	v_dual_cndmask_b32 v15, v15, v0 :: v_dual_mov_b32 v0, v2
	v_mov_b32_e32 v1, v3
	v_add_co_ci_u32_e64 v14, null, s7, 0, s6
	s_set_inst_prefetch_distance 0x1
	s_branch .LBB436_12
	.p2align	6
.LBB436_11:                             ;   in Loop: Header=BB436_12 Depth=1
	s_or_b32 exec_lo, exec_lo, s6
	s_add_i32 s3, s3, 1
	s_delay_alu instid0(SALU_CYCLE_1)
	s_cmp_lt_i32 s3, s2
	s_cbranch_scc0 .LBB436_14
.LBB436_12:                             ; =>This Inner Loop Header: Depth=1
	v_add_nc_u32_e32 v16, s3, v19
	s_mov_b32 s6, exec_lo
	s_delay_alu instid0(VALU_DEP_1)
	v_cmpx_gt_i32_e64 s2, v16
	s_cbranch_execz .LBB436_11
; %bb.13:                               ;   in Loop: Header=BB436_12 Depth=1
	v_ashrrev_i32_e32 v17, 31, v16
	s_delay_alu instid0(VALU_DEP_1) | instskip(NEXT) | instid1(VALU_DEP_1)
	v_lshlrev_b64 v[16:17], 2, v[16:17]
	v_add_co_u32 v16, vcc_lo, s4, v16
	s_delay_alu instid0(VALU_DEP_2) | instskip(SKIP_3) | instid1(VALU_DEP_1)
	v_add_co_ci_u32_e32 v17, vcc_lo, s5, v17, vcc_lo
	global_load_b32 v16, v[16:17], off
	s_waitcnt vmcnt(0)
	v_subrev_nc_u32_e32 v20, s14, v16
	v_mad_u64_u32 v[16:17], null, v20, 21, v[15:16]
	s_delay_alu instid0(VALU_DEP_1) | instskip(NEXT) | instid1(VALU_DEP_1)
	v_ashrrev_i32_e32 v17, 31, v16
	v_lshlrev_b64 v[16:17], 4, v[16:17]
	s_delay_alu instid0(VALU_DEP_1) | instskip(NEXT) | instid1(VALU_DEP_2)
	v_add_co_u32 v16, vcc_lo, s0, v16
	v_add_co_ci_u32_e32 v17, vcc_lo, s1, v17, vcc_lo
	global_load_b64 v[24:25], v[13:14], off
	global_load_b128 v[20:23], v[16:17], off
	v_add_co_u32 v13, vcc_lo, 0xdc8, v13
	v_add_co_ci_u32_e32 v14, vcc_lo, 0, v14, vcc_lo
	s_waitcnt vmcnt(0)
	v_fma_f64 v[0:1], v[24:25], v[20:21], v[0:1]
	v_fma_f64 v[2:3], v[20:21], 0, v[2:3]
	s_delay_alu instid0(VALU_DEP_2) | instskip(NEXT) | instid1(VALU_DEP_2)
	v_fma_f64 v[0:1], 0x80000000, v[22:23], v[0:1]
	v_fma_f64 v[2:3], v[24:25], v[22:23], v[2:3]
	s_branch .LBB436_11
.LBB436_14:
	s_set_inst_prefetch_distance 0x2
	v_lshlrev_b32_e32 v17, 4, v4
	s_and_b32 vcc_lo, exec_lo, s10
	ds_store_b128 v17, v[0:3]
	s_waitcnt vmcnt(0) lgkmcnt(0)
	s_barrier
	buffer_gl0_inv
	s_cbranch_vccz .LBB436_26
; %bb.15:
	s_mov_b32 s0, exec_lo
	v_cmpx_gt_u16_e32 5, v18
	s_cbranch_execz .LBB436_17
; %bb.16:
	ds_load_b128 v[13:16], v17 offset:256
	ds_load_b128 v[19:22], v17
	s_waitcnt lgkmcnt(0)
	v_add_f64 v[13:14], v[13:14], v[19:20]
	v_add_f64 v[15:16], v[15:16], v[21:22]
	ds_store_b128 v17, v[13:16]
.LBB436_17:
	s_or_b32 exec_lo, exec_lo, s0
	s_delay_alu instid0(SALU_CYCLE_1)
	s_mov_b32 s0, exec_lo
	s_waitcnt lgkmcnt(0)
	s_barrier
	buffer_gl0_inv
	v_cmpx_gt_u16_e32 8, v18
	s_cbranch_execz .LBB436_19
; %bb.18:
	ds_load_b128 v[13:16], v17 offset:128
	ds_load_b128 v[19:22], v17
	s_waitcnt lgkmcnt(0)
	v_add_f64 v[13:14], v[13:14], v[19:20]
	v_add_f64 v[15:16], v[15:16], v[21:22]
	ds_store_b128 v17, v[13:16]
.LBB436_19:
	s_or_b32 exec_lo, exec_lo, s0
	s_delay_alu instid0(SALU_CYCLE_1)
	s_mov_b32 s0, exec_lo
	s_waitcnt lgkmcnt(0)
	s_barrier
	buffer_gl0_inv
	;; [unrolled: 16-line block ×3, first 2 shown]
	v_cmpx_gt_u16_e32 2, v18
	s_cbranch_execz .LBB436_23
; %bb.22:
	ds_load_b128 v[13:16], v17
	ds_load_b128 v[18:21], v17 offset:32
	s_waitcnt lgkmcnt(0)
	v_add_f64 v[13:14], v[18:19], v[13:14]
	v_add_f64 v[15:16], v[20:21], v[15:16]
	ds_store_b128 v17, v[13:16]
.LBB436_23:
	s_or_b32 exec_lo, exec_lo, s0
	v_dual_mov_b32 v16, v3 :: v_dual_mov_b32 v15, v2
	v_dual_mov_b32 v14, v1 :: v_dual_mov_b32 v13, v0
	s_mov_b32 s0, exec_lo
	s_waitcnt lgkmcnt(0)
	s_barrier
	buffer_gl0_inv
	v_cmpx_gt_u32_e32 21, v4
	s_cbranch_execz .LBB436_25
; %bb.24:
	v_mul_u32_u24_e32 v13, 21, v4
	s_delay_alu instid0(VALU_DEP_1)
	v_lshlrev_b32_e32 v18, 4, v13
	ds_load_b128 v[13:16], v18
	ds_load_b128 v[18:21], v18 offset:16
	s_waitcnt lgkmcnt(0)
	v_add_f64 v[13:14], v[18:19], v[13:14]
	v_add_f64 v[15:16], v[20:21], v[15:16]
.LBB436_25:
	s_or_b32 exec_lo, exec_lo, s0
	s_branch .LBB436_38
.LBB436_26:
                                        ; implicit-def: $vgpr15_vgpr16
                                        ; implicit-def: $vgpr13_vgpr14
	s_cbranch_execz .LBB436_38
; %bb.27:
	s_mov_b32 s0, exec_lo
	v_cmpx_gt_u32_e32 0x69, v4
	s_cbranch_execz .LBB436_29
; %bb.28:
	ds_load_b128 v[13:16], v17 offset:5376
	ds_load_b128 v[18:21], v17
	s_waitcnt lgkmcnt(0)
	v_add_f64 v[13:14], v[13:14], v[18:19]
	v_add_f64 v[15:16], v[15:16], v[20:21]
	ds_store_b128 v17, v[13:16]
.LBB436_29:
	s_or_b32 exec_lo, exec_lo, s0
	s_delay_alu instid0(SALU_CYCLE_1)
	s_mov_b32 s0, exec_lo
	s_waitcnt lgkmcnt(0)
	s_barrier
	buffer_gl0_inv
	v_cmpx_gt_u32_e32 0xa8, v4
	s_cbranch_execz .LBB436_31
; %bb.30:
	ds_load_b128 v[13:16], v17 offset:2688
	ds_load_b128 v[18:21], v17
	s_waitcnt lgkmcnt(0)
	v_add_f64 v[13:14], v[13:14], v[18:19]
	v_add_f64 v[15:16], v[15:16], v[20:21]
	ds_store_b128 v17, v[13:16]
.LBB436_31:
	s_or_b32 exec_lo, exec_lo, s0
	s_delay_alu instid0(SALU_CYCLE_1)
	s_mov_b32 s0, exec_lo
	s_waitcnt lgkmcnt(0)
	s_barrier
	buffer_gl0_inv
	;; [unrolled: 16-line block ×3, first 2 shown]
	v_cmpx_gt_u32_e32 42, v4
	s_cbranch_execz .LBB436_35
; %bb.34:
	ds_load_b128 v[13:16], v17 offset:672
	ds_load_b128 v[18:21], v17
	s_waitcnt lgkmcnt(0)
	v_add_f64 v[13:14], v[13:14], v[18:19]
	v_add_f64 v[15:16], v[15:16], v[20:21]
	ds_store_b128 v17, v[13:16]
.LBB436_35:
	s_or_b32 exec_lo, exec_lo, s0
	s_delay_alu instid0(SALU_CYCLE_1)
	s_mov_b32 s0, exec_lo
	s_waitcnt lgkmcnt(0)
	buffer_gl0_inv
	v_cmpx_gt_u32_e32 21, v4
	s_cbranch_execz .LBB436_37
; %bb.36:
	ds_load_b128 v[0:3], v17 offset:336
	ds_load_b128 v[13:16], v17
	s_waitcnt lgkmcnt(0)
	v_add_f64 v[0:1], v[0:1], v[13:14]
	v_add_f64 v[2:3], v[2:3], v[15:16]
.LBB436_37:
	s_or_b32 exec_lo, exec_lo, s0
	s_delay_alu instid0(VALU_DEP_1) | instskip(NEXT) | instid1(VALU_DEP_3)
	v_dual_mov_b32 v16, v3 :: v_dual_mov_b32 v15, v2
	v_dual_mov_b32 v14, v1 :: v_dual_mov_b32 v13, v0
.LBB436_38:
	v_cmp_gt_u32_e32 vcc_lo, 21, v4
	s_and_b32 exec_lo, exec_lo, vcc_lo
	s_cbranch_execz .LBB436_43
; %bb.39:
	s_delay_alu instid0(VALU_DEP_2) | instskip(SKIP_3) | instid1(VALU_DEP_4)
	v_mul_f64 v[0:1], v[15:16], -v[11:12]
	v_mul_f64 v[2:3], v[9:10], v[15:16]
	v_cmp_eq_f64_e32 vcc_lo, 0, v[5:6]
	v_cmp_eq_f64_e64 s0, 0, v[7:8]
	v_fma_f64 v[0:1], v[9:10], v[13:14], v[0:1]
	s_delay_alu instid0(VALU_DEP_4) | instskip(NEXT) | instid1(VALU_DEP_3)
	v_fma_f64 v[2:3], v[11:12], v[13:14], v[2:3]
	s_and_b32 s0, vcc_lo, s0
	s_delay_alu instid0(SALU_CYCLE_1) | instskip(NEXT) | instid1(SALU_CYCLE_1)
	s_and_saveexec_b32 s1, s0
	s_xor_b32 s0, exec_lo, s1
	s_cbranch_execz .LBB436_41
; %bb.40:
	v_mad_u64_u32 v[5:6], null, s12, 21, v[4:5]
	v_mov_b32_e32 v6, 0
                                        ; implicit-def: $vgpr7_vgpr8
	s_delay_alu instid0(VALU_DEP_1) | instskip(NEXT) | instid1(VALU_DEP_1)
	v_lshlrev_b64 v[4:5], 4, v[5:6]
	v_add_co_u32 v4, vcc_lo, s8, v4
	s_delay_alu instid0(VALU_DEP_2)
	v_add_co_ci_u32_e32 v5, vcc_lo, s9, v5, vcc_lo
	global_store_b128 v[4:5], v[0:3], off
                                        ; implicit-def: $vgpr4
                                        ; implicit-def: $vgpr5_vgpr6
                                        ; implicit-def: $vgpr0_vgpr1
.LBB436_41:
	s_and_not1_saveexec_b32 s0, s0
	s_cbranch_execz .LBB436_43
; %bb.42:
	v_mad_u64_u32 v[9:10], null, s12, 21, v[4:5]
	v_mov_b32_e32 v10, 0
	s_delay_alu instid0(VALU_DEP_1) | instskip(NEXT) | instid1(VALU_DEP_1)
	v_lshlrev_b64 v[9:10], 4, v[9:10]
	v_add_co_u32 v13, vcc_lo, s8, v9
	s_delay_alu instid0(VALU_DEP_2) | instskip(SKIP_4) | instid1(VALU_DEP_2)
	v_add_co_ci_u32_e32 v14, vcc_lo, s9, v10, vcc_lo
	global_load_b128 v[9:12], v[13:14], off
	s_waitcnt vmcnt(0)
	v_fma_f64 v[0:1], v[5:6], v[9:10], v[0:1]
	v_fma_f64 v[2:3], v[7:8], v[9:10], v[2:3]
	v_fma_f64 v[0:1], -v[7:8], v[11:12], v[0:1]
	s_delay_alu instid0(VALU_DEP_2)
	v_fma_f64 v[2:3], v[5:6], v[11:12], v[2:3]
	global_store_b128 v[13:14], v[0:3], off
.LBB436_43:
	s_nop 0
	s_sendmsg sendmsg(MSG_DEALLOC_VGPRS)
	s_endpgm
	.section	.rodata,"a",@progbits
	.p2align	6, 0x0
	.amdhsa_kernel _ZN9rocsparseL20bsrxmvn_17_32_kernelILj21E21rocsparse_complex_numIdEiidS2_S2_EEvT2_20rocsparse_direction_NS_24const_host_device_scalarIT0_EES3_PKS3_PKT1_SC_S9_PKT3_PKT4_S7_PT5_21rocsparse_index_base_b
		.amdhsa_group_segment_fixed_size 14112
		.amdhsa_private_segment_fixed_size 0
		.amdhsa_kernarg_size 112
		.amdhsa_user_sgpr_count 15
		.amdhsa_user_sgpr_dispatch_ptr 1
		.amdhsa_user_sgpr_queue_ptr 0
		.amdhsa_user_sgpr_kernarg_segment_ptr 1
		.amdhsa_user_sgpr_dispatch_id 0
		.amdhsa_user_sgpr_private_segment_size 0
		.amdhsa_wavefront_size32 1
		.amdhsa_uses_dynamic_stack 0
		.amdhsa_enable_private_segment 0
		.amdhsa_system_sgpr_workgroup_id_x 1
		.amdhsa_system_sgpr_workgroup_id_y 0
		.amdhsa_system_sgpr_workgroup_id_z 0
		.amdhsa_system_sgpr_workgroup_info 0
		.amdhsa_system_vgpr_workitem_id 2
		.amdhsa_next_free_vgpr 26
		.amdhsa_next_free_sgpr 18
		.amdhsa_reserve_vcc 1
		.amdhsa_float_round_mode_32 0
		.amdhsa_float_round_mode_16_64 0
		.amdhsa_float_denorm_mode_32 3
		.amdhsa_float_denorm_mode_16_64 3
		.amdhsa_dx10_clamp 1
		.amdhsa_ieee_mode 1
		.amdhsa_fp16_overflow 0
		.amdhsa_workgroup_processor_mode 1
		.amdhsa_memory_ordered 1
		.amdhsa_forward_progress 0
		.amdhsa_shared_vgpr_count 0
		.amdhsa_exception_fp_ieee_invalid_op 0
		.amdhsa_exception_fp_denorm_src 0
		.amdhsa_exception_fp_ieee_div_zero 0
		.amdhsa_exception_fp_ieee_overflow 0
		.amdhsa_exception_fp_ieee_underflow 0
		.amdhsa_exception_fp_ieee_inexact 0
		.amdhsa_exception_int_div_zero 0
	.end_amdhsa_kernel
	.section	.text._ZN9rocsparseL20bsrxmvn_17_32_kernelILj21E21rocsparse_complex_numIdEiidS2_S2_EEvT2_20rocsparse_direction_NS_24const_host_device_scalarIT0_EES3_PKS3_PKT1_SC_S9_PKT3_PKT4_S7_PT5_21rocsparse_index_base_b,"axG",@progbits,_ZN9rocsparseL20bsrxmvn_17_32_kernelILj21E21rocsparse_complex_numIdEiidS2_S2_EEvT2_20rocsparse_direction_NS_24const_host_device_scalarIT0_EES3_PKS3_PKT1_SC_S9_PKT3_PKT4_S7_PT5_21rocsparse_index_base_b,comdat
.Lfunc_end436:
	.size	_ZN9rocsparseL20bsrxmvn_17_32_kernelILj21E21rocsparse_complex_numIdEiidS2_S2_EEvT2_20rocsparse_direction_NS_24const_host_device_scalarIT0_EES3_PKS3_PKT1_SC_S9_PKT3_PKT4_S7_PT5_21rocsparse_index_base_b, .Lfunc_end436-_ZN9rocsparseL20bsrxmvn_17_32_kernelILj21E21rocsparse_complex_numIdEiidS2_S2_EEvT2_20rocsparse_direction_NS_24const_host_device_scalarIT0_EES3_PKS3_PKT1_SC_S9_PKT3_PKT4_S7_PT5_21rocsparse_index_base_b
                                        ; -- End function
	.section	.AMDGPU.csdata,"",@progbits
; Kernel info:
; codeLenInByte = 2080
; NumSgprs: 20
; NumVgprs: 26
; ScratchSize: 0
; MemoryBound: 0
; FloatMode: 240
; IeeeMode: 1
; LDSByteSize: 14112 bytes/workgroup (compile time only)
; SGPRBlocks: 2
; VGPRBlocks: 3
; NumSGPRsForWavesPerEU: 20
; NumVGPRsForWavesPerEU: 26
; Occupancy: 14
; WaveLimiterHint : 1
; COMPUTE_PGM_RSRC2:SCRATCH_EN: 0
; COMPUTE_PGM_RSRC2:USER_SGPR: 15
; COMPUTE_PGM_RSRC2:TRAP_HANDLER: 0
; COMPUTE_PGM_RSRC2:TGID_X_EN: 1
; COMPUTE_PGM_RSRC2:TGID_Y_EN: 0
; COMPUTE_PGM_RSRC2:TGID_Z_EN: 0
; COMPUTE_PGM_RSRC2:TIDIG_COMP_CNT: 2
	.section	.text._ZN9rocsparseL20bsrxmvn_17_32_kernelILj22E21rocsparse_complex_numIdEiidS2_S2_EEvT2_20rocsparse_direction_NS_24const_host_device_scalarIT0_EES3_PKS3_PKT1_SC_S9_PKT3_PKT4_S7_PT5_21rocsparse_index_base_b,"axG",@progbits,_ZN9rocsparseL20bsrxmvn_17_32_kernelILj22E21rocsparse_complex_numIdEiidS2_S2_EEvT2_20rocsparse_direction_NS_24const_host_device_scalarIT0_EES3_PKS3_PKT1_SC_S9_PKT3_PKT4_S7_PT5_21rocsparse_index_base_b,comdat
	.globl	_ZN9rocsparseL20bsrxmvn_17_32_kernelILj22E21rocsparse_complex_numIdEiidS2_S2_EEvT2_20rocsparse_direction_NS_24const_host_device_scalarIT0_EES3_PKS3_PKT1_SC_S9_PKT3_PKT4_S7_PT5_21rocsparse_index_base_b ; -- Begin function _ZN9rocsparseL20bsrxmvn_17_32_kernelILj22E21rocsparse_complex_numIdEiidS2_S2_EEvT2_20rocsparse_direction_NS_24const_host_device_scalarIT0_EES3_PKS3_PKT1_SC_S9_PKT3_PKT4_S7_PT5_21rocsparse_index_base_b
	.p2align	8
	.type	_ZN9rocsparseL20bsrxmvn_17_32_kernelILj22E21rocsparse_complex_numIdEiidS2_S2_EEvT2_20rocsparse_direction_NS_24const_host_device_scalarIT0_EES3_PKS3_PKT1_SC_S9_PKT3_PKT4_S7_PT5_21rocsparse_index_base_b,@function
_ZN9rocsparseL20bsrxmvn_17_32_kernelILj22E21rocsparse_complex_numIdEiidS2_S2_EEvT2_20rocsparse_direction_NS_24const_host_device_scalarIT0_EES3_PKS3_PKT1_SC_S9_PKT3_PKT4_S7_PT5_21rocsparse_index_base_b: ; @_ZN9rocsparseL20bsrxmvn_17_32_kernelILj22E21rocsparse_complex_numIdEiidS2_S2_EEvT2_20rocsparse_direction_NS_24const_host_device_scalarIT0_EES3_PKS3_PKT1_SC_S9_PKT3_PKT4_S7_PT5_21rocsparse_index_base_b
; %bb.0:
	s_mov_b32 s12, s15
	s_clause 0x1
	s_load_b64 s[14:15], s[2:3], 0x68
	s_load_b128 s[4:7], s[2:3], 0x8
	s_load_b64 s[16:17], s[0:1], 0x4
	s_mov_b64 s[0:1], src_shared_base
	v_and_b32_e32 v4, 0x3ff, v0
	s_load_b128 s[8:11], s[2:3], 0x50
	v_bfe_u32 v2, v0, 10, 10
	v_bfe_u32 v0, v0, 20, 10
	s_waitcnt lgkmcnt(0)
	s_bitcmp1_b32 s15, 0
	v_mov_b32_e32 v12, s7
	s_cselect_b32 s0, -1, 0
	v_mov_b32_e32 v11, s6
	s_and_b32 vcc_lo, s0, exec_lo
	s_cselect_b32 s13, s1, s5
	s_lshr_b32 s15, s16, 16
	v_mov_b32_e32 v6, s13
	s_mul_i32 s15, s15, s17
	s_xor_b32 s6, s0, -1
	v_mul_lo_u32 v1, s15, v4
	s_delay_alu instid0(VALU_DEP_1) | instskip(SKIP_1) | instid1(VALU_DEP_2)
	v_mad_u32_u24 v1, v2, s17, v1
	v_dual_mov_b32 v2, s8 :: v_dual_mov_b32 v3, s9
	v_add_lshl_u32 v7, v1, v0, 3
	v_dual_mov_b32 v0, s4 :: v_dual_mov_b32 v1, s5
	ds_store_b64 v7, v[0:1] offset:11616
	ds_store_b64 v7, v[2:3] offset:7744
	v_add_nc_u32_e32 v5, 0x2d60, v7
	v_add_nc_u32_e32 v0, 0x1e40, v7
	s_delay_alu instid0(VALU_DEP_2)
	v_cndmask_b32_e64 v5, s4, v5, s0
	flat_load_b64 v[9:10], v[5:6]
	s_cbranch_vccnz .LBB437_2
; %bb.1:
	v_dual_mov_b32 v1, s4 :: v_dual_mov_b32 v2, s5
	flat_load_b64 v[11:12], v[1:2] offset:8
.LBB437_2:
	s_and_b32 s4, s0, exec_lo
	s_cselect_b32 s1, s1, s9
	v_cndmask_b32_e64 v0, s8, v0, s0
	v_mov_b32_e32 v1, s1
	v_dual_mov_b32 v7, s10 :: v_dual_mov_b32 v8, s11
	s_and_not1_b32 vcc_lo, exec_lo, s6
	flat_load_b64 v[5:6], v[0:1]
	s_cbranch_vccnz .LBB437_4
; %bb.3:
	v_dual_mov_b32 v0, s8 :: v_dual_mov_b32 v1, s9
	flat_load_b64 v[7:8], v[0:1] offset:8
.LBB437_4:
	s_waitcnt vmcnt(1) lgkmcnt(1)
	v_cmp_eq_f64_e32 vcc_lo, 0, v[9:10]
	v_cmp_eq_f64_e64 s0, 0, v[11:12]
	s_delay_alu instid0(VALU_DEP_1)
	s_and_b32 s4, vcc_lo, s0
	s_mov_b32 s0, -1
	s_and_saveexec_b32 s1, s4
	s_cbranch_execz .LBB437_6
; %bb.5:
	s_waitcnt vmcnt(0) lgkmcnt(0)
	v_cmp_neq_f64_e32 vcc_lo, 1.0, v[5:6]
	v_cmp_neq_f64_e64 s0, 0, v[7:8]
	s_delay_alu instid0(VALU_DEP_1) | instskip(NEXT) | instid1(SALU_CYCLE_1)
	s_or_b32 s0, vcc_lo, s0
	s_or_not1_b32 s0, s0, exec_lo
.LBB437_6:
	s_or_b32 exec_lo, exec_lo, s1
	s_and_saveexec_b32 s1, s0
	s_cbranch_execz .LBB437_43
; %bb.7:
	s_clause 0x1
	s_load_b128 s[4:7], s[2:3], 0x20
	s_load_b64 s[0:1], s[2:3], 0x30
	s_waitcnt lgkmcnt(0)
	s_cmp_eq_u64 s[4:5], 0
	s_cbranch_scc1 .LBB437_9
; %bb.8:
	s_ashr_i32 s13, s12, 31
	s_delay_alu instid0(SALU_CYCLE_1) | instskip(NEXT) | instid1(SALU_CYCLE_1)
	s_lshl_b64 s[8:9], s[12:13], 2
	s_add_u32 s4, s4, s8
	s_addc_u32 s5, s5, s9
	s_load_b32 s4, s[4:5], 0x0
	s_waitcnt lgkmcnt(0)
	s_sub_i32 s12, s4, s14
.LBB437_9:
	s_load_b32 s4, s[2:3], 0x4
	v_mul_u32_u24_e32 v0, 0xba3, v4
	v_mov_b32_e32 v2, 0
	v_mov_b32_e32 v3, 0
	s_delay_alu instid0(VALU_DEP_3) | instskip(NEXT) | instid1(VALU_DEP_1)
	v_lshrrev_b32_e32 v13, 16, v0
	v_mul_lo_u16 v0, v13, 22
	s_delay_alu instid0(VALU_DEP_1) | instskip(NEXT) | instid1(VALU_DEP_4)
	v_sub_nc_u16 v18, v4, v0
	v_dual_mov_b32 v0, v2 :: v_dual_mov_b32 v1, v3
	s_waitcnt lgkmcnt(0)
	s_cmp_eq_u32 s4, 1
	s_cselect_b32 vcc_lo, -1, 0
	s_cmp_lg_u32 s4, 1
	s_cselect_b32 s10, -1, 0
	s_ashr_i32 s13, s12, 31
	s_delay_alu instid0(SALU_CYCLE_1) | instskip(NEXT) | instid1(SALU_CYCLE_1)
	s_lshl_b64 s[4:5], s[12:13], 2
	s_add_u32 s6, s6, s4
	s_addc_u32 s7, s7, s5
	s_add_u32 s8, s6, 4
	s_addc_u32 s9, s7, 0
	;; [unrolled: 2-line block ×3, first 2 shown]
	s_cmp_eq_u64 s[0:1], 0
	s_cselect_b32 s1, s9, s5
	s_cselect_b32 s0, s8, s4
	s_load_b32 s11, s[6:7], 0x0
	s_load_b32 s13, s[0:1], 0x0
	s_load_b64 s[8:9], s[2:3], 0x60
	s_waitcnt lgkmcnt(0)
	s_cmp_ge_i32 s11, s13
	s_cbranch_scc1 .LBB437_14
; %bb.10:
	v_mul_lo_u16 v0, v13, 12
	s_clause 0x1
	s_load_b128 s[4:7], s[2:3], 0x38
	s_load_b64 s[0:1], s[2:3], 0x48
	v_dual_mov_b32 v2, 0 :: v_dual_and_b32 v1, 0xffff, v4
	v_lshrrev_b16 v0, 8, v0
	s_sub_i32 s3, s11, s14
	v_dual_mov_b32 v3, 0 :: v_dual_lshlrev_b32 v14, 3, v4
	s_sub_i32 s2, s13, s14
	s_delay_alu instid0(VALU_DEP_2)
	v_mul_lo_u16 v0, v0, 22
	v_and_b32_e32 v15, 0xffff, v18
	v_mul_u32_u24_e32 v1, 0x10f, v1
	s_mul_i32 s13, s3, 0xf20
	s_mul_hi_i32 s11, s3, 0xf20
	v_sub_nc_u16 v0, v13, v0
	s_delay_alu instid0(VALU_DEP_2) | instskip(NEXT) | instid1(VALU_DEP_2)
	v_lshrrev_b32_e32 v19, 17, v1
	v_and_b32_e32 v0, 0xff, v0
	s_waitcnt lgkmcnt(0)
	s_add_u32 s6, s6, s13
	s_addc_u32 s7, s7, s11
	v_add_co_u32 v13, s6, s6, v14
	v_dual_cndmask_b32 v15, v15, v0 :: v_dual_mov_b32 v0, v2
	v_mov_b32_e32 v1, v3
	v_add_co_ci_u32_e64 v14, null, s7, 0, s6
	s_set_inst_prefetch_distance 0x1
	s_branch .LBB437_12
	.p2align	6
.LBB437_11:                             ;   in Loop: Header=BB437_12 Depth=1
	s_or_b32 exec_lo, exec_lo, s6
	s_add_i32 s3, s3, 1
	s_delay_alu instid0(SALU_CYCLE_1)
	s_cmp_lt_i32 s3, s2
	s_cbranch_scc0 .LBB437_14
.LBB437_12:                             ; =>This Inner Loop Header: Depth=1
	v_add_nc_u32_e32 v16, s3, v19
	s_mov_b32 s6, exec_lo
	s_delay_alu instid0(VALU_DEP_1)
	v_cmpx_gt_i32_e64 s2, v16
	s_cbranch_execz .LBB437_11
; %bb.13:                               ;   in Loop: Header=BB437_12 Depth=1
	v_ashrrev_i32_e32 v17, 31, v16
	s_delay_alu instid0(VALU_DEP_1) | instskip(NEXT) | instid1(VALU_DEP_1)
	v_lshlrev_b64 v[16:17], 2, v[16:17]
	v_add_co_u32 v16, vcc_lo, s4, v16
	s_delay_alu instid0(VALU_DEP_2) | instskip(SKIP_3) | instid1(VALU_DEP_1)
	v_add_co_ci_u32_e32 v17, vcc_lo, s5, v17, vcc_lo
	global_load_b32 v16, v[16:17], off
	s_waitcnt vmcnt(0)
	v_subrev_nc_u32_e32 v20, s14, v16
	v_mad_u64_u32 v[16:17], null, v20, 22, v[15:16]
	s_delay_alu instid0(VALU_DEP_1) | instskip(NEXT) | instid1(VALU_DEP_1)
	v_ashrrev_i32_e32 v17, 31, v16
	v_lshlrev_b64 v[16:17], 4, v[16:17]
	s_delay_alu instid0(VALU_DEP_1) | instskip(NEXT) | instid1(VALU_DEP_2)
	v_add_co_u32 v16, vcc_lo, s0, v16
	v_add_co_ci_u32_e32 v17, vcc_lo, s1, v17, vcc_lo
	global_load_b64 v[24:25], v[13:14], off
	global_load_b128 v[20:23], v[16:17], off
	v_add_co_u32 v13, vcc_lo, 0xf20, v13
	v_add_co_ci_u32_e32 v14, vcc_lo, 0, v14, vcc_lo
	s_waitcnt vmcnt(0)
	v_fma_f64 v[0:1], v[24:25], v[20:21], v[0:1]
	v_fma_f64 v[2:3], v[20:21], 0, v[2:3]
	s_delay_alu instid0(VALU_DEP_2) | instskip(NEXT) | instid1(VALU_DEP_2)
	v_fma_f64 v[0:1], 0x80000000, v[22:23], v[0:1]
	v_fma_f64 v[2:3], v[24:25], v[22:23], v[2:3]
	s_branch .LBB437_11
.LBB437_14:
	s_set_inst_prefetch_distance 0x2
	v_lshlrev_b32_e32 v17, 4, v4
	s_and_b32 vcc_lo, exec_lo, s10
	ds_store_b128 v17, v[0:3]
	s_waitcnt vmcnt(0) lgkmcnt(0)
	s_barrier
	buffer_gl0_inv
	s_cbranch_vccz .LBB437_26
; %bb.15:
	s_mov_b32 s0, exec_lo
	v_cmpx_gt_u16_e32 6, v18
	s_cbranch_execz .LBB437_17
; %bb.16:
	ds_load_b128 v[13:16], v17 offset:256
	ds_load_b128 v[19:22], v17
	s_waitcnt lgkmcnt(0)
	v_add_f64 v[13:14], v[13:14], v[19:20]
	v_add_f64 v[15:16], v[15:16], v[21:22]
	ds_store_b128 v17, v[13:16]
.LBB437_17:
	s_or_b32 exec_lo, exec_lo, s0
	s_delay_alu instid0(SALU_CYCLE_1)
	s_mov_b32 s0, exec_lo
	s_waitcnt lgkmcnt(0)
	s_barrier
	buffer_gl0_inv
	v_cmpx_gt_u16_e32 8, v18
	s_cbranch_execz .LBB437_19
; %bb.18:
	ds_load_b128 v[13:16], v17 offset:128
	ds_load_b128 v[19:22], v17
	s_waitcnt lgkmcnt(0)
	v_add_f64 v[13:14], v[13:14], v[19:20]
	v_add_f64 v[15:16], v[15:16], v[21:22]
	ds_store_b128 v17, v[13:16]
.LBB437_19:
	s_or_b32 exec_lo, exec_lo, s0
	s_delay_alu instid0(SALU_CYCLE_1)
	s_mov_b32 s0, exec_lo
	s_waitcnt lgkmcnt(0)
	s_barrier
	buffer_gl0_inv
	v_cmpx_gt_u16_e32 4, v18
	s_cbranch_execz .LBB437_21
; %bb.20:
	ds_load_b128 v[13:16], v17 offset:64
	ds_load_b128 v[19:22], v17
	s_waitcnt lgkmcnt(0)
	v_add_f64 v[13:14], v[13:14], v[19:20]
	v_add_f64 v[15:16], v[15:16], v[21:22]
	ds_store_b128 v17, v[13:16]
.LBB437_21:
	s_or_b32 exec_lo, exec_lo, s0
	s_delay_alu instid0(SALU_CYCLE_1)
	s_mov_b32 s0, exec_lo
	s_waitcnt lgkmcnt(0)
	s_barrier
	buffer_gl0_inv
	v_cmpx_gt_u16_e32 2, v18
	s_cbranch_execz .LBB437_23
; %bb.22:
	ds_load_b128 v[13:16], v17
	ds_load_b128 v[18:21], v17 offset:32
	s_waitcnt lgkmcnt(0)
	v_add_f64 v[13:14], v[18:19], v[13:14]
	v_add_f64 v[15:16], v[20:21], v[15:16]
	ds_store_b128 v17, v[13:16]
.LBB437_23:
	s_or_b32 exec_lo, exec_lo, s0
	v_dual_mov_b32 v16, v3 :: v_dual_mov_b32 v15, v2
	v_dual_mov_b32 v14, v1 :: v_dual_mov_b32 v13, v0
	s_mov_b32 s0, exec_lo
	s_waitcnt lgkmcnt(0)
	s_barrier
	buffer_gl0_inv
	v_cmpx_gt_u32_e32 22, v4
	s_cbranch_execz .LBB437_25
; %bb.24:
	v_mul_u32_u24_e32 v13, 22, v4
	s_delay_alu instid0(VALU_DEP_1)
	v_lshlrev_b32_e32 v18, 4, v13
	ds_load_b128 v[13:16], v18
	ds_load_b128 v[18:21], v18 offset:16
	s_waitcnt lgkmcnt(0)
	v_add_f64 v[13:14], v[18:19], v[13:14]
	v_add_f64 v[15:16], v[20:21], v[15:16]
.LBB437_25:
	s_or_b32 exec_lo, exec_lo, s0
	s_branch .LBB437_38
.LBB437_26:
                                        ; implicit-def: $vgpr15_vgpr16
                                        ; implicit-def: $vgpr13_vgpr14
	s_cbranch_execz .LBB437_38
; %bb.27:
	s_mov_b32 s0, exec_lo
	v_cmpx_gt_u32_e32 0x84, v4
	s_cbranch_execz .LBB437_29
; %bb.28:
	ds_load_b128 v[13:16], v17 offset:5632
	ds_load_b128 v[18:21], v17
	s_waitcnt lgkmcnt(0)
	v_add_f64 v[13:14], v[13:14], v[18:19]
	v_add_f64 v[15:16], v[15:16], v[20:21]
	ds_store_b128 v17, v[13:16]
.LBB437_29:
	s_or_b32 exec_lo, exec_lo, s0
	s_delay_alu instid0(SALU_CYCLE_1)
	s_mov_b32 s0, exec_lo
	s_waitcnt lgkmcnt(0)
	s_barrier
	buffer_gl0_inv
	v_cmpx_gt_u32_e32 0xb0, v4
	s_cbranch_execz .LBB437_31
; %bb.30:
	ds_load_b128 v[13:16], v17 offset:2816
	ds_load_b128 v[18:21], v17
	s_waitcnt lgkmcnt(0)
	v_add_f64 v[13:14], v[13:14], v[18:19]
	v_add_f64 v[15:16], v[15:16], v[20:21]
	ds_store_b128 v17, v[13:16]
.LBB437_31:
	s_or_b32 exec_lo, exec_lo, s0
	s_delay_alu instid0(SALU_CYCLE_1)
	s_mov_b32 s0, exec_lo
	s_waitcnt lgkmcnt(0)
	s_barrier
	buffer_gl0_inv
	;; [unrolled: 16-line block ×3, first 2 shown]
	v_cmpx_gt_u32_e32 44, v4
	s_cbranch_execz .LBB437_35
; %bb.34:
	ds_load_b128 v[13:16], v17 offset:704
	ds_load_b128 v[18:21], v17
	s_waitcnt lgkmcnt(0)
	v_add_f64 v[13:14], v[13:14], v[18:19]
	v_add_f64 v[15:16], v[15:16], v[20:21]
	ds_store_b128 v17, v[13:16]
.LBB437_35:
	s_or_b32 exec_lo, exec_lo, s0
	s_delay_alu instid0(SALU_CYCLE_1)
	s_mov_b32 s0, exec_lo
	s_waitcnt lgkmcnt(0)
	buffer_gl0_inv
	v_cmpx_gt_u32_e32 22, v4
	s_cbranch_execz .LBB437_37
; %bb.36:
	ds_load_b128 v[0:3], v17 offset:352
	ds_load_b128 v[13:16], v17
	s_waitcnt lgkmcnt(0)
	v_add_f64 v[0:1], v[0:1], v[13:14]
	v_add_f64 v[2:3], v[2:3], v[15:16]
.LBB437_37:
	s_or_b32 exec_lo, exec_lo, s0
	s_delay_alu instid0(VALU_DEP_1) | instskip(NEXT) | instid1(VALU_DEP_3)
	v_dual_mov_b32 v16, v3 :: v_dual_mov_b32 v15, v2
	v_dual_mov_b32 v14, v1 :: v_dual_mov_b32 v13, v0
.LBB437_38:
	v_cmp_gt_u32_e32 vcc_lo, 22, v4
	s_and_b32 exec_lo, exec_lo, vcc_lo
	s_cbranch_execz .LBB437_43
; %bb.39:
	s_delay_alu instid0(VALU_DEP_2) | instskip(SKIP_3) | instid1(VALU_DEP_4)
	v_mul_f64 v[0:1], v[15:16], -v[11:12]
	v_mul_f64 v[2:3], v[9:10], v[15:16]
	v_cmp_eq_f64_e32 vcc_lo, 0, v[5:6]
	v_cmp_eq_f64_e64 s0, 0, v[7:8]
	v_fma_f64 v[0:1], v[9:10], v[13:14], v[0:1]
	s_delay_alu instid0(VALU_DEP_4) | instskip(NEXT) | instid1(VALU_DEP_3)
	v_fma_f64 v[2:3], v[11:12], v[13:14], v[2:3]
	s_and_b32 s0, vcc_lo, s0
	s_delay_alu instid0(SALU_CYCLE_1) | instskip(NEXT) | instid1(SALU_CYCLE_1)
	s_and_saveexec_b32 s1, s0
	s_xor_b32 s0, exec_lo, s1
	s_cbranch_execz .LBB437_41
; %bb.40:
	v_mad_u64_u32 v[5:6], null, s12, 22, v[4:5]
	v_mov_b32_e32 v6, 0
                                        ; implicit-def: $vgpr7_vgpr8
	s_delay_alu instid0(VALU_DEP_1) | instskip(NEXT) | instid1(VALU_DEP_1)
	v_lshlrev_b64 v[4:5], 4, v[5:6]
	v_add_co_u32 v4, vcc_lo, s8, v4
	s_delay_alu instid0(VALU_DEP_2)
	v_add_co_ci_u32_e32 v5, vcc_lo, s9, v5, vcc_lo
	global_store_b128 v[4:5], v[0:3], off
                                        ; implicit-def: $vgpr4
                                        ; implicit-def: $vgpr5_vgpr6
                                        ; implicit-def: $vgpr0_vgpr1
.LBB437_41:
	s_and_not1_saveexec_b32 s0, s0
	s_cbranch_execz .LBB437_43
; %bb.42:
	v_mad_u64_u32 v[9:10], null, s12, 22, v[4:5]
	v_mov_b32_e32 v10, 0
	s_delay_alu instid0(VALU_DEP_1) | instskip(NEXT) | instid1(VALU_DEP_1)
	v_lshlrev_b64 v[9:10], 4, v[9:10]
	v_add_co_u32 v13, vcc_lo, s8, v9
	s_delay_alu instid0(VALU_DEP_2) | instskip(SKIP_4) | instid1(VALU_DEP_2)
	v_add_co_ci_u32_e32 v14, vcc_lo, s9, v10, vcc_lo
	global_load_b128 v[9:12], v[13:14], off
	s_waitcnt vmcnt(0)
	v_fma_f64 v[0:1], v[5:6], v[9:10], v[0:1]
	v_fma_f64 v[2:3], v[7:8], v[9:10], v[2:3]
	v_fma_f64 v[0:1], -v[7:8], v[11:12], v[0:1]
	s_delay_alu instid0(VALU_DEP_2)
	v_fma_f64 v[2:3], v[5:6], v[11:12], v[2:3]
	global_store_b128 v[13:14], v[0:3], off
.LBB437_43:
	s_nop 0
	s_sendmsg sendmsg(MSG_DEALLOC_VGPRS)
	s_endpgm
	.section	.rodata,"a",@progbits
	.p2align	6, 0x0
	.amdhsa_kernel _ZN9rocsparseL20bsrxmvn_17_32_kernelILj22E21rocsparse_complex_numIdEiidS2_S2_EEvT2_20rocsparse_direction_NS_24const_host_device_scalarIT0_EES3_PKS3_PKT1_SC_S9_PKT3_PKT4_S7_PT5_21rocsparse_index_base_b
		.amdhsa_group_segment_fixed_size 15488
		.amdhsa_private_segment_fixed_size 0
		.amdhsa_kernarg_size 112
		.amdhsa_user_sgpr_count 15
		.amdhsa_user_sgpr_dispatch_ptr 1
		.amdhsa_user_sgpr_queue_ptr 0
		.amdhsa_user_sgpr_kernarg_segment_ptr 1
		.amdhsa_user_sgpr_dispatch_id 0
		.amdhsa_user_sgpr_private_segment_size 0
		.amdhsa_wavefront_size32 1
		.amdhsa_uses_dynamic_stack 0
		.amdhsa_enable_private_segment 0
		.amdhsa_system_sgpr_workgroup_id_x 1
		.amdhsa_system_sgpr_workgroup_id_y 0
		.amdhsa_system_sgpr_workgroup_id_z 0
		.amdhsa_system_sgpr_workgroup_info 0
		.amdhsa_system_vgpr_workitem_id 2
		.amdhsa_next_free_vgpr 26
		.amdhsa_next_free_sgpr 18
		.amdhsa_reserve_vcc 1
		.amdhsa_float_round_mode_32 0
		.amdhsa_float_round_mode_16_64 0
		.amdhsa_float_denorm_mode_32 3
		.amdhsa_float_denorm_mode_16_64 3
		.amdhsa_dx10_clamp 1
		.amdhsa_ieee_mode 1
		.amdhsa_fp16_overflow 0
		.amdhsa_workgroup_processor_mode 1
		.amdhsa_memory_ordered 1
		.amdhsa_forward_progress 0
		.amdhsa_shared_vgpr_count 0
		.amdhsa_exception_fp_ieee_invalid_op 0
		.amdhsa_exception_fp_denorm_src 0
		.amdhsa_exception_fp_ieee_div_zero 0
		.amdhsa_exception_fp_ieee_overflow 0
		.amdhsa_exception_fp_ieee_underflow 0
		.amdhsa_exception_fp_ieee_inexact 0
		.amdhsa_exception_int_div_zero 0
	.end_amdhsa_kernel
	.section	.text._ZN9rocsparseL20bsrxmvn_17_32_kernelILj22E21rocsparse_complex_numIdEiidS2_S2_EEvT2_20rocsparse_direction_NS_24const_host_device_scalarIT0_EES3_PKS3_PKT1_SC_S9_PKT3_PKT4_S7_PT5_21rocsparse_index_base_b,"axG",@progbits,_ZN9rocsparseL20bsrxmvn_17_32_kernelILj22E21rocsparse_complex_numIdEiidS2_S2_EEvT2_20rocsparse_direction_NS_24const_host_device_scalarIT0_EES3_PKS3_PKT1_SC_S9_PKT3_PKT4_S7_PT5_21rocsparse_index_base_b,comdat
.Lfunc_end437:
	.size	_ZN9rocsparseL20bsrxmvn_17_32_kernelILj22E21rocsparse_complex_numIdEiidS2_S2_EEvT2_20rocsparse_direction_NS_24const_host_device_scalarIT0_EES3_PKS3_PKT1_SC_S9_PKT3_PKT4_S7_PT5_21rocsparse_index_base_b, .Lfunc_end437-_ZN9rocsparseL20bsrxmvn_17_32_kernelILj22E21rocsparse_complex_numIdEiidS2_S2_EEvT2_20rocsparse_direction_NS_24const_host_device_scalarIT0_EES3_PKS3_PKT1_SC_S9_PKT3_PKT4_S7_PT5_21rocsparse_index_base_b
                                        ; -- End function
	.section	.AMDGPU.csdata,"",@progbits
; Kernel info:
; codeLenInByte = 2080
; NumSgprs: 20
; NumVgprs: 26
; ScratchSize: 0
; MemoryBound: 0
; FloatMode: 240
; IeeeMode: 1
; LDSByteSize: 15488 bytes/workgroup (compile time only)
; SGPRBlocks: 2
; VGPRBlocks: 3
; NumSGPRsForWavesPerEU: 20
; NumVGPRsForWavesPerEU: 26
; Occupancy: 16
; WaveLimiterHint : 1
; COMPUTE_PGM_RSRC2:SCRATCH_EN: 0
; COMPUTE_PGM_RSRC2:USER_SGPR: 15
; COMPUTE_PGM_RSRC2:TRAP_HANDLER: 0
; COMPUTE_PGM_RSRC2:TGID_X_EN: 1
; COMPUTE_PGM_RSRC2:TGID_Y_EN: 0
; COMPUTE_PGM_RSRC2:TGID_Z_EN: 0
; COMPUTE_PGM_RSRC2:TIDIG_COMP_CNT: 2
	.section	.text._ZN9rocsparseL20bsrxmvn_17_32_kernelILj23E21rocsparse_complex_numIdEiidS2_S2_EEvT2_20rocsparse_direction_NS_24const_host_device_scalarIT0_EES3_PKS3_PKT1_SC_S9_PKT3_PKT4_S7_PT5_21rocsparse_index_base_b,"axG",@progbits,_ZN9rocsparseL20bsrxmvn_17_32_kernelILj23E21rocsparse_complex_numIdEiidS2_S2_EEvT2_20rocsparse_direction_NS_24const_host_device_scalarIT0_EES3_PKS3_PKT1_SC_S9_PKT3_PKT4_S7_PT5_21rocsparse_index_base_b,comdat
	.globl	_ZN9rocsparseL20bsrxmvn_17_32_kernelILj23E21rocsparse_complex_numIdEiidS2_S2_EEvT2_20rocsparse_direction_NS_24const_host_device_scalarIT0_EES3_PKS3_PKT1_SC_S9_PKT3_PKT4_S7_PT5_21rocsparse_index_base_b ; -- Begin function _ZN9rocsparseL20bsrxmvn_17_32_kernelILj23E21rocsparse_complex_numIdEiidS2_S2_EEvT2_20rocsparse_direction_NS_24const_host_device_scalarIT0_EES3_PKS3_PKT1_SC_S9_PKT3_PKT4_S7_PT5_21rocsparse_index_base_b
	.p2align	8
	.type	_ZN9rocsparseL20bsrxmvn_17_32_kernelILj23E21rocsparse_complex_numIdEiidS2_S2_EEvT2_20rocsparse_direction_NS_24const_host_device_scalarIT0_EES3_PKS3_PKT1_SC_S9_PKT3_PKT4_S7_PT5_21rocsparse_index_base_b,@function
_ZN9rocsparseL20bsrxmvn_17_32_kernelILj23E21rocsparse_complex_numIdEiidS2_S2_EEvT2_20rocsparse_direction_NS_24const_host_device_scalarIT0_EES3_PKS3_PKT1_SC_S9_PKT3_PKT4_S7_PT5_21rocsparse_index_base_b: ; @_ZN9rocsparseL20bsrxmvn_17_32_kernelILj23E21rocsparse_complex_numIdEiidS2_S2_EEvT2_20rocsparse_direction_NS_24const_host_device_scalarIT0_EES3_PKS3_PKT1_SC_S9_PKT3_PKT4_S7_PT5_21rocsparse_index_base_b
; %bb.0:
	s_mov_b32 s12, s15
	s_clause 0x1
	s_load_b64 s[14:15], s[2:3], 0x68
	s_load_b128 s[4:7], s[2:3], 0x8
	s_load_b64 s[16:17], s[0:1], 0x4
	s_mov_b64 s[0:1], src_shared_base
	v_and_b32_e32 v4, 0x3ff, v0
	s_load_b128 s[8:11], s[2:3], 0x50
	v_bfe_u32 v2, v0, 10, 10
	v_bfe_u32 v0, v0, 20, 10
	s_waitcnt lgkmcnt(0)
	s_bitcmp1_b32 s15, 0
	v_mov_b32_e32 v12, s7
	s_cselect_b32 s0, -1, 0
	v_mov_b32_e32 v11, s6
	s_and_b32 vcc_lo, s0, exec_lo
	s_cselect_b32 s13, s1, s5
	s_lshr_b32 s15, s16, 16
	v_mov_b32_e32 v6, s13
	s_mul_i32 s15, s15, s17
	s_xor_b32 s6, s0, -1
	v_mul_lo_u32 v1, s15, v4
	s_delay_alu instid0(VALU_DEP_1) | instskip(SKIP_1) | instid1(VALU_DEP_2)
	v_mad_u32_u24 v1, v2, s17, v1
	v_dual_mov_b32 v2, s8 :: v_dual_mov_b32 v3, s9
	v_add_lshl_u32 v7, v1, v0, 3
	v_dual_mov_b32 v0, s4 :: v_dual_mov_b32 v1, s5
	ds_store_b64 v7, v[0:1] offset:12696
	ds_store_b64 v7, v[2:3] offset:8464
	v_add_nc_u32_e32 v5, 0x3198, v7
	v_add_nc_u32_e32 v0, 0x2110, v7
	s_delay_alu instid0(VALU_DEP_2)
	v_cndmask_b32_e64 v5, s4, v5, s0
	flat_load_b64 v[9:10], v[5:6]
	s_cbranch_vccnz .LBB438_2
; %bb.1:
	v_dual_mov_b32 v1, s4 :: v_dual_mov_b32 v2, s5
	flat_load_b64 v[11:12], v[1:2] offset:8
.LBB438_2:
	s_and_b32 s4, s0, exec_lo
	s_cselect_b32 s1, s1, s9
	v_cndmask_b32_e64 v0, s8, v0, s0
	v_mov_b32_e32 v1, s1
	v_dual_mov_b32 v7, s10 :: v_dual_mov_b32 v8, s11
	s_and_not1_b32 vcc_lo, exec_lo, s6
	flat_load_b64 v[5:6], v[0:1]
	s_cbranch_vccnz .LBB438_4
; %bb.3:
	v_dual_mov_b32 v0, s8 :: v_dual_mov_b32 v1, s9
	flat_load_b64 v[7:8], v[0:1] offset:8
.LBB438_4:
	s_waitcnt vmcnt(1) lgkmcnt(1)
	v_cmp_eq_f64_e32 vcc_lo, 0, v[9:10]
	v_cmp_eq_f64_e64 s0, 0, v[11:12]
	s_delay_alu instid0(VALU_DEP_1)
	s_and_b32 s4, vcc_lo, s0
	s_mov_b32 s0, -1
	s_and_saveexec_b32 s1, s4
	s_cbranch_execz .LBB438_6
; %bb.5:
	s_waitcnt vmcnt(0) lgkmcnt(0)
	v_cmp_neq_f64_e32 vcc_lo, 1.0, v[5:6]
	v_cmp_neq_f64_e64 s0, 0, v[7:8]
	s_delay_alu instid0(VALU_DEP_1) | instskip(NEXT) | instid1(SALU_CYCLE_1)
	s_or_b32 s0, vcc_lo, s0
	s_or_not1_b32 s0, s0, exec_lo
.LBB438_6:
	s_or_b32 exec_lo, exec_lo, s1
	s_and_saveexec_b32 s1, s0
	s_cbranch_execz .LBB438_43
; %bb.7:
	s_clause 0x1
	s_load_b128 s[4:7], s[2:3], 0x20
	s_load_b64 s[0:1], s[2:3], 0x30
	s_waitcnt lgkmcnt(0)
	s_cmp_eq_u64 s[4:5], 0
	s_cbranch_scc1 .LBB438_9
; %bb.8:
	s_ashr_i32 s13, s12, 31
	s_delay_alu instid0(SALU_CYCLE_1) | instskip(NEXT) | instid1(SALU_CYCLE_1)
	s_lshl_b64 s[8:9], s[12:13], 2
	s_add_u32 s4, s4, s8
	s_addc_u32 s5, s5, s9
	s_load_b32 s4, s[4:5], 0x0
	s_waitcnt lgkmcnt(0)
	s_sub_i32 s12, s4, s14
.LBB438_9:
	s_load_b32 s4, s[2:3], 0x4
	v_mul_u32_u24_e32 v0, 0xb22, v4
	v_mov_b32_e32 v2, 0
	v_mov_b32_e32 v3, 0
	s_delay_alu instid0(VALU_DEP_3) | instskip(NEXT) | instid1(VALU_DEP_1)
	v_lshrrev_b32_e32 v13, 16, v0
	v_mul_lo_u16 v0, v13, 23
	s_delay_alu instid0(VALU_DEP_1) | instskip(NEXT) | instid1(VALU_DEP_4)
	v_sub_nc_u16 v16, v4, v0
	v_dual_mov_b32 v0, v2 :: v_dual_mov_b32 v1, v3
	s_waitcnt lgkmcnt(0)
	s_cmp_eq_u32 s4, 1
	s_cselect_b32 vcc_lo, -1, 0
	s_cmp_lg_u32 s4, 1
	s_cselect_b32 s8, -1, 0
	s_ashr_i32 s13, s12, 31
	s_delay_alu instid0(SALU_CYCLE_1) | instskip(NEXT) | instid1(SALU_CYCLE_1)
	s_lshl_b64 s[4:5], s[12:13], 2
	s_add_u32 s6, s6, s4
	s_addc_u32 s7, s7, s5
	s_add_u32 s9, s6, 4
	s_addc_u32 s10, s7, 0
	;; [unrolled: 2-line block ×3, first 2 shown]
	s_cmp_eq_u64 s[0:1], 0
	s_cselect_b32 s1, s10, s5
	s_cselect_b32 s0, s9, s4
	s_load_b32 s6, s[6:7], 0x0
	s_load_b32 s7, s[0:1], 0x0
	s_load_b64 s[4:5], s[2:3], 0x60
	s_waitcnt lgkmcnt(0)
	s_cmp_ge_i32 s6, s7
	s_cbranch_scc1 .LBB438_14
; %bb.10:
	s_clause 0x1
	s_load_b128 s[16:19], s[2:3], 0x38
	s_load_b64 s[0:1], s[2:3], 0x48
	v_dual_mov_b32 v2, 0 :: v_dual_and_b32 v1, 0xffff, v13
	s_sub_i32 s2, s6, s14
	v_dual_mov_b32 v3, 0 :: v_dual_and_b32 v0, 0xffff, v16
	v_lshlrev_b32_e32 v14, 3, v4
	s_sub_i32 s9, s7, s14
	s_mul_i32 s7, s2, 0x1088
	s_delay_alu instid0(VALU_DEP_2)
	v_cndmask_b32_e32 v13, v0, v1, vcc_lo
	s_ashr_i32 s3, s2, 31
	s_mul_hi_i32 s6, s2, 0x1088
	v_dual_mov_b32 v0, v2 :: v_dual_mov_b32 v1, v3
	s_waitcnt lgkmcnt(0)
	s_add_u32 s10, s18, s7
	s_addc_u32 s11, s19, s6
	s_lshl_b64 s[6:7], s[2:3], 2
	v_add_co_u32 v14, s3, s10, v14
	s_delay_alu instid0(VALU_DEP_1)
	v_add_co_ci_u32_e64 v15, null, s11, 0, s3
	s_add_u32 s6, s16, s6
	s_addc_u32 s7, s17, s7
	s_set_inst_prefetch_distance 0x1
	s_branch .LBB438_12
	.p2align	6
.LBB438_11:                             ;   in Loop: Header=BB438_12 Depth=1
	s_add_i32 s2, s2, 1
	s_add_u32 s6, s6, 4
	s_addc_u32 s7, s7, 0
	s_cmp_lt_i32 s2, s9
	s_cbranch_scc0 .LBB438_14
.LBB438_12:                             ; =>This Inner Loop Header: Depth=1
	s_cmp_ge_i32 s2, s9
	s_cbranch_scc1 .LBB438_11
; %bb.13:                               ;   in Loop: Header=BB438_12 Depth=1
	s_load_b32 s3, s[6:7], 0x0
	s_waitcnt lgkmcnt(0)
	s_sub_i32 s3, s3, s14
	s_delay_alu instid0(SALU_CYCLE_1) | instskip(NEXT) | instid1(VALU_DEP_1)
	v_mad_u64_u32 v[17:18], null, s3, 23, v[13:14]
	v_ashrrev_i32_e32 v18, 31, v17
	s_delay_alu instid0(VALU_DEP_1) | instskip(NEXT) | instid1(VALU_DEP_1)
	v_lshlrev_b64 v[17:18], 4, v[17:18]
	v_add_co_u32 v17, vcc_lo, s0, v17
	s_delay_alu instid0(VALU_DEP_2)
	v_add_co_ci_u32_e32 v18, vcc_lo, s1, v18, vcc_lo
	global_load_b64 v[21:22], v[14:15], off
	global_load_b128 v[17:20], v[17:18], off
	v_add_co_u32 v14, vcc_lo, 0x1088, v14
	v_add_co_ci_u32_e32 v15, vcc_lo, 0, v15, vcc_lo
	s_waitcnt vmcnt(0)
	v_fma_f64 v[0:1], v[21:22], v[17:18], v[0:1]
	v_fma_f64 v[2:3], v[17:18], 0, v[2:3]
	s_delay_alu instid0(VALU_DEP_2) | instskip(NEXT) | instid1(VALU_DEP_2)
	v_fma_f64 v[0:1], 0x80000000, v[19:20], v[0:1]
	v_fma_f64 v[2:3], v[21:22], v[19:20], v[2:3]
	s_branch .LBB438_11
.LBB438_14:
	s_set_inst_prefetch_distance 0x2
	v_lshlrev_b32_e32 v17, 4, v4
	s_and_b32 vcc_lo, exec_lo, s8
	ds_store_b128 v17, v[0:3]
	s_waitcnt vmcnt(0) lgkmcnt(0)
	s_barrier
	buffer_gl0_inv
	s_cbranch_vccz .LBB438_26
; %bb.15:
	s_mov_b32 s0, exec_lo
	v_cmpx_gt_u16_e32 7, v16
	s_cbranch_execz .LBB438_17
; %bb.16:
	ds_load_b128 v[18:21], v17 offset:256
	ds_load_b128 v[22:25], v17
	s_waitcnt lgkmcnt(0)
	v_add_f64 v[18:19], v[18:19], v[22:23]
	v_add_f64 v[20:21], v[20:21], v[24:25]
	ds_store_b128 v17, v[18:21]
.LBB438_17:
	s_or_b32 exec_lo, exec_lo, s0
	s_delay_alu instid0(SALU_CYCLE_1)
	s_mov_b32 s0, exec_lo
	s_waitcnt lgkmcnt(0)
	s_barrier
	buffer_gl0_inv
	v_cmpx_gt_u16_e32 8, v16
	s_cbranch_execz .LBB438_19
; %bb.18:
	ds_load_b128 v[18:21], v17 offset:128
	ds_load_b128 v[22:25], v17
	s_waitcnt lgkmcnt(0)
	v_add_f64 v[18:19], v[18:19], v[22:23]
	v_add_f64 v[20:21], v[20:21], v[24:25]
	ds_store_b128 v17, v[18:21]
.LBB438_19:
	s_or_b32 exec_lo, exec_lo, s0
	s_delay_alu instid0(SALU_CYCLE_1)
	s_mov_b32 s0, exec_lo
	s_waitcnt lgkmcnt(0)
	s_barrier
	buffer_gl0_inv
	;; [unrolled: 16-line block ×3, first 2 shown]
	v_cmpx_gt_u16_e32 2, v16
	s_cbranch_execz .LBB438_23
; %bb.22:
	ds_load_b128 v[13:16], v17
	ds_load_b128 v[18:21], v17 offset:32
	s_waitcnt lgkmcnt(0)
	v_add_f64 v[13:14], v[18:19], v[13:14]
	v_add_f64 v[15:16], v[20:21], v[15:16]
	ds_store_b128 v17, v[13:16]
.LBB438_23:
	s_or_b32 exec_lo, exec_lo, s0
	v_dual_mov_b32 v16, v3 :: v_dual_mov_b32 v15, v2
	v_dual_mov_b32 v14, v1 :: v_dual_mov_b32 v13, v0
	s_mov_b32 s0, exec_lo
	s_waitcnt lgkmcnt(0)
	s_barrier
	buffer_gl0_inv
	v_cmpx_gt_u32_e32 23, v4
	s_cbranch_execz .LBB438_25
; %bb.24:
	v_mul_u32_u24_e32 v13, 23, v4
	s_delay_alu instid0(VALU_DEP_1)
	v_lshlrev_b32_e32 v18, 4, v13
	ds_load_b128 v[13:16], v18
	ds_load_b128 v[18:21], v18 offset:16
	s_waitcnt lgkmcnt(0)
	v_add_f64 v[13:14], v[18:19], v[13:14]
	v_add_f64 v[15:16], v[20:21], v[15:16]
.LBB438_25:
	s_or_b32 exec_lo, exec_lo, s0
	s_branch .LBB438_38
.LBB438_26:
                                        ; implicit-def: $vgpr15_vgpr16
                                        ; implicit-def: $vgpr13_vgpr14
	s_cbranch_execz .LBB438_38
; %bb.27:
	s_mov_b32 s0, exec_lo
	v_cmpx_gt_u32_e32 0xa1, v4
	s_cbranch_execz .LBB438_29
; %bb.28:
	ds_load_b128 v[13:16], v17 offset:5888
	ds_load_b128 v[18:21], v17
	s_waitcnt lgkmcnt(0)
	v_add_f64 v[13:14], v[13:14], v[18:19]
	v_add_f64 v[15:16], v[15:16], v[20:21]
	ds_store_b128 v17, v[13:16]
.LBB438_29:
	s_or_b32 exec_lo, exec_lo, s0
	s_delay_alu instid0(SALU_CYCLE_1)
	s_mov_b32 s0, exec_lo
	s_waitcnt lgkmcnt(0)
	s_barrier
	buffer_gl0_inv
	v_cmpx_gt_u32_e32 0xb8, v4
	s_cbranch_execz .LBB438_31
; %bb.30:
	ds_load_b128 v[13:16], v17 offset:2944
	ds_load_b128 v[18:21], v17
	s_waitcnt lgkmcnt(0)
	v_add_f64 v[13:14], v[13:14], v[18:19]
	v_add_f64 v[15:16], v[15:16], v[20:21]
	ds_store_b128 v17, v[13:16]
.LBB438_31:
	s_or_b32 exec_lo, exec_lo, s0
	s_delay_alu instid0(SALU_CYCLE_1)
	s_mov_b32 s0, exec_lo
	s_waitcnt lgkmcnt(0)
	s_barrier
	buffer_gl0_inv
	;; [unrolled: 16-line block ×3, first 2 shown]
	v_cmpx_gt_u32_e32 46, v4
	s_cbranch_execz .LBB438_35
; %bb.34:
	ds_load_b128 v[13:16], v17 offset:736
	ds_load_b128 v[18:21], v17
	s_waitcnt lgkmcnt(0)
	v_add_f64 v[13:14], v[13:14], v[18:19]
	v_add_f64 v[15:16], v[15:16], v[20:21]
	ds_store_b128 v17, v[13:16]
.LBB438_35:
	s_or_b32 exec_lo, exec_lo, s0
	s_delay_alu instid0(SALU_CYCLE_1)
	s_mov_b32 s0, exec_lo
	s_waitcnt lgkmcnt(0)
	buffer_gl0_inv
	v_cmpx_gt_u32_e32 23, v4
	s_cbranch_execz .LBB438_37
; %bb.36:
	ds_load_b128 v[0:3], v17 offset:368
	ds_load_b128 v[13:16], v17
	s_waitcnt lgkmcnt(0)
	v_add_f64 v[0:1], v[0:1], v[13:14]
	v_add_f64 v[2:3], v[2:3], v[15:16]
.LBB438_37:
	s_or_b32 exec_lo, exec_lo, s0
	s_delay_alu instid0(VALU_DEP_1) | instskip(NEXT) | instid1(VALU_DEP_3)
	v_dual_mov_b32 v16, v3 :: v_dual_mov_b32 v15, v2
	v_dual_mov_b32 v14, v1 :: v_dual_mov_b32 v13, v0
.LBB438_38:
	v_cmp_gt_u32_e32 vcc_lo, 23, v4
	s_and_b32 exec_lo, exec_lo, vcc_lo
	s_cbranch_execz .LBB438_43
; %bb.39:
	s_delay_alu instid0(VALU_DEP_2) | instskip(SKIP_3) | instid1(VALU_DEP_4)
	v_mul_f64 v[0:1], v[15:16], -v[11:12]
	v_mul_f64 v[2:3], v[9:10], v[15:16]
	v_cmp_eq_f64_e32 vcc_lo, 0, v[5:6]
	v_cmp_eq_f64_e64 s0, 0, v[7:8]
	v_fma_f64 v[0:1], v[9:10], v[13:14], v[0:1]
	s_delay_alu instid0(VALU_DEP_4) | instskip(NEXT) | instid1(VALU_DEP_3)
	v_fma_f64 v[2:3], v[11:12], v[13:14], v[2:3]
	s_and_b32 s0, vcc_lo, s0
	s_delay_alu instid0(SALU_CYCLE_1) | instskip(NEXT) | instid1(SALU_CYCLE_1)
	s_and_saveexec_b32 s1, s0
	s_xor_b32 s0, exec_lo, s1
	s_cbranch_execz .LBB438_41
; %bb.40:
	v_mad_u64_u32 v[5:6], null, s12, 23, v[4:5]
	v_mov_b32_e32 v6, 0
                                        ; implicit-def: $vgpr7_vgpr8
	s_delay_alu instid0(VALU_DEP_1) | instskip(NEXT) | instid1(VALU_DEP_1)
	v_lshlrev_b64 v[4:5], 4, v[5:6]
	v_add_co_u32 v4, vcc_lo, s4, v4
	s_delay_alu instid0(VALU_DEP_2)
	v_add_co_ci_u32_e32 v5, vcc_lo, s5, v5, vcc_lo
	global_store_b128 v[4:5], v[0:3], off
                                        ; implicit-def: $vgpr4
                                        ; implicit-def: $vgpr5_vgpr6
                                        ; implicit-def: $vgpr0_vgpr1
.LBB438_41:
	s_and_not1_saveexec_b32 s0, s0
	s_cbranch_execz .LBB438_43
; %bb.42:
	v_mad_u64_u32 v[9:10], null, s12, 23, v[4:5]
	v_mov_b32_e32 v10, 0
	s_delay_alu instid0(VALU_DEP_1) | instskip(NEXT) | instid1(VALU_DEP_1)
	v_lshlrev_b64 v[9:10], 4, v[9:10]
	v_add_co_u32 v13, vcc_lo, s4, v9
	s_delay_alu instid0(VALU_DEP_2) | instskip(SKIP_4) | instid1(VALU_DEP_2)
	v_add_co_ci_u32_e32 v14, vcc_lo, s5, v10, vcc_lo
	global_load_b128 v[9:12], v[13:14], off
	s_waitcnt vmcnt(0)
	v_fma_f64 v[0:1], v[5:6], v[9:10], v[0:1]
	v_fma_f64 v[2:3], v[7:8], v[9:10], v[2:3]
	v_fma_f64 v[0:1], -v[7:8], v[11:12], v[0:1]
	s_delay_alu instid0(VALU_DEP_2)
	v_fma_f64 v[2:3], v[5:6], v[11:12], v[2:3]
	global_store_b128 v[13:14], v[0:3], off
.LBB438_43:
	s_nop 0
	s_sendmsg sendmsg(MSG_DEALLOC_VGPRS)
	s_endpgm
	.section	.rodata,"a",@progbits
	.p2align	6, 0x0
	.amdhsa_kernel _ZN9rocsparseL20bsrxmvn_17_32_kernelILj23E21rocsparse_complex_numIdEiidS2_S2_EEvT2_20rocsparse_direction_NS_24const_host_device_scalarIT0_EES3_PKS3_PKT1_SC_S9_PKT3_PKT4_S7_PT5_21rocsparse_index_base_b
		.amdhsa_group_segment_fixed_size 16928
		.amdhsa_private_segment_fixed_size 0
		.amdhsa_kernarg_size 112
		.amdhsa_user_sgpr_count 15
		.amdhsa_user_sgpr_dispatch_ptr 1
		.amdhsa_user_sgpr_queue_ptr 0
		.amdhsa_user_sgpr_kernarg_segment_ptr 1
		.amdhsa_user_sgpr_dispatch_id 0
		.amdhsa_user_sgpr_private_segment_size 0
		.amdhsa_wavefront_size32 1
		.amdhsa_uses_dynamic_stack 0
		.amdhsa_enable_private_segment 0
		.amdhsa_system_sgpr_workgroup_id_x 1
		.amdhsa_system_sgpr_workgroup_id_y 0
		.amdhsa_system_sgpr_workgroup_id_z 0
		.amdhsa_system_sgpr_workgroup_info 0
		.amdhsa_system_vgpr_workitem_id 2
		.amdhsa_next_free_vgpr 26
		.amdhsa_next_free_sgpr 20
		.amdhsa_reserve_vcc 1
		.amdhsa_float_round_mode_32 0
		.amdhsa_float_round_mode_16_64 0
		.amdhsa_float_denorm_mode_32 3
		.amdhsa_float_denorm_mode_16_64 3
		.amdhsa_dx10_clamp 1
		.amdhsa_ieee_mode 1
		.amdhsa_fp16_overflow 0
		.amdhsa_workgroup_processor_mode 1
		.amdhsa_memory_ordered 1
		.amdhsa_forward_progress 0
		.amdhsa_shared_vgpr_count 0
		.amdhsa_exception_fp_ieee_invalid_op 0
		.amdhsa_exception_fp_denorm_src 0
		.amdhsa_exception_fp_ieee_div_zero 0
		.amdhsa_exception_fp_ieee_overflow 0
		.amdhsa_exception_fp_ieee_underflow 0
		.amdhsa_exception_fp_ieee_inexact 0
		.amdhsa_exception_int_div_zero 0
	.end_amdhsa_kernel
	.section	.text._ZN9rocsparseL20bsrxmvn_17_32_kernelILj23E21rocsparse_complex_numIdEiidS2_S2_EEvT2_20rocsparse_direction_NS_24const_host_device_scalarIT0_EES3_PKS3_PKT1_SC_S9_PKT3_PKT4_S7_PT5_21rocsparse_index_base_b,"axG",@progbits,_ZN9rocsparseL20bsrxmvn_17_32_kernelILj23E21rocsparse_complex_numIdEiidS2_S2_EEvT2_20rocsparse_direction_NS_24const_host_device_scalarIT0_EES3_PKS3_PKT1_SC_S9_PKT3_PKT4_S7_PT5_21rocsparse_index_base_b,comdat
.Lfunc_end438:
	.size	_ZN9rocsparseL20bsrxmvn_17_32_kernelILj23E21rocsparse_complex_numIdEiidS2_S2_EEvT2_20rocsparse_direction_NS_24const_host_device_scalarIT0_EES3_PKS3_PKT1_SC_S9_PKT3_PKT4_S7_PT5_21rocsparse_index_base_b, .Lfunc_end438-_ZN9rocsparseL20bsrxmvn_17_32_kernelILj23E21rocsparse_complex_numIdEiidS2_S2_EEvT2_20rocsparse_direction_NS_24const_host_device_scalarIT0_EES3_PKS3_PKT1_SC_S9_PKT3_PKT4_S7_PT5_21rocsparse_index_base_b
                                        ; -- End function
	.section	.AMDGPU.csdata,"",@progbits
; Kernel info:
; codeLenInByte = 2000
; NumSgprs: 22
; NumVgprs: 26
; ScratchSize: 0
; MemoryBound: 0
; FloatMode: 240
; IeeeMode: 1
; LDSByteSize: 16928 bytes/workgroup (compile time only)
; SGPRBlocks: 2
; VGPRBlocks: 3
; NumSGPRsForWavesPerEU: 22
; NumVGPRsForWavesPerEU: 26
; Occupancy: 13
; WaveLimiterHint : 1
; COMPUTE_PGM_RSRC2:SCRATCH_EN: 0
; COMPUTE_PGM_RSRC2:USER_SGPR: 15
; COMPUTE_PGM_RSRC2:TRAP_HANDLER: 0
; COMPUTE_PGM_RSRC2:TGID_X_EN: 1
; COMPUTE_PGM_RSRC2:TGID_Y_EN: 0
; COMPUTE_PGM_RSRC2:TGID_Z_EN: 0
; COMPUTE_PGM_RSRC2:TIDIG_COMP_CNT: 2
	.section	.text._ZN9rocsparseL20bsrxmvn_17_32_kernelILj24E21rocsparse_complex_numIdEiidS2_S2_EEvT2_20rocsparse_direction_NS_24const_host_device_scalarIT0_EES3_PKS3_PKT1_SC_S9_PKT3_PKT4_S7_PT5_21rocsparse_index_base_b,"axG",@progbits,_ZN9rocsparseL20bsrxmvn_17_32_kernelILj24E21rocsparse_complex_numIdEiidS2_S2_EEvT2_20rocsparse_direction_NS_24const_host_device_scalarIT0_EES3_PKS3_PKT1_SC_S9_PKT3_PKT4_S7_PT5_21rocsparse_index_base_b,comdat
	.globl	_ZN9rocsparseL20bsrxmvn_17_32_kernelILj24E21rocsparse_complex_numIdEiidS2_S2_EEvT2_20rocsparse_direction_NS_24const_host_device_scalarIT0_EES3_PKS3_PKT1_SC_S9_PKT3_PKT4_S7_PT5_21rocsparse_index_base_b ; -- Begin function _ZN9rocsparseL20bsrxmvn_17_32_kernelILj24E21rocsparse_complex_numIdEiidS2_S2_EEvT2_20rocsparse_direction_NS_24const_host_device_scalarIT0_EES3_PKS3_PKT1_SC_S9_PKT3_PKT4_S7_PT5_21rocsparse_index_base_b
	.p2align	8
	.type	_ZN9rocsparseL20bsrxmvn_17_32_kernelILj24E21rocsparse_complex_numIdEiidS2_S2_EEvT2_20rocsparse_direction_NS_24const_host_device_scalarIT0_EES3_PKS3_PKT1_SC_S9_PKT3_PKT4_S7_PT5_21rocsparse_index_base_b,@function
_ZN9rocsparseL20bsrxmvn_17_32_kernelILj24E21rocsparse_complex_numIdEiidS2_S2_EEvT2_20rocsparse_direction_NS_24const_host_device_scalarIT0_EES3_PKS3_PKT1_SC_S9_PKT3_PKT4_S7_PT5_21rocsparse_index_base_b: ; @_ZN9rocsparseL20bsrxmvn_17_32_kernelILj24E21rocsparse_complex_numIdEiidS2_S2_EEvT2_20rocsparse_direction_NS_24const_host_device_scalarIT0_EES3_PKS3_PKT1_SC_S9_PKT3_PKT4_S7_PT5_21rocsparse_index_base_b
; %bb.0:
	s_mov_b32 s12, s15
	s_clause 0x1
	s_load_b64 s[14:15], s[2:3], 0x68
	s_load_b128 s[4:7], s[2:3], 0x8
	s_load_b64 s[16:17], s[0:1], 0x4
	s_mov_b64 s[0:1], src_shared_base
	v_and_b32_e32 v4, 0x3ff, v0
	s_load_b128 s[8:11], s[2:3], 0x50
	v_bfe_u32 v2, v0, 10, 10
	v_bfe_u32 v0, v0, 20, 10
	s_waitcnt lgkmcnt(0)
	s_bitcmp1_b32 s15, 0
	v_mov_b32_e32 v12, s7
	s_cselect_b32 s0, -1, 0
	v_mov_b32_e32 v11, s6
	s_and_b32 vcc_lo, s0, exec_lo
	s_cselect_b32 s13, s1, s5
	s_lshr_b32 s15, s16, 16
	v_mov_b32_e32 v6, s13
	s_mul_i32 s15, s15, s17
	s_xor_b32 s6, s0, -1
	v_mul_lo_u32 v1, s15, v4
	s_delay_alu instid0(VALU_DEP_1) | instskip(SKIP_1) | instid1(VALU_DEP_2)
	v_mad_u32_u24 v1, v2, s17, v1
	v_dual_mov_b32 v2, s8 :: v_dual_mov_b32 v3, s9
	v_add_lshl_u32 v7, v1, v0, 3
	v_dual_mov_b32 v0, s4 :: v_dual_mov_b32 v1, s5
	s_delay_alu instid0(VALU_DEP_2)
	v_add_nc_u32_e32 v5, 0x3600, v7
	ds_store_2addr_stride64_b64 v7, v[2:3], v[0:1] offset0:18 offset1:27
	v_add_nc_u32_e32 v0, 0x2400, v7
	v_cndmask_b32_e64 v5, s4, v5, s0
	flat_load_b64 v[9:10], v[5:6]
	s_cbranch_vccnz .LBB439_2
; %bb.1:
	v_dual_mov_b32 v1, s4 :: v_dual_mov_b32 v2, s5
	flat_load_b64 v[11:12], v[1:2] offset:8
.LBB439_2:
	s_and_b32 s4, s0, exec_lo
	s_cselect_b32 s1, s1, s9
	v_cndmask_b32_e64 v0, s8, v0, s0
	v_mov_b32_e32 v1, s1
	v_dual_mov_b32 v7, s10 :: v_dual_mov_b32 v8, s11
	s_and_not1_b32 vcc_lo, exec_lo, s6
	flat_load_b64 v[5:6], v[0:1]
	s_cbranch_vccnz .LBB439_4
; %bb.3:
	v_dual_mov_b32 v0, s8 :: v_dual_mov_b32 v1, s9
	flat_load_b64 v[7:8], v[0:1] offset:8
.LBB439_4:
	s_waitcnt vmcnt(1) lgkmcnt(1)
	v_cmp_eq_f64_e32 vcc_lo, 0, v[9:10]
	v_cmp_eq_f64_e64 s0, 0, v[11:12]
	s_delay_alu instid0(VALU_DEP_1)
	s_and_b32 s4, vcc_lo, s0
	s_mov_b32 s0, -1
	s_and_saveexec_b32 s1, s4
	s_cbranch_execz .LBB439_6
; %bb.5:
	s_waitcnt vmcnt(0) lgkmcnt(0)
	v_cmp_neq_f64_e32 vcc_lo, 1.0, v[5:6]
	v_cmp_neq_f64_e64 s0, 0, v[7:8]
	s_delay_alu instid0(VALU_DEP_1) | instskip(NEXT) | instid1(SALU_CYCLE_1)
	s_or_b32 s0, vcc_lo, s0
	s_or_not1_b32 s0, s0, exec_lo
.LBB439_6:
	s_or_b32 exec_lo, exec_lo, s1
	s_and_saveexec_b32 s1, s0
	s_cbranch_execz .LBB439_43
; %bb.7:
	s_clause 0x1
	s_load_b128 s[4:7], s[2:3], 0x20
	s_load_b64 s[0:1], s[2:3], 0x30
	s_waitcnt lgkmcnt(0)
	s_cmp_eq_u64 s[4:5], 0
	s_cbranch_scc1 .LBB439_9
; %bb.8:
	s_ashr_i32 s13, s12, 31
	s_delay_alu instid0(SALU_CYCLE_1) | instskip(NEXT) | instid1(SALU_CYCLE_1)
	s_lshl_b64 s[8:9], s[12:13], 2
	s_add_u32 s4, s4, s8
	s_addc_u32 s5, s5, s9
	s_load_b32 s4, s[4:5], 0x0
	s_waitcnt lgkmcnt(0)
	s_sub_i32 s12, s4, s14
.LBB439_9:
	s_load_b32 s4, s[2:3], 0x4
	v_mul_u32_u24_e32 v0, 0xaab, v4
	v_mov_b32_e32 v2, 0
	v_mov_b32_e32 v3, 0
	s_delay_alu instid0(VALU_DEP_3) | instskip(NEXT) | instid1(VALU_DEP_1)
	v_lshrrev_b32_e32 v13, 16, v0
	v_mul_lo_u16 v0, v13, 24
	s_delay_alu instid0(VALU_DEP_1) | instskip(NEXT) | instid1(VALU_DEP_4)
	v_sub_nc_u16 v16, v4, v0
	v_dual_mov_b32 v0, v2 :: v_dual_mov_b32 v1, v3
	s_waitcnt lgkmcnt(0)
	s_cmp_eq_u32 s4, 1
	s_cselect_b32 vcc_lo, -1, 0
	s_cmp_lg_u32 s4, 1
	s_cselect_b32 s8, -1, 0
	s_ashr_i32 s13, s12, 31
	s_delay_alu instid0(SALU_CYCLE_1) | instskip(NEXT) | instid1(SALU_CYCLE_1)
	s_lshl_b64 s[4:5], s[12:13], 2
	s_add_u32 s6, s6, s4
	s_addc_u32 s7, s7, s5
	s_add_u32 s9, s6, 4
	s_addc_u32 s10, s7, 0
	;; [unrolled: 2-line block ×3, first 2 shown]
	s_cmp_eq_u64 s[0:1], 0
	s_cselect_b32 s1, s10, s5
	s_cselect_b32 s0, s9, s4
	s_load_b32 s6, s[6:7], 0x0
	s_load_b32 s7, s[0:1], 0x0
	s_load_b64 s[4:5], s[2:3], 0x60
	s_waitcnt lgkmcnt(0)
	s_cmp_ge_i32 s6, s7
	s_cbranch_scc1 .LBB439_14
; %bb.10:
	s_clause 0x1
	s_load_b128 s[16:19], s[2:3], 0x38
	s_load_b64 s[0:1], s[2:3], 0x48
	v_dual_mov_b32 v2, 0 :: v_dual_and_b32 v1, 0xffff, v13
	s_sub_i32 s2, s6, s14
	v_dual_mov_b32 v3, 0 :: v_dual_and_b32 v0, 0xffff, v16
	v_lshlrev_b32_e32 v14, 3, v4
	s_sub_i32 s9, s7, s14
	s_mul_i32 s7, s2, 0x1200
	s_delay_alu instid0(VALU_DEP_2)
	v_cndmask_b32_e32 v13, v0, v1, vcc_lo
	s_ashr_i32 s3, s2, 31
	s_mul_hi_i32 s6, s2, 0x1200
	v_dual_mov_b32 v0, v2 :: v_dual_mov_b32 v1, v3
	s_waitcnt lgkmcnt(0)
	s_add_u32 s10, s18, s7
	s_addc_u32 s11, s19, s6
	s_lshl_b64 s[6:7], s[2:3], 2
	v_add_co_u32 v14, s3, s10, v14
	s_delay_alu instid0(VALU_DEP_1)
	v_add_co_ci_u32_e64 v15, null, s11, 0, s3
	s_add_u32 s6, s16, s6
	s_addc_u32 s7, s17, s7
	s_set_inst_prefetch_distance 0x1
	s_branch .LBB439_12
	.p2align	6
.LBB439_11:                             ;   in Loop: Header=BB439_12 Depth=1
	s_add_i32 s2, s2, 1
	s_add_u32 s6, s6, 4
	s_addc_u32 s7, s7, 0
	s_cmp_lt_i32 s2, s9
	s_cbranch_scc0 .LBB439_14
.LBB439_12:                             ; =>This Inner Loop Header: Depth=1
	s_cmp_ge_i32 s2, s9
	s_cbranch_scc1 .LBB439_11
; %bb.13:                               ;   in Loop: Header=BB439_12 Depth=1
	s_load_b32 s3, s[6:7], 0x0
	s_waitcnt lgkmcnt(0)
	s_sub_i32 s3, s3, s14
	s_delay_alu instid0(SALU_CYCLE_1) | instskip(NEXT) | instid1(VALU_DEP_1)
	v_mad_u64_u32 v[17:18], null, s3, 24, v[13:14]
	v_ashrrev_i32_e32 v18, 31, v17
	s_delay_alu instid0(VALU_DEP_1) | instskip(NEXT) | instid1(VALU_DEP_1)
	v_lshlrev_b64 v[17:18], 4, v[17:18]
	v_add_co_u32 v17, vcc_lo, s0, v17
	s_delay_alu instid0(VALU_DEP_2)
	v_add_co_ci_u32_e32 v18, vcc_lo, s1, v18, vcc_lo
	global_load_b64 v[21:22], v[14:15], off
	global_load_b128 v[17:20], v[17:18], off
	v_add_co_u32 v14, vcc_lo, 0x1200, v14
	v_add_co_ci_u32_e32 v15, vcc_lo, 0, v15, vcc_lo
	s_waitcnt vmcnt(0)
	v_fma_f64 v[0:1], v[21:22], v[17:18], v[0:1]
	v_fma_f64 v[2:3], v[17:18], 0, v[2:3]
	s_delay_alu instid0(VALU_DEP_2) | instskip(NEXT) | instid1(VALU_DEP_2)
	v_fma_f64 v[0:1], 0x80000000, v[19:20], v[0:1]
	v_fma_f64 v[2:3], v[21:22], v[19:20], v[2:3]
	s_branch .LBB439_11
.LBB439_14:
	s_set_inst_prefetch_distance 0x2
	v_lshlrev_b32_e32 v17, 4, v4
	s_and_b32 vcc_lo, exec_lo, s8
	ds_store_b128 v17, v[0:3]
	s_waitcnt vmcnt(0) lgkmcnt(0)
	s_barrier
	buffer_gl0_inv
	s_cbranch_vccz .LBB439_26
; %bb.15:
	v_cmp_gt_u16_e32 vcc_lo, 8, v16
	s_and_saveexec_b32 s0, vcc_lo
	s_cbranch_execz .LBB439_17
; %bb.16:
	ds_load_b128 v[18:21], v17 offset:256
	ds_load_b128 v[22:25], v17
	s_waitcnt lgkmcnt(0)
	v_add_f64 v[18:19], v[18:19], v[22:23]
	v_add_f64 v[20:21], v[20:21], v[24:25]
	ds_store_b128 v17, v[18:21]
.LBB439_17:
	s_or_b32 exec_lo, exec_lo, s0
	s_waitcnt lgkmcnt(0)
	s_barrier
	buffer_gl0_inv
	s_and_saveexec_b32 s0, vcc_lo
	s_cbranch_execz .LBB439_19
; %bb.18:
	ds_load_b128 v[18:21], v17 offset:128
	ds_load_b128 v[22:25], v17
	s_waitcnt lgkmcnt(0)
	v_add_f64 v[18:19], v[18:19], v[22:23]
	v_add_f64 v[20:21], v[20:21], v[24:25]
	ds_store_b128 v17, v[18:21]
.LBB439_19:
	s_or_b32 exec_lo, exec_lo, s0
	s_delay_alu instid0(SALU_CYCLE_1)
	s_mov_b32 s0, exec_lo
	s_waitcnt lgkmcnt(0)
	s_barrier
	buffer_gl0_inv
	v_cmpx_gt_u16_e32 4, v16
	s_cbranch_execz .LBB439_21
; %bb.20:
	ds_load_b128 v[18:21], v17 offset:64
	ds_load_b128 v[22:25], v17
	s_waitcnt lgkmcnt(0)
	v_add_f64 v[18:19], v[18:19], v[22:23]
	v_add_f64 v[20:21], v[20:21], v[24:25]
	ds_store_b128 v17, v[18:21]
.LBB439_21:
	s_or_b32 exec_lo, exec_lo, s0
	s_delay_alu instid0(SALU_CYCLE_1)
	s_mov_b32 s0, exec_lo
	s_waitcnt lgkmcnt(0)
	s_barrier
	buffer_gl0_inv
	v_cmpx_gt_u16_e32 2, v16
	s_cbranch_execz .LBB439_23
; %bb.22:
	ds_load_b128 v[13:16], v17
	ds_load_b128 v[18:21], v17 offset:32
	s_waitcnt lgkmcnt(0)
	v_add_f64 v[13:14], v[18:19], v[13:14]
	v_add_f64 v[15:16], v[20:21], v[15:16]
	ds_store_b128 v17, v[13:16]
.LBB439_23:
	s_or_b32 exec_lo, exec_lo, s0
	v_dual_mov_b32 v16, v3 :: v_dual_mov_b32 v15, v2
	v_dual_mov_b32 v14, v1 :: v_dual_mov_b32 v13, v0
	s_mov_b32 s0, exec_lo
	s_waitcnt lgkmcnt(0)
	s_barrier
	buffer_gl0_inv
	v_cmpx_gt_u32_e32 24, v4
	s_cbranch_execz .LBB439_25
; %bb.24:
	v_mul_u32_u24_e32 v13, 24, v4
	s_delay_alu instid0(VALU_DEP_1)
	v_lshlrev_b32_e32 v18, 4, v13
	ds_load_b128 v[13:16], v18
	ds_load_b128 v[18:21], v18 offset:16
	s_waitcnt lgkmcnt(0)
	v_add_f64 v[13:14], v[18:19], v[13:14]
	v_add_f64 v[15:16], v[20:21], v[15:16]
.LBB439_25:
	s_or_b32 exec_lo, exec_lo, s0
	s_branch .LBB439_38
.LBB439_26:
                                        ; implicit-def: $vgpr15_vgpr16
                                        ; implicit-def: $vgpr13_vgpr14
	s_cbranch_execz .LBB439_38
; %bb.27:
	v_cmp_gt_u32_e32 vcc_lo, 0xc0, v4
	s_and_saveexec_b32 s0, vcc_lo
	s_cbranch_execz .LBB439_29
; %bb.28:
	ds_load_b128 v[13:16], v17 offset:6144
	ds_load_b128 v[18:21], v17
	s_waitcnt lgkmcnt(0)
	v_add_f64 v[13:14], v[13:14], v[18:19]
	v_add_f64 v[15:16], v[15:16], v[20:21]
	ds_store_b128 v17, v[13:16]
.LBB439_29:
	s_or_b32 exec_lo, exec_lo, s0
	s_waitcnt lgkmcnt(0)
	s_barrier
	buffer_gl0_inv
	s_and_saveexec_b32 s0, vcc_lo
	s_cbranch_execz .LBB439_31
; %bb.30:
	ds_load_b128 v[13:16], v17 offset:3072
	ds_load_b128 v[18:21], v17
	s_waitcnt lgkmcnt(0)
	v_add_f64 v[13:14], v[13:14], v[18:19]
	v_add_f64 v[15:16], v[15:16], v[20:21]
	ds_store_b128 v17, v[13:16]
.LBB439_31:
	s_or_b32 exec_lo, exec_lo, s0
	s_delay_alu instid0(SALU_CYCLE_1)
	s_mov_b32 s0, exec_lo
	s_waitcnt lgkmcnt(0)
	s_barrier
	buffer_gl0_inv
	v_cmpx_gt_u32_e32 0x60, v4
	s_cbranch_execz .LBB439_33
; %bb.32:
	ds_load_b128 v[13:16], v17 offset:1536
	ds_load_b128 v[18:21], v17
	s_waitcnt lgkmcnt(0)
	v_add_f64 v[13:14], v[13:14], v[18:19]
	v_add_f64 v[15:16], v[15:16], v[20:21]
	ds_store_b128 v17, v[13:16]
.LBB439_33:
	s_or_b32 exec_lo, exec_lo, s0
	s_delay_alu instid0(SALU_CYCLE_1)
	s_mov_b32 s0, exec_lo
	s_waitcnt lgkmcnt(0)
	s_barrier
	buffer_gl0_inv
	v_cmpx_gt_u32_e32 48, v4
	s_cbranch_execz .LBB439_35
; %bb.34:
	ds_load_b128 v[13:16], v17 offset:768
	ds_load_b128 v[18:21], v17
	s_waitcnt lgkmcnt(0)
	v_add_f64 v[13:14], v[13:14], v[18:19]
	v_add_f64 v[15:16], v[15:16], v[20:21]
	ds_store_b128 v17, v[13:16]
.LBB439_35:
	s_or_b32 exec_lo, exec_lo, s0
	s_delay_alu instid0(SALU_CYCLE_1)
	s_mov_b32 s0, exec_lo
	s_waitcnt lgkmcnt(0)
	buffer_gl0_inv
	v_cmpx_gt_u32_e32 24, v4
	s_cbranch_execz .LBB439_37
; %bb.36:
	ds_load_b128 v[0:3], v17 offset:384
	ds_load_b128 v[13:16], v17
	s_waitcnt lgkmcnt(0)
	v_add_f64 v[0:1], v[0:1], v[13:14]
	v_add_f64 v[2:3], v[2:3], v[15:16]
.LBB439_37:
	s_or_b32 exec_lo, exec_lo, s0
	s_delay_alu instid0(VALU_DEP_1) | instskip(NEXT) | instid1(VALU_DEP_3)
	v_dual_mov_b32 v16, v3 :: v_dual_mov_b32 v15, v2
	v_dual_mov_b32 v14, v1 :: v_dual_mov_b32 v13, v0
.LBB439_38:
	v_cmp_gt_u32_e32 vcc_lo, 24, v4
	s_and_b32 exec_lo, exec_lo, vcc_lo
	s_cbranch_execz .LBB439_43
; %bb.39:
	s_delay_alu instid0(VALU_DEP_2) | instskip(SKIP_3) | instid1(VALU_DEP_4)
	v_mul_f64 v[0:1], v[15:16], -v[11:12]
	v_mul_f64 v[2:3], v[9:10], v[15:16]
	v_cmp_eq_f64_e32 vcc_lo, 0, v[5:6]
	v_cmp_eq_f64_e64 s0, 0, v[7:8]
	v_fma_f64 v[0:1], v[9:10], v[13:14], v[0:1]
	s_delay_alu instid0(VALU_DEP_4) | instskip(NEXT) | instid1(VALU_DEP_3)
	v_fma_f64 v[2:3], v[11:12], v[13:14], v[2:3]
	s_and_b32 s0, vcc_lo, s0
	s_delay_alu instid0(SALU_CYCLE_1) | instskip(NEXT) | instid1(SALU_CYCLE_1)
	s_and_saveexec_b32 s1, s0
	s_xor_b32 s0, exec_lo, s1
	s_cbranch_execz .LBB439_41
; %bb.40:
	v_mad_u64_u32 v[5:6], null, s12, 24, v[4:5]
	v_mov_b32_e32 v6, 0
                                        ; implicit-def: $vgpr7_vgpr8
	s_delay_alu instid0(VALU_DEP_1) | instskip(NEXT) | instid1(VALU_DEP_1)
	v_lshlrev_b64 v[4:5], 4, v[5:6]
	v_add_co_u32 v4, vcc_lo, s4, v4
	s_delay_alu instid0(VALU_DEP_2)
	v_add_co_ci_u32_e32 v5, vcc_lo, s5, v5, vcc_lo
	global_store_b128 v[4:5], v[0:3], off
                                        ; implicit-def: $vgpr4
                                        ; implicit-def: $vgpr5_vgpr6
                                        ; implicit-def: $vgpr0_vgpr1
.LBB439_41:
	s_and_not1_saveexec_b32 s0, s0
	s_cbranch_execz .LBB439_43
; %bb.42:
	v_mad_u64_u32 v[9:10], null, s12, 24, v[4:5]
	v_mov_b32_e32 v10, 0
	s_delay_alu instid0(VALU_DEP_1) | instskip(NEXT) | instid1(VALU_DEP_1)
	v_lshlrev_b64 v[9:10], 4, v[9:10]
	v_add_co_u32 v13, vcc_lo, s4, v9
	s_delay_alu instid0(VALU_DEP_2) | instskip(SKIP_4) | instid1(VALU_DEP_2)
	v_add_co_ci_u32_e32 v14, vcc_lo, s5, v10, vcc_lo
	global_load_b128 v[9:12], v[13:14], off
	s_waitcnt vmcnt(0)
	v_fma_f64 v[0:1], v[5:6], v[9:10], v[0:1]
	v_fma_f64 v[2:3], v[7:8], v[9:10], v[2:3]
	v_fma_f64 v[0:1], -v[7:8], v[11:12], v[0:1]
	s_delay_alu instid0(VALU_DEP_2)
	v_fma_f64 v[2:3], v[5:6], v[11:12], v[2:3]
	global_store_b128 v[13:14], v[0:3], off
.LBB439_43:
	s_nop 0
	s_sendmsg sendmsg(MSG_DEALLOC_VGPRS)
	s_endpgm
	.section	.rodata,"a",@progbits
	.p2align	6, 0x0
	.amdhsa_kernel _ZN9rocsparseL20bsrxmvn_17_32_kernelILj24E21rocsparse_complex_numIdEiidS2_S2_EEvT2_20rocsparse_direction_NS_24const_host_device_scalarIT0_EES3_PKS3_PKT1_SC_S9_PKT3_PKT4_S7_PT5_21rocsparse_index_base_b
		.amdhsa_group_segment_fixed_size 18432
		.amdhsa_private_segment_fixed_size 0
		.amdhsa_kernarg_size 112
		.amdhsa_user_sgpr_count 15
		.amdhsa_user_sgpr_dispatch_ptr 1
		.amdhsa_user_sgpr_queue_ptr 0
		.amdhsa_user_sgpr_kernarg_segment_ptr 1
		.amdhsa_user_sgpr_dispatch_id 0
		.amdhsa_user_sgpr_private_segment_size 0
		.amdhsa_wavefront_size32 1
		.amdhsa_uses_dynamic_stack 0
		.amdhsa_enable_private_segment 0
		.amdhsa_system_sgpr_workgroup_id_x 1
		.amdhsa_system_sgpr_workgroup_id_y 0
		.amdhsa_system_sgpr_workgroup_id_z 0
		.amdhsa_system_sgpr_workgroup_info 0
		.amdhsa_system_vgpr_workitem_id 2
		.amdhsa_next_free_vgpr 26
		.amdhsa_next_free_sgpr 20
		.amdhsa_reserve_vcc 1
		.amdhsa_float_round_mode_32 0
		.amdhsa_float_round_mode_16_64 0
		.amdhsa_float_denorm_mode_32 3
		.amdhsa_float_denorm_mode_16_64 3
		.amdhsa_dx10_clamp 1
		.amdhsa_ieee_mode 1
		.amdhsa_fp16_overflow 0
		.amdhsa_workgroup_processor_mode 1
		.amdhsa_memory_ordered 1
		.amdhsa_forward_progress 0
		.amdhsa_shared_vgpr_count 0
		.amdhsa_exception_fp_ieee_invalid_op 0
		.amdhsa_exception_fp_denorm_src 0
		.amdhsa_exception_fp_ieee_div_zero 0
		.amdhsa_exception_fp_ieee_overflow 0
		.amdhsa_exception_fp_ieee_underflow 0
		.amdhsa_exception_fp_ieee_inexact 0
		.amdhsa_exception_int_div_zero 0
	.end_amdhsa_kernel
	.section	.text._ZN9rocsparseL20bsrxmvn_17_32_kernelILj24E21rocsparse_complex_numIdEiidS2_S2_EEvT2_20rocsparse_direction_NS_24const_host_device_scalarIT0_EES3_PKS3_PKT1_SC_S9_PKT3_PKT4_S7_PT5_21rocsparse_index_base_b,"axG",@progbits,_ZN9rocsparseL20bsrxmvn_17_32_kernelILj24E21rocsparse_complex_numIdEiidS2_S2_EEvT2_20rocsparse_direction_NS_24const_host_device_scalarIT0_EES3_PKS3_PKT1_SC_S9_PKT3_PKT4_S7_PT5_21rocsparse_index_base_b,comdat
.Lfunc_end439:
	.size	_ZN9rocsparseL20bsrxmvn_17_32_kernelILj24E21rocsparse_complex_numIdEiidS2_S2_EEvT2_20rocsparse_direction_NS_24const_host_device_scalarIT0_EES3_PKS3_PKT1_SC_S9_PKT3_PKT4_S7_PT5_21rocsparse_index_base_b, .Lfunc_end439-_ZN9rocsparseL20bsrxmvn_17_32_kernelILj24E21rocsparse_complex_numIdEiidS2_S2_EEvT2_20rocsparse_direction_NS_24const_host_device_scalarIT0_EES3_PKS3_PKT1_SC_S9_PKT3_PKT4_S7_PT5_21rocsparse_index_base_b
                                        ; -- End function
	.section	.AMDGPU.csdata,"",@progbits
; Kernel info:
; codeLenInByte = 1972
; NumSgprs: 22
; NumVgprs: 26
; ScratchSize: 0
; MemoryBound: 0
; FloatMode: 240
; IeeeMode: 1
; LDSByteSize: 18432 bytes/workgroup (compile time only)
; SGPRBlocks: 2
; VGPRBlocks: 3
; NumSGPRsForWavesPerEU: 22
; NumVGPRsForWavesPerEU: 26
; Occupancy: 14
; WaveLimiterHint : 1
; COMPUTE_PGM_RSRC2:SCRATCH_EN: 0
; COMPUTE_PGM_RSRC2:USER_SGPR: 15
; COMPUTE_PGM_RSRC2:TRAP_HANDLER: 0
; COMPUTE_PGM_RSRC2:TGID_X_EN: 1
; COMPUTE_PGM_RSRC2:TGID_Y_EN: 0
; COMPUTE_PGM_RSRC2:TGID_Z_EN: 0
; COMPUTE_PGM_RSRC2:TIDIG_COMP_CNT: 2
	.section	.text._ZN9rocsparseL20bsrxmvn_17_32_kernelILj25E21rocsparse_complex_numIdEiidS2_S2_EEvT2_20rocsparse_direction_NS_24const_host_device_scalarIT0_EES3_PKS3_PKT1_SC_S9_PKT3_PKT4_S7_PT5_21rocsparse_index_base_b,"axG",@progbits,_ZN9rocsparseL20bsrxmvn_17_32_kernelILj25E21rocsparse_complex_numIdEiidS2_S2_EEvT2_20rocsparse_direction_NS_24const_host_device_scalarIT0_EES3_PKS3_PKT1_SC_S9_PKT3_PKT4_S7_PT5_21rocsparse_index_base_b,comdat
	.globl	_ZN9rocsparseL20bsrxmvn_17_32_kernelILj25E21rocsparse_complex_numIdEiidS2_S2_EEvT2_20rocsparse_direction_NS_24const_host_device_scalarIT0_EES3_PKS3_PKT1_SC_S9_PKT3_PKT4_S7_PT5_21rocsparse_index_base_b ; -- Begin function _ZN9rocsparseL20bsrxmvn_17_32_kernelILj25E21rocsparse_complex_numIdEiidS2_S2_EEvT2_20rocsparse_direction_NS_24const_host_device_scalarIT0_EES3_PKS3_PKT1_SC_S9_PKT3_PKT4_S7_PT5_21rocsparse_index_base_b
	.p2align	8
	.type	_ZN9rocsparseL20bsrxmvn_17_32_kernelILj25E21rocsparse_complex_numIdEiidS2_S2_EEvT2_20rocsparse_direction_NS_24const_host_device_scalarIT0_EES3_PKS3_PKT1_SC_S9_PKT3_PKT4_S7_PT5_21rocsparse_index_base_b,@function
_ZN9rocsparseL20bsrxmvn_17_32_kernelILj25E21rocsparse_complex_numIdEiidS2_S2_EEvT2_20rocsparse_direction_NS_24const_host_device_scalarIT0_EES3_PKS3_PKT1_SC_S9_PKT3_PKT4_S7_PT5_21rocsparse_index_base_b: ; @_ZN9rocsparseL20bsrxmvn_17_32_kernelILj25E21rocsparse_complex_numIdEiidS2_S2_EEvT2_20rocsparse_direction_NS_24const_host_device_scalarIT0_EES3_PKS3_PKT1_SC_S9_PKT3_PKT4_S7_PT5_21rocsparse_index_base_b
; %bb.0:
	s_mov_b32 s12, s15
	s_clause 0x1
	s_load_b64 s[14:15], s[2:3], 0x68
	s_load_b128 s[4:7], s[2:3], 0x8
	s_load_b64 s[16:17], s[0:1], 0x4
	s_mov_b64 s[0:1], src_shared_base
	v_and_b32_e32 v4, 0x3ff, v0
	s_load_b128 s[8:11], s[2:3], 0x50
	v_bfe_u32 v2, v0, 10, 10
	v_bfe_u32 v0, v0, 20, 10
	s_waitcnt lgkmcnt(0)
	s_bitcmp1_b32 s15, 0
	v_mov_b32_e32 v12, s7
	s_cselect_b32 s0, -1, 0
	v_mov_b32_e32 v11, s6
	s_and_b32 vcc_lo, s0, exec_lo
	s_cselect_b32 s13, s1, s5
	s_lshr_b32 s15, s16, 16
	v_mov_b32_e32 v6, s13
	s_mul_i32 s15, s15, s17
	s_xor_b32 s6, s0, -1
	v_mul_lo_u32 v1, s15, v4
	s_delay_alu instid0(VALU_DEP_1) | instskip(SKIP_1) | instid1(VALU_DEP_2)
	v_mad_u32_u24 v1, v2, s17, v1
	v_dual_mov_b32 v2, s8 :: v_dual_mov_b32 v3, s9
	v_add_lshl_u32 v7, v1, v0, 3
	v_dual_mov_b32 v0, s4 :: v_dual_mov_b32 v1, s5
	ds_store_b64 v7, v[0:1] offset:15000
	ds_store_b64 v7, v[2:3] offset:10000
	v_add_nc_u32_e32 v5, 0x3a98, v7
	v_add_nc_u32_e32 v0, 0x2710, v7
	s_delay_alu instid0(VALU_DEP_2)
	v_cndmask_b32_e64 v5, s4, v5, s0
	flat_load_b64 v[9:10], v[5:6]
	s_cbranch_vccnz .LBB440_2
; %bb.1:
	v_dual_mov_b32 v1, s4 :: v_dual_mov_b32 v2, s5
	flat_load_b64 v[11:12], v[1:2] offset:8
.LBB440_2:
	s_and_b32 s4, s0, exec_lo
	s_cselect_b32 s1, s1, s9
	v_cndmask_b32_e64 v0, s8, v0, s0
	v_mov_b32_e32 v1, s1
	v_dual_mov_b32 v7, s10 :: v_dual_mov_b32 v8, s11
	s_and_not1_b32 vcc_lo, exec_lo, s6
	flat_load_b64 v[5:6], v[0:1]
	s_cbranch_vccnz .LBB440_4
; %bb.3:
	v_dual_mov_b32 v0, s8 :: v_dual_mov_b32 v1, s9
	flat_load_b64 v[7:8], v[0:1] offset:8
.LBB440_4:
	s_waitcnt vmcnt(1) lgkmcnt(1)
	v_cmp_eq_f64_e32 vcc_lo, 0, v[9:10]
	v_cmp_eq_f64_e64 s0, 0, v[11:12]
	s_delay_alu instid0(VALU_DEP_1)
	s_and_b32 s4, vcc_lo, s0
	s_mov_b32 s0, -1
	s_and_saveexec_b32 s1, s4
	s_cbranch_execz .LBB440_6
; %bb.5:
	s_waitcnt vmcnt(0) lgkmcnt(0)
	v_cmp_neq_f64_e32 vcc_lo, 1.0, v[5:6]
	v_cmp_neq_f64_e64 s0, 0, v[7:8]
	s_delay_alu instid0(VALU_DEP_1) | instskip(NEXT) | instid1(SALU_CYCLE_1)
	s_or_b32 s0, vcc_lo, s0
	s_or_not1_b32 s0, s0, exec_lo
.LBB440_6:
	s_or_b32 exec_lo, exec_lo, s1
	s_and_saveexec_b32 s1, s0
	s_cbranch_execz .LBB440_43
; %bb.7:
	s_clause 0x1
	s_load_b128 s[4:7], s[2:3], 0x20
	s_load_b64 s[0:1], s[2:3], 0x30
	s_waitcnt lgkmcnt(0)
	s_cmp_eq_u64 s[4:5], 0
	s_cbranch_scc1 .LBB440_9
; %bb.8:
	s_ashr_i32 s13, s12, 31
	s_delay_alu instid0(SALU_CYCLE_1) | instskip(NEXT) | instid1(SALU_CYCLE_1)
	s_lshl_b64 s[8:9], s[12:13], 2
	s_add_u32 s4, s4, s8
	s_addc_u32 s5, s5, s9
	s_load_b32 s4, s[4:5], 0x0
	s_waitcnt lgkmcnt(0)
	s_sub_i32 s12, s4, s14
.LBB440_9:
	s_load_b32 s4, s[2:3], 0x4
	v_mul_u32_u24_e32 v0, 0xa3e, v4
	v_mov_b32_e32 v2, 0
	v_mov_b32_e32 v3, 0
	s_delay_alu instid0(VALU_DEP_3) | instskip(NEXT) | instid1(VALU_DEP_1)
	v_lshrrev_b32_e32 v13, 16, v0
	v_mul_lo_u16 v0, v13, 25
	s_delay_alu instid0(VALU_DEP_1) | instskip(NEXT) | instid1(VALU_DEP_4)
	v_sub_nc_u16 v16, v4, v0
	v_dual_mov_b32 v0, v2 :: v_dual_mov_b32 v1, v3
	s_waitcnt lgkmcnt(0)
	s_cmp_eq_u32 s4, 1
	s_cselect_b32 vcc_lo, -1, 0
	s_cmp_lg_u32 s4, 1
	s_cselect_b32 s8, -1, 0
	s_ashr_i32 s13, s12, 31
	s_delay_alu instid0(SALU_CYCLE_1) | instskip(NEXT) | instid1(SALU_CYCLE_1)
	s_lshl_b64 s[4:5], s[12:13], 2
	s_add_u32 s6, s6, s4
	s_addc_u32 s7, s7, s5
	s_add_u32 s9, s6, 4
	s_addc_u32 s10, s7, 0
	;; [unrolled: 2-line block ×3, first 2 shown]
	s_cmp_eq_u64 s[0:1], 0
	s_cselect_b32 s1, s10, s5
	s_cselect_b32 s0, s9, s4
	s_load_b32 s6, s[6:7], 0x0
	s_load_b32 s7, s[0:1], 0x0
	s_load_b64 s[4:5], s[2:3], 0x60
	s_waitcnt lgkmcnt(0)
	s_cmp_ge_i32 s6, s7
	s_cbranch_scc1 .LBB440_14
; %bb.10:
	s_clause 0x1
	s_load_b128 s[16:19], s[2:3], 0x38
	s_load_b64 s[0:1], s[2:3], 0x48
	v_dual_mov_b32 v2, 0 :: v_dual_and_b32 v1, 0xffff, v13
	s_sub_i32 s2, s6, s14
	v_dual_mov_b32 v3, 0 :: v_dual_and_b32 v0, 0xffff, v16
	v_lshlrev_b32_e32 v14, 3, v4
	s_sub_i32 s9, s7, s14
	s_mul_i32 s7, s2, 0x1388
	s_delay_alu instid0(VALU_DEP_2)
	v_cndmask_b32_e32 v13, v0, v1, vcc_lo
	s_ashr_i32 s3, s2, 31
	s_mul_hi_i32 s6, s2, 0x1388
	v_dual_mov_b32 v0, v2 :: v_dual_mov_b32 v1, v3
	s_waitcnt lgkmcnt(0)
	s_add_u32 s10, s18, s7
	s_addc_u32 s11, s19, s6
	s_lshl_b64 s[6:7], s[2:3], 2
	v_add_co_u32 v14, s3, s10, v14
	s_delay_alu instid0(VALU_DEP_1)
	v_add_co_ci_u32_e64 v15, null, s11, 0, s3
	s_add_u32 s6, s16, s6
	s_addc_u32 s7, s17, s7
	s_set_inst_prefetch_distance 0x1
	s_branch .LBB440_12
	.p2align	6
.LBB440_11:                             ;   in Loop: Header=BB440_12 Depth=1
	s_add_i32 s2, s2, 1
	s_add_u32 s6, s6, 4
	s_addc_u32 s7, s7, 0
	s_cmp_lt_i32 s2, s9
	s_cbranch_scc0 .LBB440_14
.LBB440_12:                             ; =>This Inner Loop Header: Depth=1
	s_cmp_ge_i32 s2, s9
	s_cbranch_scc1 .LBB440_11
; %bb.13:                               ;   in Loop: Header=BB440_12 Depth=1
	s_load_b32 s3, s[6:7], 0x0
	s_waitcnt lgkmcnt(0)
	s_sub_i32 s3, s3, s14
	s_delay_alu instid0(SALU_CYCLE_1) | instskip(NEXT) | instid1(VALU_DEP_1)
	v_mad_u64_u32 v[17:18], null, s3, 25, v[13:14]
	v_ashrrev_i32_e32 v18, 31, v17
	s_delay_alu instid0(VALU_DEP_1) | instskip(NEXT) | instid1(VALU_DEP_1)
	v_lshlrev_b64 v[17:18], 4, v[17:18]
	v_add_co_u32 v17, vcc_lo, s0, v17
	s_delay_alu instid0(VALU_DEP_2)
	v_add_co_ci_u32_e32 v18, vcc_lo, s1, v18, vcc_lo
	global_load_b64 v[21:22], v[14:15], off
	global_load_b128 v[17:20], v[17:18], off
	v_add_co_u32 v14, vcc_lo, 0x1388, v14
	v_add_co_ci_u32_e32 v15, vcc_lo, 0, v15, vcc_lo
	s_waitcnt vmcnt(0)
	v_fma_f64 v[0:1], v[21:22], v[17:18], v[0:1]
	v_fma_f64 v[2:3], v[17:18], 0, v[2:3]
	s_delay_alu instid0(VALU_DEP_2) | instskip(NEXT) | instid1(VALU_DEP_2)
	v_fma_f64 v[0:1], 0x80000000, v[19:20], v[0:1]
	v_fma_f64 v[2:3], v[21:22], v[19:20], v[2:3]
	s_branch .LBB440_11
.LBB440_14:
	s_set_inst_prefetch_distance 0x2
	v_lshlrev_b32_e32 v17, 4, v4
	s_and_b32 vcc_lo, exec_lo, s8
	ds_store_b128 v17, v[0:3]
	s_waitcnt vmcnt(0) lgkmcnt(0)
	s_barrier
	buffer_gl0_inv
	s_cbranch_vccz .LBB440_26
; %bb.15:
	s_mov_b32 s0, exec_lo
	v_cmpx_gt_u16_e32 9, v16
	s_cbranch_execz .LBB440_17
; %bb.16:
	ds_load_b128 v[18:21], v17 offset:256
	ds_load_b128 v[22:25], v17
	s_waitcnt lgkmcnt(0)
	v_add_f64 v[18:19], v[18:19], v[22:23]
	v_add_f64 v[20:21], v[20:21], v[24:25]
	ds_store_b128 v17, v[18:21]
.LBB440_17:
	s_or_b32 exec_lo, exec_lo, s0
	s_delay_alu instid0(SALU_CYCLE_1)
	s_mov_b32 s0, exec_lo
	s_waitcnt lgkmcnt(0)
	s_barrier
	buffer_gl0_inv
	v_cmpx_gt_u16_e32 8, v16
	s_cbranch_execz .LBB440_19
; %bb.18:
	ds_load_b128 v[18:21], v17 offset:128
	ds_load_b128 v[22:25], v17
	s_waitcnt lgkmcnt(0)
	v_add_f64 v[18:19], v[18:19], v[22:23]
	v_add_f64 v[20:21], v[20:21], v[24:25]
	ds_store_b128 v17, v[18:21]
.LBB440_19:
	s_or_b32 exec_lo, exec_lo, s0
	s_delay_alu instid0(SALU_CYCLE_1)
	s_mov_b32 s0, exec_lo
	s_waitcnt lgkmcnt(0)
	s_barrier
	buffer_gl0_inv
	;; [unrolled: 16-line block ×3, first 2 shown]
	v_cmpx_gt_u16_e32 2, v16
	s_cbranch_execz .LBB440_23
; %bb.22:
	ds_load_b128 v[13:16], v17
	ds_load_b128 v[18:21], v17 offset:32
	s_waitcnt lgkmcnt(0)
	v_add_f64 v[13:14], v[18:19], v[13:14]
	v_add_f64 v[15:16], v[20:21], v[15:16]
	ds_store_b128 v17, v[13:16]
.LBB440_23:
	s_or_b32 exec_lo, exec_lo, s0
	v_dual_mov_b32 v16, v3 :: v_dual_mov_b32 v15, v2
	v_dual_mov_b32 v14, v1 :: v_dual_mov_b32 v13, v0
	s_mov_b32 s0, exec_lo
	s_waitcnt lgkmcnt(0)
	s_barrier
	buffer_gl0_inv
	v_cmpx_gt_u32_e32 25, v4
	s_cbranch_execz .LBB440_25
; %bb.24:
	v_mul_u32_u24_e32 v13, 25, v4
	s_delay_alu instid0(VALU_DEP_1)
	v_lshlrev_b32_e32 v18, 4, v13
	ds_load_b128 v[13:16], v18
	ds_load_b128 v[18:21], v18 offset:16
	s_waitcnt lgkmcnt(0)
	v_add_f64 v[13:14], v[18:19], v[13:14]
	v_add_f64 v[15:16], v[20:21], v[15:16]
.LBB440_25:
	s_or_b32 exec_lo, exec_lo, s0
	s_branch .LBB440_38
.LBB440_26:
                                        ; implicit-def: $vgpr15_vgpr16
                                        ; implicit-def: $vgpr13_vgpr14
	s_cbranch_execz .LBB440_38
; %bb.27:
	s_mov_b32 s0, exec_lo
	v_cmpx_gt_u32_e32 0xe1, v4
	s_cbranch_execz .LBB440_29
; %bb.28:
	ds_load_b128 v[13:16], v17 offset:6400
	ds_load_b128 v[18:21], v17
	s_waitcnt lgkmcnt(0)
	v_add_f64 v[13:14], v[13:14], v[18:19]
	v_add_f64 v[15:16], v[15:16], v[20:21]
	ds_store_b128 v17, v[13:16]
.LBB440_29:
	s_or_b32 exec_lo, exec_lo, s0
	s_delay_alu instid0(SALU_CYCLE_1)
	s_mov_b32 s0, exec_lo
	s_waitcnt lgkmcnt(0)
	s_barrier
	buffer_gl0_inv
	v_cmpx_gt_u32_e32 0xc8, v4
	s_cbranch_execz .LBB440_31
; %bb.30:
	ds_load_b128 v[13:16], v17 offset:3200
	ds_load_b128 v[18:21], v17
	s_waitcnt lgkmcnt(0)
	v_add_f64 v[13:14], v[13:14], v[18:19]
	v_add_f64 v[15:16], v[15:16], v[20:21]
	ds_store_b128 v17, v[13:16]
.LBB440_31:
	s_or_b32 exec_lo, exec_lo, s0
	s_delay_alu instid0(SALU_CYCLE_1)
	s_mov_b32 s0, exec_lo
	s_waitcnt lgkmcnt(0)
	s_barrier
	buffer_gl0_inv
	;; [unrolled: 16-line block ×3, first 2 shown]
	v_cmpx_gt_u32_e32 50, v4
	s_cbranch_execz .LBB440_35
; %bb.34:
	ds_load_b128 v[13:16], v17 offset:800
	ds_load_b128 v[18:21], v17
	s_waitcnt lgkmcnt(0)
	v_add_f64 v[13:14], v[13:14], v[18:19]
	v_add_f64 v[15:16], v[15:16], v[20:21]
	ds_store_b128 v17, v[13:16]
.LBB440_35:
	s_or_b32 exec_lo, exec_lo, s0
	s_delay_alu instid0(SALU_CYCLE_1)
	s_mov_b32 s0, exec_lo
	s_waitcnt lgkmcnt(0)
	buffer_gl0_inv
	v_cmpx_gt_u32_e32 25, v4
	s_cbranch_execz .LBB440_37
; %bb.36:
	ds_load_b128 v[0:3], v17 offset:400
	ds_load_b128 v[13:16], v17
	s_waitcnt lgkmcnt(0)
	v_add_f64 v[0:1], v[0:1], v[13:14]
	v_add_f64 v[2:3], v[2:3], v[15:16]
.LBB440_37:
	s_or_b32 exec_lo, exec_lo, s0
	s_delay_alu instid0(VALU_DEP_1) | instskip(NEXT) | instid1(VALU_DEP_3)
	v_dual_mov_b32 v16, v3 :: v_dual_mov_b32 v15, v2
	v_dual_mov_b32 v14, v1 :: v_dual_mov_b32 v13, v0
.LBB440_38:
	v_cmp_gt_u32_e32 vcc_lo, 25, v4
	s_and_b32 exec_lo, exec_lo, vcc_lo
	s_cbranch_execz .LBB440_43
; %bb.39:
	s_delay_alu instid0(VALU_DEP_2) | instskip(SKIP_3) | instid1(VALU_DEP_4)
	v_mul_f64 v[0:1], v[15:16], -v[11:12]
	v_mul_f64 v[2:3], v[9:10], v[15:16]
	v_cmp_eq_f64_e32 vcc_lo, 0, v[5:6]
	v_cmp_eq_f64_e64 s0, 0, v[7:8]
	v_fma_f64 v[0:1], v[9:10], v[13:14], v[0:1]
	s_delay_alu instid0(VALU_DEP_4) | instskip(NEXT) | instid1(VALU_DEP_3)
	v_fma_f64 v[2:3], v[11:12], v[13:14], v[2:3]
	s_and_b32 s0, vcc_lo, s0
	s_delay_alu instid0(SALU_CYCLE_1) | instskip(NEXT) | instid1(SALU_CYCLE_1)
	s_and_saveexec_b32 s1, s0
	s_xor_b32 s0, exec_lo, s1
	s_cbranch_execz .LBB440_41
; %bb.40:
	v_mad_u64_u32 v[5:6], null, s12, 25, v[4:5]
	v_mov_b32_e32 v6, 0
                                        ; implicit-def: $vgpr7_vgpr8
	s_delay_alu instid0(VALU_DEP_1) | instskip(NEXT) | instid1(VALU_DEP_1)
	v_lshlrev_b64 v[4:5], 4, v[5:6]
	v_add_co_u32 v4, vcc_lo, s4, v4
	s_delay_alu instid0(VALU_DEP_2)
	v_add_co_ci_u32_e32 v5, vcc_lo, s5, v5, vcc_lo
	global_store_b128 v[4:5], v[0:3], off
                                        ; implicit-def: $vgpr4
                                        ; implicit-def: $vgpr5_vgpr6
                                        ; implicit-def: $vgpr0_vgpr1
.LBB440_41:
	s_and_not1_saveexec_b32 s0, s0
	s_cbranch_execz .LBB440_43
; %bb.42:
	v_mad_u64_u32 v[9:10], null, s12, 25, v[4:5]
	v_mov_b32_e32 v10, 0
	s_delay_alu instid0(VALU_DEP_1) | instskip(NEXT) | instid1(VALU_DEP_1)
	v_lshlrev_b64 v[9:10], 4, v[9:10]
	v_add_co_u32 v13, vcc_lo, s4, v9
	s_delay_alu instid0(VALU_DEP_2) | instskip(SKIP_4) | instid1(VALU_DEP_2)
	v_add_co_ci_u32_e32 v14, vcc_lo, s5, v10, vcc_lo
	global_load_b128 v[9:12], v[13:14], off
	s_waitcnt vmcnt(0)
	v_fma_f64 v[0:1], v[5:6], v[9:10], v[0:1]
	v_fma_f64 v[2:3], v[7:8], v[9:10], v[2:3]
	v_fma_f64 v[0:1], -v[7:8], v[11:12], v[0:1]
	s_delay_alu instid0(VALU_DEP_2)
	v_fma_f64 v[2:3], v[5:6], v[11:12], v[2:3]
	global_store_b128 v[13:14], v[0:3], off
.LBB440_43:
	s_nop 0
	s_sendmsg sendmsg(MSG_DEALLOC_VGPRS)
	s_endpgm
	.section	.rodata,"a",@progbits
	.p2align	6, 0x0
	.amdhsa_kernel _ZN9rocsparseL20bsrxmvn_17_32_kernelILj25E21rocsparse_complex_numIdEiidS2_S2_EEvT2_20rocsparse_direction_NS_24const_host_device_scalarIT0_EES3_PKS3_PKT1_SC_S9_PKT3_PKT4_S7_PT5_21rocsparse_index_base_b
		.amdhsa_group_segment_fixed_size 20000
		.amdhsa_private_segment_fixed_size 0
		.amdhsa_kernarg_size 112
		.amdhsa_user_sgpr_count 15
		.amdhsa_user_sgpr_dispatch_ptr 1
		.amdhsa_user_sgpr_queue_ptr 0
		.amdhsa_user_sgpr_kernarg_segment_ptr 1
		.amdhsa_user_sgpr_dispatch_id 0
		.amdhsa_user_sgpr_private_segment_size 0
		.amdhsa_wavefront_size32 1
		.amdhsa_uses_dynamic_stack 0
		.amdhsa_enable_private_segment 0
		.amdhsa_system_sgpr_workgroup_id_x 1
		.amdhsa_system_sgpr_workgroup_id_y 0
		.amdhsa_system_sgpr_workgroup_id_z 0
		.amdhsa_system_sgpr_workgroup_info 0
		.amdhsa_system_vgpr_workitem_id 2
		.amdhsa_next_free_vgpr 26
		.amdhsa_next_free_sgpr 20
		.amdhsa_reserve_vcc 1
		.amdhsa_float_round_mode_32 0
		.amdhsa_float_round_mode_16_64 0
		.amdhsa_float_denorm_mode_32 3
		.amdhsa_float_denorm_mode_16_64 3
		.amdhsa_dx10_clamp 1
		.amdhsa_ieee_mode 1
		.amdhsa_fp16_overflow 0
		.amdhsa_workgroup_processor_mode 1
		.amdhsa_memory_ordered 1
		.amdhsa_forward_progress 0
		.amdhsa_shared_vgpr_count 0
		.amdhsa_exception_fp_ieee_invalid_op 0
		.amdhsa_exception_fp_denorm_src 0
		.amdhsa_exception_fp_ieee_div_zero 0
		.amdhsa_exception_fp_ieee_overflow 0
		.amdhsa_exception_fp_ieee_underflow 0
		.amdhsa_exception_fp_ieee_inexact 0
		.amdhsa_exception_int_div_zero 0
	.end_amdhsa_kernel
	.section	.text._ZN9rocsparseL20bsrxmvn_17_32_kernelILj25E21rocsparse_complex_numIdEiidS2_S2_EEvT2_20rocsparse_direction_NS_24const_host_device_scalarIT0_EES3_PKS3_PKT1_SC_S9_PKT3_PKT4_S7_PT5_21rocsparse_index_base_b,"axG",@progbits,_ZN9rocsparseL20bsrxmvn_17_32_kernelILj25E21rocsparse_complex_numIdEiidS2_S2_EEvT2_20rocsparse_direction_NS_24const_host_device_scalarIT0_EES3_PKS3_PKT1_SC_S9_PKT3_PKT4_S7_PT5_21rocsparse_index_base_b,comdat
.Lfunc_end440:
	.size	_ZN9rocsparseL20bsrxmvn_17_32_kernelILj25E21rocsparse_complex_numIdEiidS2_S2_EEvT2_20rocsparse_direction_NS_24const_host_device_scalarIT0_EES3_PKS3_PKT1_SC_S9_PKT3_PKT4_S7_PT5_21rocsparse_index_base_b, .Lfunc_end440-_ZN9rocsparseL20bsrxmvn_17_32_kernelILj25E21rocsparse_complex_numIdEiidS2_S2_EEvT2_20rocsparse_direction_NS_24const_host_device_scalarIT0_EES3_PKS3_PKT1_SC_S9_PKT3_PKT4_S7_PT5_21rocsparse_index_base_b
                                        ; -- End function
	.section	.AMDGPU.csdata,"",@progbits
; Kernel info:
; codeLenInByte = 2000
; NumSgprs: 22
; NumVgprs: 26
; ScratchSize: 0
; MemoryBound: 0
; FloatMode: 240
; IeeeMode: 1
; LDSByteSize: 20000 bytes/workgroup (compile time only)
; SGPRBlocks: 2
; VGPRBlocks: 3
; NumSGPRsForWavesPerEU: 22
; NumVGPRsForWavesPerEU: 26
; Occupancy: 15
; WaveLimiterHint : 1
; COMPUTE_PGM_RSRC2:SCRATCH_EN: 0
; COMPUTE_PGM_RSRC2:USER_SGPR: 15
; COMPUTE_PGM_RSRC2:TRAP_HANDLER: 0
; COMPUTE_PGM_RSRC2:TGID_X_EN: 1
; COMPUTE_PGM_RSRC2:TGID_Y_EN: 0
; COMPUTE_PGM_RSRC2:TGID_Z_EN: 0
; COMPUTE_PGM_RSRC2:TIDIG_COMP_CNT: 2
	.section	.text._ZN9rocsparseL20bsrxmvn_17_32_kernelILj26E21rocsparse_complex_numIdEiidS2_S2_EEvT2_20rocsparse_direction_NS_24const_host_device_scalarIT0_EES3_PKS3_PKT1_SC_S9_PKT3_PKT4_S7_PT5_21rocsparse_index_base_b,"axG",@progbits,_ZN9rocsparseL20bsrxmvn_17_32_kernelILj26E21rocsparse_complex_numIdEiidS2_S2_EEvT2_20rocsparse_direction_NS_24const_host_device_scalarIT0_EES3_PKS3_PKT1_SC_S9_PKT3_PKT4_S7_PT5_21rocsparse_index_base_b,comdat
	.globl	_ZN9rocsparseL20bsrxmvn_17_32_kernelILj26E21rocsparse_complex_numIdEiidS2_S2_EEvT2_20rocsparse_direction_NS_24const_host_device_scalarIT0_EES3_PKS3_PKT1_SC_S9_PKT3_PKT4_S7_PT5_21rocsparse_index_base_b ; -- Begin function _ZN9rocsparseL20bsrxmvn_17_32_kernelILj26E21rocsparse_complex_numIdEiidS2_S2_EEvT2_20rocsparse_direction_NS_24const_host_device_scalarIT0_EES3_PKS3_PKT1_SC_S9_PKT3_PKT4_S7_PT5_21rocsparse_index_base_b
	.p2align	8
	.type	_ZN9rocsparseL20bsrxmvn_17_32_kernelILj26E21rocsparse_complex_numIdEiidS2_S2_EEvT2_20rocsparse_direction_NS_24const_host_device_scalarIT0_EES3_PKS3_PKT1_SC_S9_PKT3_PKT4_S7_PT5_21rocsparse_index_base_b,@function
_ZN9rocsparseL20bsrxmvn_17_32_kernelILj26E21rocsparse_complex_numIdEiidS2_S2_EEvT2_20rocsparse_direction_NS_24const_host_device_scalarIT0_EES3_PKS3_PKT1_SC_S9_PKT3_PKT4_S7_PT5_21rocsparse_index_base_b: ; @_ZN9rocsparseL20bsrxmvn_17_32_kernelILj26E21rocsparse_complex_numIdEiidS2_S2_EEvT2_20rocsparse_direction_NS_24const_host_device_scalarIT0_EES3_PKS3_PKT1_SC_S9_PKT3_PKT4_S7_PT5_21rocsparse_index_base_b
; %bb.0:
	s_mov_b32 s12, s15
	s_clause 0x1
	s_load_b64 s[14:15], s[2:3], 0x68
	s_load_b128 s[4:7], s[2:3], 0x8
	s_load_b64 s[16:17], s[0:1], 0x4
	s_mov_b64 s[0:1], src_shared_base
	v_and_b32_e32 v4, 0x3ff, v0
	s_load_b128 s[8:11], s[2:3], 0x50
	v_bfe_u32 v2, v0, 10, 10
	v_bfe_u32 v0, v0, 20, 10
	s_waitcnt lgkmcnt(0)
	s_bitcmp1_b32 s15, 0
	v_mov_b32_e32 v12, s7
	s_cselect_b32 s0, -1, 0
	v_mov_b32_e32 v11, s6
	s_and_b32 vcc_lo, s0, exec_lo
	s_cselect_b32 s13, s1, s5
	s_lshr_b32 s15, s16, 16
	v_mov_b32_e32 v6, s13
	s_mul_i32 s15, s15, s17
	s_xor_b32 s6, s0, -1
	v_mul_lo_u32 v1, s15, v4
	s_delay_alu instid0(VALU_DEP_1) | instskip(SKIP_1) | instid1(VALU_DEP_2)
	v_mad_u32_u24 v1, v2, s17, v1
	v_dual_mov_b32 v2, s8 :: v_dual_mov_b32 v3, s9
	v_add_lshl_u32 v7, v1, v0, 3
	v_dual_mov_b32 v0, s4 :: v_dual_mov_b32 v1, s5
	ds_store_b64 v7, v[0:1] offset:16224
	ds_store_b64 v7, v[2:3] offset:10816
	v_add_nc_u32_e32 v5, 0x3f60, v7
	v_add_nc_u32_e32 v0, 0x2a40, v7
	s_delay_alu instid0(VALU_DEP_2)
	v_cndmask_b32_e64 v5, s4, v5, s0
	flat_load_b64 v[9:10], v[5:6]
	s_cbranch_vccnz .LBB441_2
; %bb.1:
	v_dual_mov_b32 v1, s4 :: v_dual_mov_b32 v2, s5
	flat_load_b64 v[11:12], v[1:2] offset:8
.LBB441_2:
	s_and_b32 s4, s0, exec_lo
	s_cselect_b32 s1, s1, s9
	v_cndmask_b32_e64 v0, s8, v0, s0
	v_mov_b32_e32 v1, s1
	v_dual_mov_b32 v7, s10 :: v_dual_mov_b32 v8, s11
	s_and_not1_b32 vcc_lo, exec_lo, s6
	flat_load_b64 v[5:6], v[0:1]
	s_cbranch_vccnz .LBB441_4
; %bb.3:
	v_dual_mov_b32 v0, s8 :: v_dual_mov_b32 v1, s9
	flat_load_b64 v[7:8], v[0:1] offset:8
.LBB441_4:
	s_waitcnt vmcnt(1) lgkmcnt(1)
	v_cmp_eq_f64_e32 vcc_lo, 0, v[9:10]
	v_cmp_eq_f64_e64 s0, 0, v[11:12]
	s_delay_alu instid0(VALU_DEP_1)
	s_and_b32 s4, vcc_lo, s0
	s_mov_b32 s0, -1
	s_and_saveexec_b32 s1, s4
	s_cbranch_execz .LBB441_6
; %bb.5:
	s_waitcnt vmcnt(0) lgkmcnt(0)
	v_cmp_neq_f64_e32 vcc_lo, 1.0, v[5:6]
	v_cmp_neq_f64_e64 s0, 0, v[7:8]
	s_delay_alu instid0(VALU_DEP_1) | instskip(NEXT) | instid1(SALU_CYCLE_1)
	s_or_b32 s0, vcc_lo, s0
	s_or_not1_b32 s0, s0, exec_lo
.LBB441_6:
	s_or_b32 exec_lo, exec_lo, s1
	s_and_saveexec_b32 s1, s0
	s_cbranch_execz .LBB441_43
; %bb.7:
	s_clause 0x1
	s_load_b128 s[4:7], s[2:3], 0x20
	s_load_b64 s[0:1], s[2:3], 0x30
	s_waitcnt lgkmcnt(0)
	s_cmp_eq_u64 s[4:5], 0
	s_cbranch_scc1 .LBB441_9
; %bb.8:
	s_ashr_i32 s13, s12, 31
	s_delay_alu instid0(SALU_CYCLE_1) | instskip(NEXT) | instid1(SALU_CYCLE_1)
	s_lshl_b64 s[8:9], s[12:13], 2
	s_add_u32 s4, s4, s8
	s_addc_u32 s5, s5, s9
	s_load_b32 s4, s[4:5], 0x0
	s_waitcnt lgkmcnt(0)
	s_sub_i32 s12, s4, s14
.LBB441_9:
	s_load_b32 s4, s[2:3], 0x4
	v_mul_u32_u24_e32 v0, 0x9d9, v4
	v_mov_b32_e32 v2, 0
	v_mov_b32_e32 v3, 0
	s_delay_alu instid0(VALU_DEP_3) | instskip(NEXT) | instid1(VALU_DEP_1)
	v_lshrrev_b32_e32 v13, 16, v0
	v_mul_lo_u16 v0, v13, 26
	s_delay_alu instid0(VALU_DEP_1) | instskip(NEXT) | instid1(VALU_DEP_4)
	v_sub_nc_u16 v16, v4, v0
	v_dual_mov_b32 v0, v2 :: v_dual_mov_b32 v1, v3
	s_waitcnt lgkmcnt(0)
	s_cmp_eq_u32 s4, 1
	s_cselect_b32 vcc_lo, -1, 0
	s_cmp_lg_u32 s4, 1
	s_cselect_b32 s8, -1, 0
	s_ashr_i32 s13, s12, 31
	s_delay_alu instid0(SALU_CYCLE_1) | instskip(NEXT) | instid1(SALU_CYCLE_1)
	s_lshl_b64 s[4:5], s[12:13], 2
	s_add_u32 s6, s6, s4
	s_addc_u32 s7, s7, s5
	s_add_u32 s9, s6, 4
	s_addc_u32 s10, s7, 0
	;; [unrolled: 2-line block ×3, first 2 shown]
	s_cmp_eq_u64 s[0:1], 0
	s_cselect_b32 s1, s10, s5
	s_cselect_b32 s0, s9, s4
	s_load_b32 s6, s[6:7], 0x0
	s_load_b32 s7, s[0:1], 0x0
	s_load_b64 s[4:5], s[2:3], 0x60
	s_waitcnt lgkmcnt(0)
	s_cmp_ge_i32 s6, s7
	s_cbranch_scc1 .LBB441_14
; %bb.10:
	s_clause 0x1
	s_load_b128 s[16:19], s[2:3], 0x38
	s_load_b64 s[0:1], s[2:3], 0x48
	v_dual_mov_b32 v2, 0 :: v_dual_and_b32 v1, 0xffff, v13
	s_sub_i32 s2, s6, s14
	v_dual_mov_b32 v3, 0 :: v_dual_and_b32 v0, 0xffff, v16
	v_lshlrev_b32_e32 v14, 3, v4
	s_sub_i32 s9, s7, s14
	s_mul_i32 s7, s2, 0x1520
	s_delay_alu instid0(VALU_DEP_2)
	v_cndmask_b32_e32 v13, v0, v1, vcc_lo
	s_ashr_i32 s3, s2, 31
	s_mul_hi_i32 s6, s2, 0x1520
	v_dual_mov_b32 v0, v2 :: v_dual_mov_b32 v1, v3
	s_waitcnt lgkmcnt(0)
	s_add_u32 s10, s18, s7
	s_addc_u32 s11, s19, s6
	s_lshl_b64 s[6:7], s[2:3], 2
	v_add_co_u32 v14, s3, s10, v14
	s_delay_alu instid0(VALU_DEP_1)
	v_add_co_ci_u32_e64 v15, null, s11, 0, s3
	s_add_u32 s6, s16, s6
	s_addc_u32 s7, s17, s7
	s_set_inst_prefetch_distance 0x1
	s_branch .LBB441_12
	.p2align	6
.LBB441_11:                             ;   in Loop: Header=BB441_12 Depth=1
	s_add_i32 s2, s2, 1
	s_add_u32 s6, s6, 4
	s_addc_u32 s7, s7, 0
	s_cmp_lt_i32 s2, s9
	s_cbranch_scc0 .LBB441_14
.LBB441_12:                             ; =>This Inner Loop Header: Depth=1
	s_cmp_ge_i32 s2, s9
	s_cbranch_scc1 .LBB441_11
; %bb.13:                               ;   in Loop: Header=BB441_12 Depth=1
	s_load_b32 s3, s[6:7], 0x0
	s_waitcnt lgkmcnt(0)
	s_sub_i32 s3, s3, s14
	s_delay_alu instid0(SALU_CYCLE_1) | instskip(NEXT) | instid1(VALU_DEP_1)
	v_mad_u64_u32 v[17:18], null, s3, 26, v[13:14]
	v_ashrrev_i32_e32 v18, 31, v17
	s_delay_alu instid0(VALU_DEP_1) | instskip(NEXT) | instid1(VALU_DEP_1)
	v_lshlrev_b64 v[17:18], 4, v[17:18]
	v_add_co_u32 v17, vcc_lo, s0, v17
	s_delay_alu instid0(VALU_DEP_2)
	v_add_co_ci_u32_e32 v18, vcc_lo, s1, v18, vcc_lo
	global_load_b64 v[21:22], v[14:15], off
	global_load_b128 v[17:20], v[17:18], off
	v_add_co_u32 v14, vcc_lo, 0x1520, v14
	v_add_co_ci_u32_e32 v15, vcc_lo, 0, v15, vcc_lo
	s_waitcnt vmcnt(0)
	v_fma_f64 v[0:1], v[21:22], v[17:18], v[0:1]
	v_fma_f64 v[2:3], v[17:18], 0, v[2:3]
	s_delay_alu instid0(VALU_DEP_2) | instskip(NEXT) | instid1(VALU_DEP_2)
	v_fma_f64 v[0:1], 0x80000000, v[19:20], v[0:1]
	v_fma_f64 v[2:3], v[21:22], v[19:20], v[2:3]
	s_branch .LBB441_11
.LBB441_14:
	s_set_inst_prefetch_distance 0x2
	v_lshlrev_b32_e32 v17, 4, v4
	s_and_b32 vcc_lo, exec_lo, s8
	ds_store_b128 v17, v[0:3]
	s_waitcnt vmcnt(0) lgkmcnt(0)
	s_barrier
	buffer_gl0_inv
	s_cbranch_vccz .LBB441_26
; %bb.15:
	s_mov_b32 s0, exec_lo
	v_cmpx_gt_u16_e32 10, v16
	s_cbranch_execz .LBB441_17
; %bb.16:
	ds_load_b128 v[18:21], v17 offset:256
	ds_load_b128 v[22:25], v17
	s_waitcnt lgkmcnt(0)
	v_add_f64 v[18:19], v[18:19], v[22:23]
	v_add_f64 v[20:21], v[20:21], v[24:25]
	ds_store_b128 v17, v[18:21]
.LBB441_17:
	s_or_b32 exec_lo, exec_lo, s0
	s_delay_alu instid0(SALU_CYCLE_1)
	s_mov_b32 s0, exec_lo
	s_waitcnt lgkmcnt(0)
	s_barrier
	buffer_gl0_inv
	v_cmpx_gt_u16_e32 8, v16
	s_cbranch_execz .LBB441_19
; %bb.18:
	ds_load_b128 v[18:21], v17 offset:128
	ds_load_b128 v[22:25], v17
	s_waitcnt lgkmcnt(0)
	v_add_f64 v[18:19], v[18:19], v[22:23]
	v_add_f64 v[20:21], v[20:21], v[24:25]
	ds_store_b128 v17, v[18:21]
.LBB441_19:
	s_or_b32 exec_lo, exec_lo, s0
	s_delay_alu instid0(SALU_CYCLE_1)
	s_mov_b32 s0, exec_lo
	s_waitcnt lgkmcnt(0)
	s_barrier
	buffer_gl0_inv
	;; [unrolled: 16-line block ×3, first 2 shown]
	v_cmpx_gt_u16_e32 2, v16
	s_cbranch_execz .LBB441_23
; %bb.22:
	ds_load_b128 v[13:16], v17
	ds_load_b128 v[18:21], v17 offset:32
	s_waitcnt lgkmcnt(0)
	v_add_f64 v[13:14], v[18:19], v[13:14]
	v_add_f64 v[15:16], v[20:21], v[15:16]
	ds_store_b128 v17, v[13:16]
.LBB441_23:
	s_or_b32 exec_lo, exec_lo, s0
	v_dual_mov_b32 v16, v3 :: v_dual_mov_b32 v15, v2
	v_dual_mov_b32 v14, v1 :: v_dual_mov_b32 v13, v0
	s_mov_b32 s0, exec_lo
	s_waitcnt lgkmcnt(0)
	s_barrier
	buffer_gl0_inv
	v_cmpx_gt_u32_e32 26, v4
	s_cbranch_execz .LBB441_25
; %bb.24:
	v_mul_u32_u24_e32 v13, 26, v4
	s_delay_alu instid0(VALU_DEP_1)
	v_lshlrev_b32_e32 v18, 4, v13
	ds_load_b128 v[13:16], v18
	ds_load_b128 v[18:21], v18 offset:16
	s_waitcnt lgkmcnt(0)
	v_add_f64 v[13:14], v[18:19], v[13:14]
	v_add_f64 v[15:16], v[20:21], v[15:16]
.LBB441_25:
	s_or_b32 exec_lo, exec_lo, s0
	s_branch .LBB441_38
.LBB441_26:
                                        ; implicit-def: $vgpr15_vgpr16
                                        ; implicit-def: $vgpr13_vgpr14
	s_cbranch_execz .LBB441_38
; %bb.27:
	s_mov_b32 s0, exec_lo
	v_cmpx_gt_u32_e32 0x104, v4
	s_cbranch_execz .LBB441_29
; %bb.28:
	ds_load_b128 v[13:16], v17 offset:6656
	ds_load_b128 v[18:21], v17
	s_waitcnt lgkmcnt(0)
	v_add_f64 v[13:14], v[13:14], v[18:19]
	v_add_f64 v[15:16], v[15:16], v[20:21]
	ds_store_b128 v17, v[13:16]
.LBB441_29:
	s_or_b32 exec_lo, exec_lo, s0
	s_delay_alu instid0(SALU_CYCLE_1)
	s_mov_b32 s0, exec_lo
	s_waitcnt lgkmcnt(0)
	s_barrier
	buffer_gl0_inv
	v_cmpx_gt_u32_e32 0xd0, v4
	s_cbranch_execz .LBB441_31
; %bb.30:
	ds_load_b128 v[13:16], v17 offset:3328
	ds_load_b128 v[18:21], v17
	s_waitcnt lgkmcnt(0)
	v_add_f64 v[13:14], v[13:14], v[18:19]
	v_add_f64 v[15:16], v[15:16], v[20:21]
	ds_store_b128 v17, v[13:16]
.LBB441_31:
	s_or_b32 exec_lo, exec_lo, s0
	s_delay_alu instid0(SALU_CYCLE_1)
	s_mov_b32 s0, exec_lo
	s_waitcnt lgkmcnt(0)
	s_barrier
	buffer_gl0_inv
	;; [unrolled: 16-line block ×3, first 2 shown]
	v_cmpx_gt_u32_e32 52, v4
	s_cbranch_execz .LBB441_35
; %bb.34:
	ds_load_b128 v[13:16], v17 offset:832
	ds_load_b128 v[18:21], v17
	s_waitcnt lgkmcnt(0)
	v_add_f64 v[13:14], v[13:14], v[18:19]
	v_add_f64 v[15:16], v[15:16], v[20:21]
	ds_store_b128 v17, v[13:16]
.LBB441_35:
	s_or_b32 exec_lo, exec_lo, s0
	s_delay_alu instid0(SALU_CYCLE_1)
	s_mov_b32 s0, exec_lo
	s_waitcnt lgkmcnt(0)
	buffer_gl0_inv
	v_cmpx_gt_u32_e32 26, v4
	s_cbranch_execz .LBB441_37
; %bb.36:
	ds_load_b128 v[0:3], v17 offset:416
	ds_load_b128 v[13:16], v17
	s_waitcnt lgkmcnt(0)
	v_add_f64 v[0:1], v[0:1], v[13:14]
	v_add_f64 v[2:3], v[2:3], v[15:16]
.LBB441_37:
	s_or_b32 exec_lo, exec_lo, s0
	s_delay_alu instid0(VALU_DEP_1) | instskip(NEXT) | instid1(VALU_DEP_3)
	v_dual_mov_b32 v16, v3 :: v_dual_mov_b32 v15, v2
	v_dual_mov_b32 v14, v1 :: v_dual_mov_b32 v13, v0
.LBB441_38:
	v_cmp_gt_u32_e32 vcc_lo, 26, v4
	s_and_b32 exec_lo, exec_lo, vcc_lo
	s_cbranch_execz .LBB441_43
; %bb.39:
	s_delay_alu instid0(VALU_DEP_2) | instskip(SKIP_3) | instid1(VALU_DEP_4)
	v_mul_f64 v[0:1], v[15:16], -v[11:12]
	v_mul_f64 v[2:3], v[9:10], v[15:16]
	v_cmp_eq_f64_e32 vcc_lo, 0, v[5:6]
	v_cmp_eq_f64_e64 s0, 0, v[7:8]
	v_fma_f64 v[0:1], v[9:10], v[13:14], v[0:1]
	s_delay_alu instid0(VALU_DEP_4) | instskip(NEXT) | instid1(VALU_DEP_3)
	v_fma_f64 v[2:3], v[11:12], v[13:14], v[2:3]
	s_and_b32 s0, vcc_lo, s0
	s_delay_alu instid0(SALU_CYCLE_1) | instskip(NEXT) | instid1(SALU_CYCLE_1)
	s_and_saveexec_b32 s1, s0
	s_xor_b32 s0, exec_lo, s1
	s_cbranch_execz .LBB441_41
; %bb.40:
	v_mad_u64_u32 v[5:6], null, s12, 26, v[4:5]
	v_mov_b32_e32 v6, 0
                                        ; implicit-def: $vgpr7_vgpr8
	s_delay_alu instid0(VALU_DEP_1) | instskip(NEXT) | instid1(VALU_DEP_1)
	v_lshlrev_b64 v[4:5], 4, v[5:6]
	v_add_co_u32 v4, vcc_lo, s4, v4
	s_delay_alu instid0(VALU_DEP_2)
	v_add_co_ci_u32_e32 v5, vcc_lo, s5, v5, vcc_lo
	global_store_b128 v[4:5], v[0:3], off
                                        ; implicit-def: $vgpr4
                                        ; implicit-def: $vgpr5_vgpr6
                                        ; implicit-def: $vgpr0_vgpr1
.LBB441_41:
	s_and_not1_saveexec_b32 s0, s0
	s_cbranch_execz .LBB441_43
; %bb.42:
	v_mad_u64_u32 v[9:10], null, s12, 26, v[4:5]
	v_mov_b32_e32 v10, 0
	s_delay_alu instid0(VALU_DEP_1) | instskip(NEXT) | instid1(VALU_DEP_1)
	v_lshlrev_b64 v[9:10], 4, v[9:10]
	v_add_co_u32 v13, vcc_lo, s4, v9
	s_delay_alu instid0(VALU_DEP_2) | instskip(SKIP_4) | instid1(VALU_DEP_2)
	v_add_co_ci_u32_e32 v14, vcc_lo, s5, v10, vcc_lo
	global_load_b128 v[9:12], v[13:14], off
	s_waitcnt vmcnt(0)
	v_fma_f64 v[0:1], v[5:6], v[9:10], v[0:1]
	v_fma_f64 v[2:3], v[7:8], v[9:10], v[2:3]
	v_fma_f64 v[0:1], -v[7:8], v[11:12], v[0:1]
	s_delay_alu instid0(VALU_DEP_2)
	v_fma_f64 v[2:3], v[5:6], v[11:12], v[2:3]
	global_store_b128 v[13:14], v[0:3], off
.LBB441_43:
	s_nop 0
	s_sendmsg sendmsg(MSG_DEALLOC_VGPRS)
	s_endpgm
	.section	.rodata,"a",@progbits
	.p2align	6, 0x0
	.amdhsa_kernel _ZN9rocsparseL20bsrxmvn_17_32_kernelILj26E21rocsparse_complex_numIdEiidS2_S2_EEvT2_20rocsparse_direction_NS_24const_host_device_scalarIT0_EES3_PKS3_PKT1_SC_S9_PKT3_PKT4_S7_PT5_21rocsparse_index_base_b
		.amdhsa_group_segment_fixed_size 21632
		.amdhsa_private_segment_fixed_size 0
		.amdhsa_kernarg_size 112
		.amdhsa_user_sgpr_count 15
		.amdhsa_user_sgpr_dispatch_ptr 1
		.amdhsa_user_sgpr_queue_ptr 0
		.amdhsa_user_sgpr_kernarg_segment_ptr 1
		.amdhsa_user_sgpr_dispatch_id 0
		.amdhsa_user_sgpr_private_segment_size 0
		.amdhsa_wavefront_size32 1
		.amdhsa_uses_dynamic_stack 0
		.amdhsa_enable_private_segment 0
		.amdhsa_system_sgpr_workgroup_id_x 1
		.amdhsa_system_sgpr_workgroup_id_y 0
		.amdhsa_system_sgpr_workgroup_id_z 0
		.amdhsa_system_sgpr_workgroup_info 0
		.amdhsa_system_vgpr_workitem_id 2
		.amdhsa_next_free_vgpr 26
		.amdhsa_next_free_sgpr 20
		.amdhsa_reserve_vcc 1
		.amdhsa_float_round_mode_32 0
		.amdhsa_float_round_mode_16_64 0
		.amdhsa_float_denorm_mode_32 3
		.amdhsa_float_denorm_mode_16_64 3
		.amdhsa_dx10_clamp 1
		.amdhsa_ieee_mode 1
		.amdhsa_fp16_overflow 0
		.amdhsa_workgroup_processor_mode 1
		.amdhsa_memory_ordered 1
		.amdhsa_forward_progress 0
		.amdhsa_shared_vgpr_count 0
		.amdhsa_exception_fp_ieee_invalid_op 0
		.amdhsa_exception_fp_denorm_src 0
		.amdhsa_exception_fp_ieee_div_zero 0
		.amdhsa_exception_fp_ieee_overflow 0
		.amdhsa_exception_fp_ieee_underflow 0
		.amdhsa_exception_fp_ieee_inexact 0
		.amdhsa_exception_int_div_zero 0
	.end_amdhsa_kernel
	.section	.text._ZN9rocsparseL20bsrxmvn_17_32_kernelILj26E21rocsparse_complex_numIdEiidS2_S2_EEvT2_20rocsparse_direction_NS_24const_host_device_scalarIT0_EES3_PKS3_PKT1_SC_S9_PKT3_PKT4_S7_PT5_21rocsparse_index_base_b,"axG",@progbits,_ZN9rocsparseL20bsrxmvn_17_32_kernelILj26E21rocsparse_complex_numIdEiidS2_S2_EEvT2_20rocsparse_direction_NS_24const_host_device_scalarIT0_EES3_PKS3_PKT1_SC_S9_PKT3_PKT4_S7_PT5_21rocsparse_index_base_b,comdat
.Lfunc_end441:
	.size	_ZN9rocsparseL20bsrxmvn_17_32_kernelILj26E21rocsparse_complex_numIdEiidS2_S2_EEvT2_20rocsparse_direction_NS_24const_host_device_scalarIT0_EES3_PKS3_PKT1_SC_S9_PKT3_PKT4_S7_PT5_21rocsparse_index_base_b, .Lfunc_end441-_ZN9rocsparseL20bsrxmvn_17_32_kernelILj26E21rocsparse_complex_numIdEiidS2_S2_EEvT2_20rocsparse_direction_NS_24const_host_device_scalarIT0_EES3_PKS3_PKT1_SC_S9_PKT3_PKT4_S7_PT5_21rocsparse_index_base_b
                                        ; -- End function
	.section	.AMDGPU.csdata,"",@progbits
; Kernel info:
; codeLenInByte = 2000
; NumSgprs: 22
; NumVgprs: 26
; ScratchSize: 0
; MemoryBound: 0
; FloatMode: 240
; IeeeMode: 1
; LDSByteSize: 21632 bytes/workgroup (compile time only)
; SGPRBlocks: 2
; VGPRBlocks: 3
; NumSGPRsForWavesPerEU: 22
; NumVGPRsForWavesPerEU: 26
; Occupancy: 11
; WaveLimiterHint : 1
; COMPUTE_PGM_RSRC2:SCRATCH_EN: 0
; COMPUTE_PGM_RSRC2:USER_SGPR: 15
; COMPUTE_PGM_RSRC2:TRAP_HANDLER: 0
; COMPUTE_PGM_RSRC2:TGID_X_EN: 1
; COMPUTE_PGM_RSRC2:TGID_Y_EN: 0
; COMPUTE_PGM_RSRC2:TGID_Z_EN: 0
; COMPUTE_PGM_RSRC2:TIDIG_COMP_CNT: 2
	.section	.text._ZN9rocsparseL20bsrxmvn_17_32_kernelILj27E21rocsparse_complex_numIdEiidS2_S2_EEvT2_20rocsparse_direction_NS_24const_host_device_scalarIT0_EES3_PKS3_PKT1_SC_S9_PKT3_PKT4_S7_PT5_21rocsparse_index_base_b,"axG",@progbits,_ZN9rocsparseL20bsrxmvn_17_32_kernelILj27E21rocsparse_complex_numIdEiidS2_S2_EEvT2_20rocsparse_direction_NS_24const_host_device_scalarIT0_EES3_PKS3_PKT1_SC_S9_PKT3_PKT4_S7_PT5_21rocsparse_index_base_b,comdat
	.globl	_ZN9rocsparseL20bsrxmvn_17_32_kernelILj27E21rocsparse_complex_numIdEiidS2_S2_EEvT2_20rocsparse_direction_NS_24const_host_device_scalarIT0_EES3_PKS3_PKT1_SC_S9_PKT3_PKT4_S7_PT5_21rocsparse_index_base_b ; -- Begin function _ZN9rocsparseL20bsrxmvn_17_32_kernelILj27E21rocsparse_complex_numIdEiidS2_S2_EEvT2_20rocsparse_direction_NS_24const_host_device_scalarIT0_EES3_PKS3_PKT1_SC_S9_PKT3_PKT4_S7_PT5_21rocsparse_index_base_b
	.p2align	8
	.type	_ZN9rocsparseL20bsrxmvn_17_32_kernelILj27E21rocsparse_complex_numIdEiidS2_S2_EEvT2_20rocsparse_direction_NS_24const_host_device_scalarIT0_EES3_PKS3_PKT1_SC_S9_PKT3_PKT4_S7_PT5_21rocsparse_index_base_b,@function
_ZN9rocsparseL20bsrxmvn_17_32_kernelILj27E21rocsparse_complex_numIdEiidS2_S2_EEvT2_20rocsparse_direction_NS_24const_host_device_scalarIT0_EES3_PKS3_PKT1_SC_S9_PKT3_PKT4_S7_PT5_21rocsparse_index_base_b: ; @_ZN9rocsparseL20bsrxmvn_17_32_kernelILj27E21rocsparse_complex_numIdEiidS2_S2_EEvT2_20rocsparse_direction_NS_24const_host_device_scalarIT0_EES3_PKS3_PKT1_SC_S9_PKT3_PKT4_S7_PT5_21rocsparse_index_base_b
; %bb.0:
	s_mov_b32 s12, s15
	s_clause 0x1
	s_load_b64 s[14:15], s[2:3], 0x68
	s_load_b128 s[4:7], s[2:3], 0x8
	s_load_b64 s[16:17], s[0:1], 0x4
	s_mov_b64 s[0:1], src_shared_base
	v_and_b32_e32 v4, 0x3ff, v0
	s_load_b128 s[8:11], s[2:3], 0x50
	v_bfe_u32 v2, v0, 10, 10
	v_bfe_u32 v0, v0, 20, 10
	s_waitcnt lgkmcnt(0)
	s_bitcmp1_b32 s15, 0
	v_mov_b32_e32 v12, s7
	s_cselect_b32 s0, -1, 0
	v_mov_b32_e32 v11, s6
	s_and_b32 vcc_lo, s0, exec_lo
	s_cselect_b32 s13, s1, s5
	s_lshr_b32 s15, s16, 16
	v_mov_b32_e32 v6, s13
	s_mul_i32 s15, s15, s17
	s_xor_b32 s6, s0, -1
	v_mul_lo_u32 v1, s15, v4
	s_delay_alu instid0(VALU_DEP_1) | instskip(SKIP_1) | instid1(VALU_DEP_2)
	v_mad_u32_u24 v1, v2, s17, v1
	v_dual_mov_b32 v2, s8 :: v_dual_mov_b32 v3, s9
	v_add_lshl_u32 v7, v1, v0, 3
	v_dual_mov_b32 v0, s4 :: v_dual_mov_b32 v1, s5
	ds_store_b64 v7, v[0:1] offset:17496
	ds_store_b64 v7, v[2:3] offset:11664
	v_add_nc_u32_e32 v5, 0x4458, v7
	v_add_nc_u32_e32 v0, 0x2d90, v7
	s_delay_alu instid0(VALU_DEP_2)
	v_cndmask_b32_e64 v5, s4, v5, s0
	flat_load_b64 v[9:10], v[5:6]
	s_cbranch_vccnz .LBB442_2
; %bb.1:
	v_dual_mov_b32 v1, s4 :: v_dual_mov_b32 v2, s5
	flat_load_b64 v[11:12], v[1:2] offset:8
.LBB442_2:
	s_and_b32 s4, s0, exec_lo
	s_cselect_b32 s1, s1, s9
	v_cndmask_b32_e64 v0, s8, v0, s0
	v_mov_b32_e32 v1, s1
	v_dual_mov_b32 v7, s10 :: v_dual_mov_b32 v8, s11
	s_and_not1_b32 vcc_lo, exec_lo, s6
	flat_load_b64 v[5:6], v[0:1]
	s_cbranch_vccnz .LBB442_4
; %bb.3:
	v_dual_mov_b32 v0, s8 :: v_dual_mov_b32 v1, s9
	flat_load_b64 v[7:8], v[0:1] offset:8
.LBB442_4:
	s_waitcnt vmcnt(1) lgkmcnt(1)
	v_cmp_eq_f64_e32 vcc_lo, 0, v[9:10]
	v_cmp_eq_f64_e64 s0, 0, v[11:12]
	s_delay_alu instid0(VALU_DEP_1)
	s_and_b32 s4, vcc_lo, s0
	s_mov_b32 s0, -1
	s_and_saveexec_b32 s1, s4
	s_cbranch_execz .LBB442_6
; %bb.5:
	s_waitcnt vmcnt(0) lgkmcnt(0)
	v_cmp_neq_f64_e32 vcc_lo, 1.0, v[5:6]
	v_cmp_neq_f64_e64 s0, 0, v[7:8]
	s_delay_alu instid0(VALU_DEP_1) | instskip(NEXT) | instid1(SALU_CYCLE_1)
	s_or_b32 s0, vcc_lo, s0
	s_or_not1_b32 s0, s0, exec_lo
.LBB442_6:
	s_or_b32 exec_lo, exec_lo, s1
	s_and_saveexec_b32 s1, s0
	s_cbranch_execz .LBB442_43
; %bb.7:
	s_clause 0x1
	s_load_b128 s[4:7], s[2:3], 0x20
	s_load_b64 s[0:1], s[2:3], 0x30
	s_waitcnt lgkmcnt(0)
	s_cmp_eq_u64 s[4:5], 0
	s_cbranch_scc1 .LBB442_9
; %bb.8:
	s_ashr_i32 s13, s12, 31
	s_delay_alu instid0(SALU_CYCLE_1) | instskip(NEXT) | instid1(SALU_CYCLE_1)
	s_lshl_b64 s[8:9], s[12:13], 2
	s_add_u32 s4, s4, s8
	s_addc_u32 s5, s5, s9
	s_load_b32 s4, s[4:5], 0x0
	s_waitcnt lgkmcnt(0)
	s_sub_i32 s12, s4, s14
.LBB442_9:
	s_load_b32 s4, s[2:3], 0x4
	v_mul_u32_u24_e32 v0, 0x97c, v4
	v_mov_b32_e32 v2, 0
	v_mov_b32_e32 v3, 0
	s_delay_alu instid0(VALU_DEP_3) | instskip(NEXT) | instid1(VALU_DEP_1)
	v_lshrrev_b32_e32 v13, 16, v0
	v_mul_lo_u16 v0, v13, 27
	s_delay_alu instid0(VALU_DEP_1) | instskip(NEXT) | instid1(VALU_DEP_4)
	v_sub_nc_u16 v16, v4, v0
	v_dual_mov_b32 v0, v2 :: v_dual_mov_b32 v1, v3
	s_waitcnt lgkmcnt(0)
	s_cmp_eq_u32 s4, 1
	s_cselect_b32 vcc_lo, -1, 0
	s_cmp_lg_u32 s4, 1
	s_cselect_b32 s8, -1, 0
	s_ashr_i32 s13, s12, 31
	s_delay_alu instid0(SALU_CYCLE_1) | instskip(NEXT) | instid1(SALU_CYCLE_1)
	s_lshl_b64 s[4:5], s[12:13], 2
	s_add_u32 s6, s6, s4
	s_addc_u32 s7, s7, s5
	s_add_u32 s9, s6, 4
	s_addc_u32 s10, s7, 0
	;; [unrolled: 2-line block ×3, first 2 shown]
	s_cmp_eq_u64 s[0:1], 0
	s_cselect_b32 s1, s10, s5
	s_cselect_b32 s0, s9, s4
	s_load_b32 s6, s[6:7], 0x0
	s_load_b32 s7, s[0:1], 0x0
	s_load_b64 s[4:5], s[2:3], 0x60
	s_waitcnt lgkmcnt(0)
	s_cmp_ge_i32 s6, s7
	s_cbranch_scc1 .LBB442_14
; %bb.10:
	s_clause 0x1
	s_load_b128 s[16:19], s[2:3], 0x38
	s_load_b64 s[0:1], s[2:3], 0x48
	v_dual_mov_b32 v2, 0 :: v_dual_and_b32 v1, 0xffff, v13
	s_sub_i32 s2, s6, s14
	v_dual_mov_b32 v3, 0 :: v_dual_and_b32 v0, 0xffff, v16
	v_lshlrev_b32_e32 v14, 3, v4
	s_sub_i32 s9, s7, s14
	s_mul_i32 s7, s2, 0x16c8
	s_delay_alu instid0(VALU_DEP_2)
	v_cndmask_b32_e32 v13, v0, v1, vcc_lo
	s_ashr_i32 s3, s2, 31
	s_mul_hi_i32 s6, s2, 0x16c8
	v_dual_mov_b32 v0, v2 :: v_dual_mov_b32 v1, v3
	s_waitcnt lgkmcnt(0)
	s_add_u32 s10, s18, s7
	s_addc_u32 s11, s19, s6
	s_lshl_b64 s[6:7], s[2:3], 2
	v_add_co_u32 v14, s3, s10, v14
	s_delay_alu instid0(VALU_DEP_1)
	v_add_co_ci_u32_e64 v15, null, s11, 0, s3
	s_add_u32 s6, s16, s6
	s_addc_u32 s7, s17, s7
	s_set_inst_prefetch_distance 0x1
	s_branch .LBB442_12
	.p2align	6
.LBB442_11:                             ;   in Loop: Header=BB442_12 Depth=1
	s_add_i32 s2, s2, 1
	s_add_u32 s6, s6, 4
	s_addc_u32 s7, s7, 0
	s_cmp_lt_i32 s2, s9
	s_cbranch_scc0 .LBB442_14
.LBB442_12:                             ; =>This Inner Loop Header: Depth=1
	s_cmp_ge_i32 s2, s9
	s_cbranch_scc1 .LBB442_11
; %bb.13:                               ;   in Loop: Header=BB442_12 Depth=1
	s_load_b32 s3, s[6:7], 0x0
	s_waitcnt lgkmcnt(0)
	s_sub_i32 s3, s3, s14
	s_delay_alu instid0(SALU_CYCLE_1) | instskip(NEXT) | instid1(VALU_DEP_1)
	v_mad_u64_u32 v[17:18], null, s3, 27, v[13:14]
	v_ashrrev_i32_e32 v18, 31, v17
	s_delay_alu instid0(VALU_DEP_1) | instskip(NEXT) | instid1(VALU_DEP_1)
	v_lshlrev_b64 v[17:18], 4, v[17:18]
	v_add_co_u32 v17, vcc_lo, s0, v17
	s_delay_alu instid0(VALU_DEP_2)
	v_add_co_ci_u32_e32 v18, vcc_lo, s1, v18, vcc_lo
	global_load_b64 v[21:22], v[14:15], off
	global_load_b128 v[17:20], v[17:18], off
	v_add_co_u32 v14, vcc_lo, 0x16c8, v14
	v_add_co_ci_u32_e32 v15, vcc_lo, 0, v15, vcc_lo
	s_waitcnt vmcnt(0)
	v_fma_f64 v[0:1], v[21:22], v[17:18], v[0:1]
	v_fma_f64 v[2:3], v[17:18], 0, v[2:3]
	s_delay_alu instid0(VALU_DEP_2) | instskip(NEXT) | instid1(VALU_DEP_2)
	v_fma_f64 v[0:1], 0x80000000, v[19:20], v[0:1]
	v_fma_f64 v[2:3], v[21:22], v[19:20], v[2:3]
	s_branch .LBB442_11
.LBB442_14:
	s_set_inst_prefetch_distance 0x2
	v_lshlrev_b32_e32 v17, 4, v4
	s_and_b32 vcc_lo, exec_lo, s8
	ds_store_b128 v17, v[0:3]
	s_waitcnt vmcnt(0) lgkmcnt(0)
	s_barrier
	buffer_gl0_inv
	s_cbranch_vccz .LBB442_26
; %bb.15:
	s_mov_b32 s0, exec_lo
	v_cmpx_gt_u16_e32 11, v16
	s_cbranch_execz .LBB442_17
; %bb.16:
	ds_load_b128 v[18:21], v17 offset:256
	ds_load_b128 v[22:25], v17
	s_waitcnt lgkmcnt(0)
	v_add_f64 v[18:19], v[18:19], v[22:23]
	v_add_f64 v[20:21], v[20:21], v[24:25]
	ds_store_b128 v17, v[18:21]
.LBB442_17:
	s_or_b32 exec_lo, exec_lo, s0
	s_delay_alu instid0(SALU_CYCLE_1)
	s_mov_b32 s0, exec_lo
	s_waitcnt lgkmcnt(0)
	s_barrier
	buffer_gl0_inv
	v_cmpx_gt_u16_e32 8, v16
	s_cbranch_execz .LBB442_19
; %bb.18:
	ds_load_b128 v[18:21], v17 offset:128
	ds_load_b128 v[22:25], v17
	s_waitcnt lgkmcnt(0)
	v_add_f64 v[18:19], v[18:19], v[22:23]
	v_add_f64 v[20:21], v[20:21], v[24:25]
	ds_store_b128 v17, v[18:21]
.LBB442_19:
	s_or_b32 exec_lo, exec_lo, s0
	s_delay_alu instid0(SALU_CYCLE_1)
	s_mov_b32 s0, exec_lo
	s_waitcnt lgkmcnt(0)
	s_barrier
	buffer_gl0_inv
	;; [unrolled: 16-line block ×3, first 2 shown]
	v_cmpx_gt_u16_e32 2, v16
	s_cbranch_execz .LBB442_23
; %bb.22:
	ds_load_b128 v[13:16], v17
	ds_load_b128 v[18:21], v17 offset:32
	s_waitcnt lgkmcnt(0)
	v_add_f64 v[13:14], v[18:19], v[13:14]
	v_add_f64 v[15:16], v[20:21], v[15:16]
	ds_store_b128 v17, v[13:16]
.LBB442_23:
	s_or_b32 exec_lo, exec_lo, s0
	v_dual_mov_b32 v16, v3 :: v_dual_mov_b32 v15, v2
	v_dual_mov_b32 v14, v1 :: v_dual_mov_b32 v13, v0
	s_mov_b32 s0, exec_lo
	s_waitcnt lgkmcnt(0)
	s_barrier
	buffer_gl0_inv
	v_cmpx_gt_u32_e32 27, v4
	s_cbranch_execz .LBB442_25
; %bb.24:
	v_mul_u32_u24_e32 v13, 27, v4
	s_delay_alu instid0(VALU_DEP_1)
	v_lshlrev_b32_e32 v18, 4, v13
	ds_load_b128 v[13:16], v18
	ds_load_b128 v[18:21], v18 offset:16
	s_waitcnt lgkmcnt(0)
	v_add_f64 v[13:14], v[18:19], v[13:14]
	v_add_f64 v[15:16], v[20:21], v[15:16]
.LBB442_25:
	s_or_b32 exec_lo, exec_lo, s0
	s_branch .LBB442_38
.LBB442_26:
                                        ; implicit-def: $vgpr15_vgpr16
                                        ; implicit-def: $vgpr13_vgpr14
	s_cbranch_execz .LBB442_38
; %bb.27:
	s_mov_b32 s0, exec_lo
	v_cmpx_gt_u32_e32 0x129, v4
	s_cbranch_execz .LBB442_29
; %bb.28:
	ds_load_b128 v[13:16], v17 offset:6912
	ds_load_b128 v[18:21], v17
	s_waitcnt lgkmcnt(0)
	v_add_f64 v[13:14], v[13:14], v[18:19]
	v_add_f64 v[15:16], v[15:16], v[20:21]
	ds_store_b128 v17, v[13:16]
.LBB442_29:
	s_or_b32 exec_lo, exec_lo, s0
	s_delay_alu instid0(SALU_CYCLE_1)
	s_mov_b32 s0, exec_lo
	s_waitcnt lgkmcnt(0)
	s_barrier
	buffer_gl0_inv
	v_cmpx_gt_u32_e32 0xd8, v4
	s_cbranch_execz .LBB442_31
; %bb.30:
	ds_load_b128 v[13:16], v17 offset:3456
	ds_load_b128 v[18:21], v17
	s_waitcnt lgkmcnt(0)
	v_add_f64 v[13:14], v[13:14], v[18:19]
	v_add_f64 v[15:16], v[15:16], v[20:21]
	ds_store_b128 v17, v[13:16]
.LBB442_31:
	s_or_b32 exec_lo, exec_lo, s0
	s_delay_alu instid0(SALU_CYCLE_1)
	s_mov_b32 s0, exec_lo
	s_waitcnt lgkmcnt(0)
	s_barrier
	buffer_gl0_inv
	;; [unrolled: 16-line block ×3, first 2 shown]
	v_cmpx_gt_u32_e32 54, v4
	s_cbranch_execz .LBB442_35
; %bb.34:
	ds_load_b128 v[13:16], v17 offset:864
	ds_load_b128 v[18:21], v17
	s_waitcnt lgkmcnt(0)
	v_add_f64 v[13:14], v[13:14], v[18:19]
	v_add_f64 v[15:16], v[15:16], v[20:21]
	ds_store_b128 v17, v[13:16]
.LBB442_35:
	s_or_b32 exec_lo, exec_lo, s0
	s_delay_alu instid0(SALU_CYCLE_1)
	s_mov_b32 s0, exec_lo
	s_waitcnt lgkmcnt(0)
	buffer_gl0_inv
	v_cmpx_gt_u32_e32 27, v4
	s_cbranch_execz .LBB442_37
; %bb.36:
	ds_load_b128 v[0:3], v17 offset:432
	ds_load_b128 v[13:16], v17
	s_waitcnt lgkmcnt(0)
	v_add_f64 v[0:1], v[0:1], v[13:14]
	v_add_f64 v[2:3], v[2:3], v[15:16]
.LBB442_37:
	s_or_b32 exec_lo, exec_lo, s0
	s_delay_alu instid0(VALU_DEP_1) | instskip(NEXT) | instid1(VALU_DEP_3)
	v_dual_mov_b32 v16, v3 :: v_dual_mov_b32 v15, v2
	v_dual_mov_b32 v14, v1 :: v_dual_mov_b32 v13, v0
.LBB442_38:
	v_cmp_gt_u32_e32 vcc_lo, 27, v4
	s_and_b32 exec_lo, exec_lo, vcc_lo
	s_cbranch_execz .LBB442_43
; %bb.39:
	s_delay_alu instid0(VALU_DEP_2) | instskip(SKIP_3) | instid1(VALU_DEP_4)
	v_mul_f64 v[0:1], v[15:16], -v[11:12]
	v_mul_f64 v[2:3], v[9:10], v[15:16]
	v_cmp_eq_f64_e32 vcc_lo, 0, v[5:6]
	v_cmp_eq_f64_e64 s0, 0, v[7:8]
	v_fma_f64 v[0:1], v[9:10], v[13:14], v[0:1]
	s_delay_alu instid0(VALU_DEP_4) | instskip(NEXT) | instid1(VALU_DEP_3)
	v_fma_f64 v[2:3], v[11:12], v[13:14], v[2:3]
	s_and_b32 s0, vcc_lo, s0
	s_delay_alu instid0(SALU_CYCLE_1) | instskip(NEXT) | instid1(SALU_CYCLE_1)
	s_and_saveexec_b32 s1, s0
	s_xor_b32 s0, exec_lo, s1
	s_cbranch_execz .LBB442_41
; %bb.40:
	v_mad_u64_u32 v[5:6], null, s12, 27, v[4:5]
	v_mov_b32_e32 v6, 0
                                        ; implicit-def: $vgpr7_vgpr8
	s_delay_alu instid0(VALU_DEP_1) | instskip(NEXT) | instid1(VALU_DEP_1)
	v_lshlrev_b64 v[4:5], 4, v[5:6]
	v_add_co_u32 v4, vcc_lo, s4, v4
	s_delay_alu instid0(VALU_DEP_2)
	v_add_co_ci_u32_e32 v5, vcc_lo, s5, v5, vcc_lo
	global_store_b128 v[4:5], v[0:3], off
                                        ; implicit-def: $vgpr4
                                        ; implicit-def: $vgpr5_vgpr6
                                        ; implicit-def: $vgpr0_vgpr1
.LBB442_41:
	s_and_not1_saveexec_b32 s0, s0
	s_cbranch_execz .LBB442_43
; %bb.42:
	v_mad_u64_u32 v[9:10], null, s12, 27, v[4:5]
	v_mov_b32_e32 v10, 0
	s_delay_alu instid0(VALU_DEP_1) | instskip(NEXT) | instid1(VALU_DEP_1)
	v_lshlrev_b64 v[9:10], 4, v[9:10]
	v_add_co_u32 v13, vcc_lo, s4, v9
	s_delay_alu instid0(VALU_DEP_2) | instskip(SKIP_4) | instid1(VALU_DEP_2)
	v_add_co_ci_u32_e32 v14, vcc_lo, s5, v10, vcc_lo
	global_load_b128 v[9:12], v[13:14], off
	s_waitcnt vmcnt(0)
	v_fma_f64 v[0:1], v[5:6], v[9:10], v[0:1]
	v_fma_f64 v[2:3], v[7:8], v[9:10], v[2:3]
	v_fma_f64 v[0:1], -v[7:8], v[11:12], v[0:1]
	s_delay_alu instid0(VALU_DEP_2)
	v_fma_f64 v[2:3], v[5:6], v[11:12], v[2:3]
	global_store_b128 v[13:14], v[0:3], off
.LBB442_43:
	s_nop 0
	s_sendmsg sendmsg(MSG_DEALLOC_VGPRS)
	s_endpgm
	.section	.rodata,"a",@progbits
	.p2align	6, 0x0
	.amdhsa_kernel _ZN9rocsparseL20bsrxmvn_17_32_kernelILj27E21rocsparse_complex_numIdEiidS2_S2_EEvT2_20rocsparse_direction_NS_24const_host_device_scalarIT0_EES3_PKS3_PKT1_SC_S9_PKT3_PKT4_S7_PT5_21rocsparse_index_base_b
		.amdhsa_group_segment_fixed_size 23328
		.amdhsa_private_segment_fixed_size 0
		.amdhsa_kernarg_size 112
		.amdhsa_user_sgpr_count 15
		.amdhsa_user_sgpr_dispatch_ptr 1
		.amdhsa_user_sgpr_queue_ptr 0
		.amdhsa_user_sgpr_kernarg_segment_ptr 1
		.amdhsa_user_sgpr_dispatch_id 0
		.amdhsa_user_sgpr_private_segment_size 0
		.amdhsa_wavefront_size32 1
		.amdhsa_uses_dynamic_stack 0
		.amdhsa_enable_private_segment 0
		.amdhsa_system_sgpr_workgroup_id_x 1
		.amdhsa_system_sgpr_workgroup_id_y 0
		.amdhsa_system_sgpr_workgroup_id_z 0
		.amdhsa_system_sgpr_workgroup_info 0
		.amdhsa_system_vgpr_workitem_id 2
		.amdhsa_next_free_vgpr 26
		.amdhsa_next_free_sgpr 20
		.amdhsa_reserve_vcc 1
		.amdhsa_float_round_mode_32 0
		.amdhsa_float_round_mode_16_64 0
		.amdhsa_float_denorm_mode_32 3
		.amdhsa_float_denorm_mode_16_64 3
		.amdhsa_dx10_clamp 1
		.amdhsa_ieee_mode 1
		.amdhsa_fp16_overflow 0
		.amdhsa_workgroup_processor_mode 1
		.amdhsa_memory_ordered 1
		.amdhsa_forward_progress 0
		.amdhsa_shared_vgpr_count 0
		.amdhsa_exception_fp_ieee_invalid_op 0
		.amdhsa_exception_fp_denorm_src 0
		.amdhsa_exception_fp_ieee_div_zero 0
		.amdhsa_exception_fp_ieee_overflow 0
		.amdhsa_exception_fp_ieee_underflow 0
		.amdhsa_exception_fp_ieee_inexact 0
		.amdhsa_exception_int_div_zero 0
	.end_amdhsa_kernel
	.section	.text._ZN9rocsparseL20bsrxmvn_17_32_kernelILj27E21rocsparse_complex_numIdEiidS2_S2_EEvT2_20rocsparse_direction_NS_24const_host_device_scalarIT0_EES3_PKS3_PKT1_SC_S9_PKT3_PKT4_S7_PT5_21rocsparse_index_base_b,"axG",@progbits,_ZN9rocsparseL20bsrxmvn_17_32_kernelILj27E21rocsparse_complex_numIdEiidS2_S2_EEvT2_20rocsparse_direction_NS_24const_host_device_scalarIT0_EES3_PKS3_PKT1_SC_S9_PKT3_PKT4_S7_PT5_21rocsparse_index_base_b,comdat
.Lfunc_end442:
	.size	_ZN9rocsparseL20bsrxmvn_17_32_kernelILj27E21rocsparse_complex_numIdEiidS2_S2_EEvT2_20rocsparse_direction_NS_24const_host_device_scalarIT0_EES3_PKS3_PKT1_SC_S9_PKT3_PKT4_S7_PT5_21rocsparse_index_base_b, .Lfunc_end442-_ZN9rocsparseL20bsrxmvn_17_32_kernelILj27E21rocsparse_complex_numIdEiidS2_S2_EEvT2_20rocsparse_direction_NS_24const_host_device_scalarIT0_EES3_PKS3_PKT1_SC_S9_PKT3_PKT4_S7_PT5_21rocsparse_index_base_b
                                        ; -- End function
	.section	.AMDGPU.csdata,"",@progbits
; Kernel info:
; codeLenInByte = 2000
; NumSgprs: 22
; NumVgprs: 26
; ScratchSize: 0
; MemoryBound: 0
; FloatMode: 240
; IeeeMode: 1
; LDSByteSize: 23328 bytes/workgroup (compile time only)
; SGPRBlocks: 2
; VGPRBlocks: 3
; NumSGPRsForWavesPerEU: 22
; NumVGPRsForWavesPerEU: 26
; Occupancy: 12
; WaveLimiterHint : 1
; COMPUTE_PGM_RSRC2:SCRATCH_EN: 0
; COMPUTE_PGM_RSRC2:USER_SGPR: 15
; COMPUTE_PGM_RSRC2:TRAP_HANDLER: 0
; COMPUTE_PGM_RSRC2:TGID_X_EN: 1
; COMPUTE_PGM_RSRC2:TGID_Y_EN: 0
; COMPUTE_PGM_RSRC2:TGID_Z_EN: 0
; COMPUTE_PGM_RSRC2:TIDIG_COMP_CNT: 2
	.section	.text._ZN9rocsparseL20bsrxmvn_17_32_kernelILj28E21rocsparse_complex_numIdEiidS2_S2_EEvT2_20rocsparse_direction_NS_24const_host_device_scalarIT0_EES3_PKS3_PKT1_SC_S9_PKT3_PKT4_S7_PT5_21rocsparse_index_base_b,"axG",@progbits,_ZN9rocsparseL20bsrxmvn_17_32_kernelILj28E21rocsparse_complex_numIdEiidS2_S2_EEvT2_20rocsparse_direction_NS_24const_host_device_scalarIT0_EES3_PKS3_PKT1_SC_S9_PKT3_PKT4_S7_PT5_21rocsparse_index_base_b,comdat
	.globl	_ZN9rocsparseL20bsrxmvn_17_32_kernelILj28E21rocsparse_complex_numIdEiidS2_S2_EEvT2_20rocsparse_direction_NS_24const_host_device_scalarIT0_EES3_PKS3_PKT1_SC_S9_PKT3_PKT4_S7_PT5_21rocsparse_index_base_b ; -- Begin function _ZN9rocsparseL20bsrxmvn_17_32_kernelILj28E21rocsparse_complex_numIdEiidS2_S2_EEvT2_20rocsparse_direction_NS_24const_host_device_scalarIT0_EES3_PKS3_PKT1_SC_S9_PKT3_PKT4_S7_PT5_21rocsparse_index_base_b
	.p2align	8
	.type	_ZN9rocsparseL20bsrxmvn_17_32_kernelILj28E21rocsparse_complex_numIdEiidS2_S2_EEvT2_20rocsparse_direction_NS_24const_host_device_scalarIT0_EES3_PKS3_PKT1_SC_S9_PKT3_PKT4_S7_PT5_21rocsparse_index_base_b,@function
_ZN9rocsparseL20bsrxmvn_17_32_kernelILj28E21rocsparse_complex_numIdEiidS2_S2_EEvT2_20rocsparse_direction_NS_24const_host_device_scalarIT0_EES3_PKS3_PKT1_SC_S9_PKT3_PKT4_S7_PT5_21rocsparse_index_base_b: ; @_ZN9rocsparseL20bsrxmvn_17_32_kernelILj28E21rocsparse_complex_numIdEiidS2_S2_EEvT2_20rocsparse_direction_NS_24const_host_device_scalarIT0_EES3_PKS3_PKT1_SC_S9_PKT3_PKT4_S7_PT5_21rocsparse_index_base_b
; %bb.0:
	s_mov_b32 s12, s15
	s_clause 0x1
	s_load_b64 s[14:15], s[2:3], 0x68
	s_load_b128 s[4:7], s[2:3], 0x8
	s_load_b64 s[16:17], s[0:1], 0x4
	s_mov_b64 s[0:1], src_shared_base
	v_and_b32_e32 v4, 0x3ff, v0
	s_load_b128 s[8:11], s[2:3], 0x50
	v_bfe_u32 v2, v0, 10, 10
	v_bfe_u32 v0, v0, 20, 10
	s_waitcnt lgkmcnt(0)
	s_bitcmp1_b32 s15, 0
	v_mov_b32_e32 v12, s7
	s_cselect_b32 s0, -1, 0
	v_mov_b32_e32 v11, s6
	s_and_b32 vcc_lo, s0, exec_lo
	s_cselect_b32 s13, s1, s5
	s_lshr_b32 s15, s16, 16
	v_mov_b32_e32 v6, s13
	s_mul_i32 s15, s15, s17
	s_xor_b32 s6, s0, -1
	v_mul_lo_u32 v1, s15, v4
	s_delay_alu instid0(VALU_DEP_1) | instskip(SKIP_1) | instid1(VALU_DEP_2)
	v_mad_u32_u24 v1, v2, s17, v1
	v_dual_mov_b32 v2, s8 :: v_dual_mov_b32 v3, s9
	v_add_lshl_u32 v7, v1, v0, 3
	v_dual_mov_b32 v0, s4 :: v_dual_mov_b32 v1, s5
	ds_store_b64 v7, v[0:1] offset:18816
	ds_store_b64 v7, v[2:3] offset:12544
	v_add_nc_u32_e32 v5, 0x4980, v7
	v_add_nc_u32_e32 v0, 0x3100, v7
	s_delay_alu instid0(VALU_DEP_2)
	v_cndmask_b32_e64 v5, s4, v5, s0
	flat_load_b64 v[9:10], v[5:6]
	s_cbranch_vccnz .LBB443_2
; %bb.1:
	v_dual_mov_b32 v1, s4 :: v_dual_mov_b32 v2, s5
	flat_load_b64 v[11:12], v[1:2] offset:8
.LBB443_2:
	s_and_b32 s4, s0, exec_lo
	s_cselect_b32 s1, s1, s9
	v_cndmask_b32_e64 v0, s8, v0, s0
	v_mov_b32_e32 v1, s1
	v_dual_mov_b32 v7, s10 :: v_dual_mov_b32 v8, s11
	s_and_not1_b32 vcc_lo, exec_lo, s6
	flat_load_b64 v[5:6], v[0:1]
	s_cbranch_vccnz .LBB443_4
; %bb.3:
	v_dual_mov_b32 v0, s8 :: v_dual_mov_b32 v1, s9
	flat_load_b64 v[7:8], v[0:1] offset:8
.LBB443_4:
	s_waitcnt vmcnt(1) lgkmcnt(1)
	v_cmp_eq_f64_e32 vcc_lo, 0, v[9:10]
	v_cmp_eq_f64_e64 s0, 0, v[11:12]
	s_delay_alu instid0(VALU_DEP_1)
	s_and_b32 s4, vcc_lo, s0
	s_mov_b32 s0, -1
	s_and_saveexec_b32 s1, s4
	s_cbranch_execz .LBB443_6
; %bb.5:
	s_waitcnt vmcnt(0) lgkmcnt(0)
	v_cmp_neq_f64_e32 vcc_lo, 1.0, v[5:6]
	v_cmp_neq_f64_e64 s0, 0, v[7:8]
	s_delay_alu instid0(VALU_DEP_1) | instskip(NEXT) | instid1(SALU_CYCLE_1)
	s_or_b32 s0, vcc_lo, s0
	s_or_not1_b32 s0, s0, exec_lo
.LBB443_6:
	s_or_b32 exec_lo, exec_lo, s1
	s_and_saveexec_b32 s1, s0
	s_cbranch_execz .LBB443_43
; %bb.7:
	s_clause 0x1
	s_load_b128 s[4:7], s[2:3], 0x20
	s_load_b64 s[0:1], s[2:3], 0x30
	s_waitcnt lgkmcnt(0)
	s_cmp_eq_u64 s[4:5], 0
	s_cbranch_scc1 .LBB443_9
; %bb.8:
	s_ashr_i32 s13, s12, 31
	s_delay_alu instid0(SALU_CYCLE_1) | instskip(NEXT) | instid1(SALU_CYCLE_1)
	s_lshl_b64 s[8:9], s[12:13], 2
	s_add_u32 s4, s4, s8
	s_addc_u32 s5, s5, s9
	s_load_b32 s4, s[4:5], 0x0
	s_waitcnt lgkmcnt(0)
	s_sub_i32 s12, s4, s14
.LBB443_9:
	s_load_b32 s4, s[2:3], 0x4
	v_mul_u32_u24_e32 v0, 0x925, v4
	v_mov_b32_e32 v2, 0
	v_mov_b32_e32 v3, 0
	s_delay_alu instid0(VALU_DEP_3) | instskip(NEXT) | instid1(VALU_DEP_1)
	v_lshrrev_b32_e32 v13, 16, v0
	v_mul_lo_u16 v0, v13, 28
	s_delay_alu instid0(VALU_DEP_1) | instskip(NEXT) | instid1(VALU_DEP_4)
	v_sub_nc_u16 v16, v4, v0
	v_dual_mov_b32 v0, v2 :: v_dual_mov_b32 v1, v3
	s_waitcnt lgkmcnt(0)
	s_cmp_eq_u32 s4, 1
	s_cselect_b32 vcc_lo, -1, 0
	s_cmp_lg_u32 s4, 1
	s_cselect_b32 s8, -1, 0
	s_ashr_i32 s13, s12, 31
	s_delay_alu instid0(SALU_CYCLE_1) | instskip(NEXT) | instid1(SALU_CYCLE_1)
	s_lshl_b64 s[4:5], s[12:13], 2
	s_add_u32 s6, s6, s4
	s_addc_u32 s7, s7, s5
	s_add_u32 s9, s6, 4
	s_addc_u32 s10, s7, 0
	;; [unrolled: 2-line block ×3, first 2 shown]
	s_cmp_eq_u64 s[0:1], 0
	s_cselect_b32 s1, s10, s5
	s_cselect_b32 s0, s9, s4
	s_load_b32 s6, s[6:7], 0x0
	s_load_b32 s7, s[0:1], 0x0
	s_load_b64 s[4:5], s[2:3], 0x60
	s_waitcnt lgkmcnt(0)
	s_cmp_ge_i32 s6, s7
	s_cbranch_scc1 .LBB443_14
; %bb.10:
	s_clause 0x1
	s_load_b128 s[16:19], s[2:3], 0x38
	s_load_b64 s[0:1], s[2:3], 0x48
	v_dual_mov_b32 v2, 0 :: v_dual_and_b32 v1, 0xffff, v13
	s_sub_i32 s2, s6, s14
	v_dual_mov_b32 v3, 0 :: v_dual_and_b32 v0, 0xffff, v16
	v_lshlrev_b32_e32 v14, 3, v4
	s_sub_i32 s9, s7, s14
	s_mul_i32 s7, s2, 0x1880
	s_delay_alu instid0(VALU_DEP_2)
	v_cndmask_b32_e32 v13, v0, v1, vcc_lo
	s_ashr_i32 s3, s2, 31
	s_mul_hi_i32 s6, s2, 0x1880
	v_dual_mov_b32 v0, v2 :: v_dual_mov_b32 v1, v3
	s_waitcnt lgkmcnt(0)
	s_add_u32 s10, s18, s7
	s_addc_u32 s11, s19, s6
	s_lshl_b64 s[6:7], s[2:3], 2
	v_add_co_u32 v14, s3, s10, v14
	s_delay_alu instid0(VALU_DEP_1)
	v_add_co_ci_u32_e64 v15, null, s11, 0, s3
	s_add_u32 s6, s16, s6
	s_addc_u32 s7, s17, s7
	s_set_inst_prefetch_distance 0x1
	s_branch .LBB443_12
	.p2align	6
.LBB443_11:                             ;   in Loop: Header=BB443_12 Depth=1
	s_add_i32 s2, s2, 1
	s_add_u32 s6, s6, 4
	s_addc_u32 s7, s7, 0
	s_cmp_lt_i32 s2, s9
	s_cbranch_scc0 .LBB443_14
.LBB443_12:                             ; =>This Inner Loop Header: Depth=1
	s_cmp_ge_i32 s2, s9
	s_cbranch_scc1 .LBB443_11
; %bb.13:                               ;   in Loop: Header=BB443_12 Depth=1
	s_load_b32 s3, s[6:7], 0x0
	s_waitcnt lgkmcnt(0)
	s_sub_i32 s3, s3, s14
	s_delay_alu instid0(SALU_CYCLE_1) | instskip(NEXT) | instid1(VALU_DEP_1)
	v_mad_u64_u32 v[17:18], null, s3, 28, v[13:14]
	v_ashrrev_i32_e32 v18, 31, v17
	s_delay_alu instid0(VALU_DEP_1) | instskip(NEXT) | instid1(VALU_DEP_1)
	v_lshlrev_b64 v[17:18], 4, v[17:18]
	v_add_co_u32 v17, vcc_lo, s0, v17
	s_delay_alu instid0(VALU_DEP_2)
	v_add_co_ci_u32_e32 v18, vcc_lo, s1, v18, vcc_lo
	global_load_b64 v[21:22], v[14:15], off
	global_load_b128 v[17:20], v[17:18], off
	v_add_co_u32 v14, vcc_lo, 0x1880, v14
	v_add_co_ci_u32_e32 v15, vcc_lo, 0, v15, vcc_lo
	s_waitcnt vmcnt(0)
	v_fma_f64 v[0:1], v[21:22], v[17:18], v[0:1]
	v_fma_f64 v[2:3], v[17:18], 0, v[2:3]
	s_delay_alu instid0(VALU_DEP_2) | instskip(NEXT) | instid1(VALU_DEP_2)
	v_fma_f64 v[0:1], 0x80000000, v[19:20], v[0:1]
	v_fma_f64 v[2:3], v[21:22], v[19:20], v[2:3]
	s_branch .LBB443_11
.LBB443_14:
	s_set_inst_prefetch_distance 0x2
	v_lshlrev_b32_e32 v17, 4, v4
	s_and_b32 vcc_lo, exec_lo, s8
	ds_store_b128 v17, v[0:3]
	s_waitcnt vmcnt(0) lgkmcnt(0)
	s_barrier
	buffer_gl0_inv
	s_cbranch_vccz .LBB443_26
; %bb.15:
	s_mov_b32 s0, exec_lo
	v_cmpx_gt_u16_e32 12, v16
	s_cbranch_execz .LBB443_17
; %bb.16:
	ds_load_b128 v[18:21], v17 offset:256
	ds_load_b128 v[22:25], v17
	s_waitcnt lgkmcnt(0)
	v_add_f64 v[18:19], v[18:19], v[22:23]
	v_add_f64 v[20:21], v[20:21], v[24:25]
	ds_store_b128 v17, v[18:21]
.LBB443_17:
	s_or_b32 exec_lo, exec_lo, s0
	s_delay_alu instid0(SALU_CYCLE_1)
	s_mov_b32 s0, exec_lo
	s_waitcnt lgkmcnt(0)
	s_barrier
	buffer_gl0_inv
	v_cmpx_gt_u16_e32 8, v16
	s_cbranch_execz .LBB443_19
; %bb.18:
	ds_load_b128 v[18:21], v17 offset:128
	ds_load_b128 v[22:25], v17
	s_waitcnt lgkmcnt(0)
	v_add_f64 v[18:19], v[18:19], v[22:23]
	v_add_f64 v[20:21], v[20:21], v[24:25]
	ds_store_b128 v17, v[18:21]
.LBB443_19:
	s_or_b32 exec_lo, exec_lo, s0
	s_delay_alu instid0(SALU_CYCLE_1)
	s_mov_b32 s0, exec_lo
	s_waitcnt lgkmcnt(0)
	s_barrier
	buffer_gl0_inv
	;; [unrolled: 16-line block ×3, first 2 shown]
	v_cmpx_gt_u16_e32 2, v16
	s_cbranch_execz .LBB443_23
; %bb.22:
	ds_load_b128 v[13:16], v17
	ds_load_b128 v[18:21], v17 offset:32
	s_waitcnt lgkmcnt(0)
	v_add_f64 v[13:14], v[18:19], v[13:14]
	v_add_f64 v[15:16], v[20:21], v[15:16]
	ds_store_b128 v17, v[13:16]
.LBB443_23:
	s_or_b32 exec_lo, exec_lo, s0
	v_dual_mov_b32 v16, v3 :: v_dual_mov_b32 v15, v2
	v_dual_mov_b32 v14, v1 :: v_dual_mov_b32 v13, v0
	s_mov_b32 s0, exec_lo
	s_waitcnt lgkmcnt(0)
	s_barrier
	buffer_gl0_inv
	v_cmpx_gt_u32_e32 28, v4
	s_cbranch_execz .LBB443_25
; %bb.24:
	v_mul_u32_u24_e32 v13, 28, v4
	s_delay_alu instid0(VALU_DEP_1)
	v_lshlrev_b32_e32 v18, 4, v13
	ds_load_b128 v[13:16], v18
	ds_load_b128 v[18:21], v18 offset:16
	s_waitcnt lgkmcnt(0)
	v_add_f64 v[13:14], v[18:19], v[13:14]
	v_add_f64 v[15:16], v[20:21], v[15:16]
.LBB443_25:
	s_or_b32 exec_lo, exec_lo, s0
	s_branch .LBB443_38
.LBB443_26:
                                        ; implicit-def: $vgpr15_vgpr16
                                        ; implicit-def: $vgpr13_vgpr14
	s_cbranch_execz .LBB443_38
; %bb.27:
	s_mov_b32 s0, exec_lo
	v_cmpx_gt_u32_e32 0x150, v4
	s_cbranch_execz .LBB443_29
; %bb.28:
	ds_load_b128 v[13:16], v17 offset:7168
	ds_load_b128 v[18:21], v17
	s_waitcnt lgkmcnt(0)
	v_add_f64 v[13:14], v[13:14], v[18:19]
	v_add_f64 v[15:16], v[15:16], v[20:21]
	ds_store_b128 v17, v[13:16]
.LBB443_29:
	s_or_b32 exec_lo, exec_lo, s0
	s_delay_alu instid0(SALU_CYCLE_1)
	s_mov_b32 s0, exec_lo
	s_waitcnt lgkmcnt(0)
	s_barrier
	buffer_gl0_inv
	v_cmpx_gt_u32_e32 0xe0, v4
	s_cbranch_execz .LBB443_31
; %bb.30:
	ds_load_b128 v[13:16], v17 offset:3584
	ds_load_b128 v[18:21], v17
	s_waitcnt lgkmcnt(0)
	v_add_f64 v[13:14], v[13:14], v[18:19]
	v_add_f64 v[15:16], v[15:16], v[20:21]
	ds_store_b128 v17, v[13:16]
.LBB443_31:
	s_or_b32 exec_lo, exec_lo, s0
	s_delay_alu instid0(SALU_CYCLE_1)
	s_mov_b32 s0, exec_lo
	s_waitcnt lgkmcnt(0)
	s_barrier
	buffer_gl0_inv
	;; [unrolled: 16-line block ×3, first 2 shown]
	v_cmpx_gt_u32_e32 56, v4
	s_cbranch_execz .LBB443_35
; %bb.34:
	ds_load_b128 v[13:16], v17 offset:896
	ds_load_b128 v[18:21], v17
	s_waitcnt lgkmcnt(0)
	v_add_f64 v[13:14], v[13:14], v[18:19]
	v_add_f64 v[15:16], v[15:16], v[20:21]
	ds_store_b128 v17, v[13:16]
.LBB443_35:
	s_or_b32 exec_lo, exec_lo, s0
	s_delay_alu instid0(SALU_CYCLE_1)
	s_mov_b32 s0, exec_lo
	s_waitcnt lgkmcnt(0)
	buffer_gl0_inv
	v_cmpx_gt_u32_e32 28, v4
	s_cbranch_execz .LBB443_37
; %bb.36:
	ds_load_b128 v[0:3], v17 offset:448
	ds_load_b128 v[13:16], v17
	s_waitcnt lgkmcnt(0)
	v_add_f64 v[0:1], v[0:1], v[13:14]
	v_add_f64 v[2:3], v[2:3], v[15:16]
.LBB443_37:
	s_or_b32 exec_lo, exec_lo, s0
	s_delay_alu instid0(VALU_DEP_1) | instskip(NEXT) | instid1(VALU_DEP_3)
	v_dual_mov_b32 v16, v3 :: v_dual_mov_b32 v15, v2
	v_dual_mov_b32 v14, v1 :: v_dual_mov_b32 v13, v0
.LBB443_38:
	v_cmp_gt_u32_e32 vcc_lo, 28, v4
	s_and_b32 exec_lo, exec_lo, vcc_lo
	s_cbranch_execz .LBB443_43
; %bb.39:
	s_delay_alu instid0(VALU_DEP_2) | instskip(SKIP_3) | instid1(VALU_DEP_4)
	v_mul_f64 v[0:1], v[15:16], -v[11:12]
	v_mul_f64 v[2:3], v[9:10], v[15:16]
	v_cmp_eq_f64_e32 vcc_lo, 0, v[5:6]
	v_cmp_eq_f64_e64 s0, 0, v[7:8]
	v_fma_f64 v[0:1], v[9:10], v[13:14], v[0:1]
	s_delay_alu instid0(VALU_DEP_4) | instskip(NEXT) | instid1(VALU_DEP_3)
	v_fma_f64 v[2:3], v[11:12], v[13:14], v[2:3]
	s_and_b32 s0, vcc_lo, s0
	s_delay_alu instid0(SALU_CYCLE_1) | instskip(NEXT) | instid1(SALU_CYCLE_1)
	s_and_saveexec_b32 s1, s0
	s_xor_b32 s0, exec_lo, s1
	s_cbranch_execz .LBB443_41
; %bb.40:
	v_mad_u64_u32 v[5:6], null, s12, 28, v[4:5]
	v_mov_b32_e32 v6, 0
                                        ; implicit-def: $vgpr7_vgpr8
	s_delay_alu instid0(VALU_DEP_1) | instskip(NEXT) | instid1(VALU_DEP_1)
	v_lshlrev_b64 v[4:5], 4, v[5:6]
	v_add_co_u32 v4, vcc_lo, s4, v4
	s_delay_alu instid0(VALU_DEP_2)
	v_add_co_ci_u32_e32 v5, vcc_lo, s5, v5, vcc_lo
	global_store_b128 v[4:5], v[0:3], off
                                        ; implicit-def: $vgpr4
                                        ; implicit-def: $vgpr5_vgpr6
                                        ; implicit-def: $vgpr0_vgpr1
.LBB443_41:
	s_and_not1_saveexec_b32 s0, s0
	s_cbranch_execz .LBB443_43
; %bb.42:
	v_mad_u64_u32 v[9:10], null, s12, 28, v[4:5]
	v_mov_b32_e32 v10, 0
	s_delay_alu instid0(VALU_DEP_1) | instskip(NEXT) | instid1(VALU_DEP_1)
	v_lshlrev_b64 v[9:10], 4, v[9:10]
	v_add_co_u32 v13, vcc_lo, s4, v9
	s_delay_alu instid0(VALU_DEP_2) | instskip(SKIP_4) | instid1(VALU_DEP_2)
	v_add_co_ci_u32_e32 v14, vcc_lo, s5, v10, vcc_lo
	global_load_b128 v[9:12], v[13:14], off
	s_waitcnt vmcnt(0)
	v_fma_f64 v[0:1], v[5:6], v[9:10], v[0:1]
	v_fma_f64 v[2:3], v[7:8], v[9:10], v[2:3]
	v_fma_f64 v[0:1], -v[7:8], v[11:12], v[0:1]
	s_delay_alu instid0(VALU_DEP_2)
	v_fma_f64 v[2:3], v[5:6], v[11:12], v[2:3]
	global_store_b128 v[13:14], v[0:3], off
.LBB443_43:
	s_nop 0
	s_sendmsg sendmsg(MSG_DEALLOC_VGPRS)
	s_endpgm
	.section	.rodata,"a",@progbits
	.p2align	6, 0x0
	.amdhsa_kernel _ZN9rocsparseL20bsrxmvn_17_32_kernelILj28E21rocsparse_complex_numIdEiidS2_S2_EEvT2_20rocsparse_direction_NS_24const_host_device_scalarIT0_EES3_PKS3_PKT1_SC_S9_PKT3_PKT4_S7_PT5_21rocsparse_index_base_b
		.amdhsa_group_segment_fixed_size 25088
		.amdhsa_private_segment_fixed_size 0
		.amdhsa_kernarg_size 112
		.amdhsa_user_sgpr_count 15
		.amdhsa_user_sgpr_dispatch_ptr 1
		.amdhsa_user_sgpr_queue_ptr 0
		.amdhsa_user_sgpr_kernarg_segment_ptr 1
		.amdhsa_user_sgpr_dispatch_id 0
		.amdhsa_user_sgpr_private_segment_size 0
		.amdhsa_wavefront_size32 1
		.amdhsa_uses_dynamic_stack 0
		.amdhsa_enable_private_segment 0
		.amdhsa_system_sgpr_workgroup_id_x 1
		.amdhsa_system_sgpr_workgroup_id_y 0
		.amdhsa_system_sgpr_workgroup_id_z 0
		.amdhsa_system_sgpr_workgroup_info 0
		.amdhsa_system_vgpr_workitem_id 2
		.amdhsa_next_free_vgpr 26
		.amdhsa_next_free_sgpr 20
		.amdhsa_reserve_vcc 1
		.amdhsa_float_round_mode_32 0
		.amdhsa_float_round_mode_16_64 0
		.amdhsa_float_denorm_mode_32 3
		.amdhsa_float_denorm_mode_16_64 3
		.amdhsa_dx10_clamp 1
		.amdhsa_ieee_mode 1
		.amdhsa_fp16_overflow 0
		.amdhsa_workgroup_processor_mode 1
		.amdhsa_memory_ordered 1
		.amdhsa_forward_progress 0
		.amdhsa_shared_vgpr_count 0
		.amdhsa_exception_fp_ieee_invalid_op 0
		.amdhsa_exception_fp_denorm_src 0
		.amdhsa_exception_fp_ieee_div_zero 0
		.amdhsa_exception_fp_ieee_overflow 0
		.amdhsa_exception_fp_ieee_underflow 0
		.amdhsa_exception_fp_ieee_inexact 0
		.amdhsa_exception_int_div_zero 0
	.end_amdhsa_kernel
	.section	.text._ZN9rocsparseL20bsrxmvn_17_32_kernelILj28E21rocsparse_complex_numIdEiidS2_S2_EEvT2_20rocsparse_direction_NS_24const_host_device_scalarIT0_EES3_PKS3_PKT1_SC_S9_PKT3_PKT4_S7_PT5_21rocsparse_index_base_b,"axG",@progbits,_ZN9rocsparseL20bsrxmvn_17_32_kernelILj28E21rocsparse_complex_numIdEiidS2_S2_EEvT2_20rocsparse_direction_NS_24const_host_device_scalarIT0_EES3_PKS3_PKT1_SC_S9_PKT3_PKT4_S7_PT5_21rocsparse_index_base_b,comdat
.Lfunc_end443:
	.size	_ZN9rocsparseL20bsrxmvn_17_32_kernelILj28E21rocsparse_complex_numIdEiidS2_S2_EEvT2_20rocsparse_direction_NS_24const_host_device_scalarIT0_EES3_PKS3_PKT1_SC_S9_PKT3_PKT4_S7_PT5_21rocsparse_index_base_b, .Lfunc_end443-_ZN9rocsparseL20bsrxmvn_17_32_kernelILj28E21rocsparse_complex_numIdEiidS2_S2_EEvT2_20rocsparse_direction_NS_24const_host_device_scalarIT0_EES3_PKS3_PKT1_SC_S9_PKT3_PKT4_S7_PT5_21rocsparse_index_base_b
                                        ; -- End function
	.section	.AMDGPU.csdata,"",@progbits
; Kernel info:
; codeLenInByte = 2000
; NumSgprs: 22
; NumVgprs: 26
; ScratchSize: 0
; MemoryBound: 0
; FloatMode: 240
; IeeeMode: 1
; LDSByteSize: 25088 bytes/workgroup (compile time only)
; SGPRBlocks: 2
; VGPRBlocks: 3
; NumSGPRsForWavesPerEU: 22
; NumVGPRsForWavesPerEU: 26
; Occupancy: 13
; WaveLimiterHint : 1
; COMPUTE_PGM_RSRC2:SCRATCH_EN: 0
; COMPUTE_PGM_RSRC2:USER_SGPR: 15
; COMPUTE_PGM_RSRC2:TRAP_HANDLER: 0
; COMPUTE_PGM_RSRC2:TGID_X_EN: 1
; COMPUTE_PGM_RSRC2:TGID_Y_EN: 0
; COMPUTE_PGM_RSRC2:TGID_Z_EN: 0
; COMPUTE_PGM_RSRC2:TIDIG_COMP_CNT: 2
	.section	.text._ZN9rocsparseL20bsrxmvn_17_32_kernelILj29E21rocsparse_complex_numIdEiidS2_S2_EEvT2_20rocsparse_direction_NS_24const_host_device_scalarIT0_EES3_PKS3_PKT1_SC_S9_PKT3_PKT4_S7_PT5_21rocsparse_index_base_b,"axG",@progbits,_ZN9rocsparseL20bsrxmvn_17_32_kernelILj29E21rocsparse_complex_numIdEiidS2_S2_EEvT2_20rocsparse_direction_NS_24const_host_device_scalarIT0_EES3_PKS3_PKT1_SC_S9_PKT3_PKT4_S7_PT5_21rocsparse_index_base_b,comdat
	.globl	_ZN9rocsparseL20bsrxmvn_17_32_kernelILj29E21rocsparse_complex_numIdEiidS2_S2_EEvT2_20rocsparse_direction_NS_24const_host_device_scalarIT0_EES3_PKS3_PKT1_SC_S9_PKT3_PKT4_S7_PT5_21rocsparse_index_base_b ; -- Begin function _ZN9rocsparseL20bsrxmvn_17_32_kernelILj29E21rocsparse_complex_numIdEiidS2_S2_EEvT2_20rocsparse_direction_NS_24const_host_device_scalarIT0_EES3_PKS3_PKT1_SC_S9_PKT3_PKT4_S7_PT5_21rocsparse_index_base_b
	.p2align	8
	.type	_ZN9rocsparseL20bsrxmvn_17_32_kernelILj29E21rocsparse_complex_numIdEiidS2_S2_EEvT2_20rocsparse_direction_NS_24const_host_device_scalarIT0_EES3_PKS3_PKT1_SC_S9_PKT3_PKT4_S7_PT5_21rocsparse_index_base_b,@function
_ZN9rocsparseL20bsrxmvn_17_32_kernelILj29E21rocsparse_complex_numIdEiidS2_S2_EEvT2_20rocsparse_direction_NS_24const_host_device_scalarIT0_EES3_PKS3_PKT1_SC_S9_PKT3_PKT4_S7_PT5_21rocsparse_index_base_b: ; @_ZN9rocsparseL20bsrxmvn_17_32_kernelILj29E21rocsparse_complex_numIdEiidS2_S2_EEvT2_20rocsparse_direction_NS_24const_host_device_scalarIT0_EES3_PKS3_PKT1_SC_S9_PKT3_PKT4_S7_PT5_21rocsparse_index_base_b
; %bb.0:
	s_mov_b32 s12, s15
	s_clause 0x1
	s_load_b64 s[14:15], s[2:3], 0x68
	s_load_b128 s[4:7], s[2:3], 0x8
	s_load_b64 s[16:17], s[0:1], 0x4
	s_mov_b64 s[0:1], src_shared_base
	v_and_b32_e32 v4, 0x3ff, v0
	s_load_b128 s[8:11], s[2:3], 0x50
	v_bfe_u32 v2, v0, 10, 10
	v_bfe_u32 v0, v0, 20, 10
	s_waitcnt lgkmcnt(0)
	s_bitcmp1_b32 s15, 0
	v_mov_b32_e32 v12, s7
	s_cselect_b32 s0, -1, 0
	v_mov_b32_e32 v11, s6
	s_and_b32 vcc_lo, s0, exec_lo
	s_cselect_b32 s13, s1, s5
	s_lshr_b32 s15, s16, 16
	v_mov_b32_e32 v6, s13
	s_mul_i32 s15, s15, s17
	s_xor_b32 s6, s0, -1
	v_mul_lo_u32 v1, s15, v4
	s_delay_alu instid0(VALU_DEP_1) | instskip(SKIP_1) | instid1(VALU_DEP_2)
	v_mad_u32_u24 v1, v2, s17, v1
	v_dual_mov_b32 v2, s8 :: v_dual_mov_b32 v3, s9
	v_add_lshl_u32 v7, v1, v0, 3
	v_dual_mov_b32 v0, s4 :: v_dual_mov_b32 v1, s5
	ds_store_b64 v7, v[0:1] offset:20184
	ds_store_b64 v7, v[2:3] offset:13456
	v_add_nc_u32_e32 v5, 0x4ed8, v7
	v_add_nc_u32_e32 v0, 0x3490, v7
	s_delay_alu instid0(VALU_DEP_2)
	v_cndmask_b32_e64 v5, s4, v5, s0
	flat_load_b64 v[9:10], v[5:6]
	s_cbranch_vccnz .LBB444_2
; %bb.1:
	v_dual_mov_b32 v1, s4 :: v_dual_mov_b32 v2, s5
	flat_load_b64 v[11:12], v[1:2] offset:8
.LBB444_2:
	s_and_b32 s4, s0, exec_lo
	s_cselect_b32 s1, s1, s9
	v_cndmask_b32_e64 v0, s8, v0, s0
	v_mov_b32_e32 v1, s1
	v_dual_mov_b32 v7, s10 :: v_dual_mov_b32 v8, s11
	s_and_not1_b32 vcc_lo, exec_lo, s6
	flat_load_b64 v[5:6], v[0:1]
	s_cbranch_vccnz .LBB444_4
; %bb.3:
	v_dual_mov_b32 v0, s8 :: v_dual_mov_b32 v1, s9
	flat_load_b64 v[7:8], v[0:1] offset:8
.LBB444_4:
	s_waitcnt vmcnt(1) lgkmcnt(1)
	v_cmp_eq_f64_e32 vcc_lo, 0, v[9:10]
	v_cmp_eq_f64_e64 s0, 0, v[11:12]
	s_delay_alu instid0(VALU_DEP_1)
	s_and_b32 s4, vcc_lo, s0
	s_mov_b32 s0, -1
	s_and_saveexec_b32 s1, s4
	s_cbranch_execz .LBB444_6
; %bb.5:
	s_waitcnt vmcnt(0) lgkmcnt(0)
	v_cmp_neq_f64_e32 vcc_lo, 1.0, v[5:6]
	v_cmp_neq_f64_e64 s0, 0, v[7:8]
	s_delay_alu instid0(VALU_DEP_1) | instskip(NEXT) | instid1(SALU_CYCLE_1)
	s_or_b32 s0, vcc_lo, s0
	s_or_not1_b32 s0, s0, exec_lo
.LBB444_6:
	s_or_b32 exec_lo, exec_lo, s1
	s_and_saveexec_b32 s1, s0
	s_cbranch_execz .LBB444_43
; %bb.7:
	s_clause 0x1
	s_load_b128 s[4:7], s[2:3], 0x20
	s_load_b64 s[0:1], s[2:3], 0x30
	s_waitcnt lgkmcnt(0)
	s_cmp_eq_u64 s[4:5], 0
	s_cbranch_scc1 .LBB444_9
; %bb.8:
	s_ashr_i32 s13, s12, 31
	s_delay_alu instid0(SALU_CYCLE_1) | instskip(NEXT) | instid1(SALU_CYCLE_1)
	s_lshl_b64 s[8:9], s[12:13], 2
	s_add_u32 s4, s4, s8
	s_addc_u32 s5, s5, s9
	s_load_b32 s4, s[4:5], 0x0
	s_waitcnt lgkmcnt(0)
	s_sub_i32 s12, s4, s14
.LBB444_9:
	s_load_b32 s4, s[2:3], 0x4
	v_mul_u32_u24_e32 v0, 0x8d4, v4
	v_mov_b32_e32 v2, 0
	v_mov_b32_e32 v3, 0
	s_delay_alu instid0(VALU_DEP_3) | instskip(NEXT) | instid1(VALU_DEP_1)
	v_lshrrev_b32_e32 v13, 16, v0
	v_mul_lo_u16 v0, v13, 29
	s_delay_alu instid0(VALU_DEP_1) | instskip(NEXT) | instid1(VALU_DEP_4)
	v_sub_nc_u16 v16, v4, v0
	v_dual_mov_b32 v0, v2 :: v_dual_mov_b32 v1, v3
	s_waitcnt lgkmcnt(0)
	s_cmp_eq_u32 s4, 1
	s_cselect_b32 vcc_lo, -1, 0
	s_cmp_lg_u32 s4, 1
	s_cselect_b32 s8, -1, 0
	s_ashr_i32 s13, s12, 31
	s_delay_alu instid0(SALU_CYCLE_1) | instskip(NEXT) | instid1(SALU_CYCLE_1)
	s_lshl_b64 s[4:5], s[12:13], 2
	s_add_u32 s6, s6, s4
	s_addc_u32 s7, s7, s5
	s_add_u32 s9, s6, 4
	s_addc_u32 s10, s7, 0
	;; [unrolled: 2-line block ×3, first 2 shown]
	s_cmp_eq_u64 s[0:1], 0
	s_cselect_b32 s1, s10, s5
	s_cselect_b32 s0, s9, s4
	s_load_b32 s6, s[6:7], 0x0
	s_load_b32 s7, s[0:1], 0x0
	s_load_b64 s[4:5], s[2:3], 0x60
	s_waitcnt lgkmcnt(0)
	s_cmp_ge_i32 s6, s7
	s_cbranch_scc1 .LBB444_14
; %bb.10:
	s_clause 0x1
	s_load_b128 s[16:19], s[2:3], 0x38
	s_load_b64 s[0:1], s[2:3], 0x48
	v_dual_mov_b32 v2, 0 :: v_dual_and_b32 v1, 0xffff, v13
	s_sub_i32 s2, s6, s14
	v_dual_mov_b32 v3, 0 :: v_dual_and_b32 v0, 0xffff, v16
	v_lshlrev_b32_e32 v14, 3, v4
	s_sub_i32 s9, s7, s14
	s_mul_i32 s7, s2, 0x1a48
	s_delay_alu instid0(VALU_DEP_2)
	v_cndmask_b32_e32 v13, v0, v1, vcc_lo
	s_ashr_i32 s3, s2, 31
	s_mul_hi_i32 s6, s2, 0x1a48
	v_dual_mov_b32 v0, v2 :: v_dual_mov_b32 v1, v3
	s_waitcnt lgkmcnt(0)
	s_add_u32 s10, s18, s7
	s_addc_u32 s11, s19, s6
	s_lshl_b64 s[6:7], s[2:3], 2
	v_add_co_u32 v14, s3, s10, v14
	s_delay_alu instid0(VALU_DEP_1)
	v_add_co_ci_u32_e64 v15, null, s11, 0, s3
	s_add_u32 s6, s16, s6
	s_addc_u32 s7, s17, s7
	s_set_inst_prefetch_distance 0x1
	s_branch .LBB444_12
	.p2align	6
.LBB444_11:                             ;   in Loop: Header=BB444_12 Depth=1
	s_add_i32 s2, s2, 1
	s_add_u32 s6, s6, 4
	s_addc_u32 s7, s7, 0
	s_cmp_lt_i32 s2, s9
	s_cbranch_scc0 .LBB444_14
.LBB444_12:                             ; =>This Inner Loop Header: Depth=1
	s_cmp_ge_i32 s2, s9
	s_cbranch_scc1 .LBB444_11
; %bb.13:                               ;   in Loop: Header=BB444_12 Depth=1
	s_load_b32 s3, s[6:7], 0x0
	s_waitcnt lgkmcnt(0)
	s_sub_i32 s3, s3, s14
	s_delay_alu instid0(SALU_CYCLE_1) | instskip(NEXT) | instid1(VALU_DEP_1)
	v_mad_u64_u32 v[17:18], null, s3, 29, v[13:14]
	v_ashrrev_i32_e32 v18, 31, v17
	s_delay_alu instid0(VALU_DEP_1) | instskip(NEXT) | instid1(VALU_DEP_1)
	v_lshlrev_b64 v[17:18], 4, v[17:18]
	v_add_co_u32 v17, vcc_lo, s0, v17
	s_delay_alu instid0(VALU_DEP_2)
	v_add_co_ci_u32_e32 v18, vcc_lo, s1, v18, vcc_lo
	global_load_b64 v[21:22], v[14:15], off
	global_load_b128 v[17:20], v[17:18], off
	v_add_co_u32 v14, vcc_lo, 0x1a48, v14
	v_add_co_ci_u32_e32 v15, vcc_lo, 0, v15, vcc_lo
	s_waitcnt vmcnt(0)
	v_fma_f64 v[0:1], v[21:22], v[17:18], v[0:1]
	v_fma_f64 v[2:3], v[17:18], 0, v[2:3]
	s_delay_alu instid0(VALU_DEP_2) | instskip(NEXT) | instid1(VALU_DEP_2)
	v_fma_f64 v[0:1], 0x80000000, v[19:20], v[0:1]
	v_fma_f64 v[2:3], v[21:22], v[19:20], v[2:3]
	s_branch .LBB444_11
.LBB444_14:
	s_set_inst_prefetch_distance 0x2
	v_lshlrev_b32_e32 v17, 4, v4
	s_and_b32 vcc_lo, exec_lo, s8
	ds_store_b128 v17, v[0:3]
	s_waitcnt vmcnt(0) lgkmcnt(0)
	s_barrier
	buffer_gl0_inv
	s_cbranch_vccz .LBB444_26
; %bb.15:
	s_mov_b32 s0, exec_lo
	v_cmpx_gt_u16_e32 13, v16
	s_cbranch_execz .LBB444_17
; %bb.16:
	ds_load_b128 v[18:21], v17 offset:256
	ds_load_b128 v[22:25], v17
	s_waitcnt lgkmcnt(0)
	v_add_f64 v[18:19], v[18:19], v[22:23]
	v_add_f64 v[20:21], v[20:21], v[24:25]
	ds_store_b128 v17, v[18:21]
.LBB444_17:
	s_or_b32 exec_lo, exec_lo, s0
	s_delay_alu instid0(SALU_CYCLE_1)
	s_mov_b32 s0, exec_lo
	s_waitcnt lgkmcnt(0)
	s_barrier
	buffer_gl0_inv
	v_cmpx_gt_u16_e32 8, v16
	s_cbranch_execz .LBB444_19
; %bb.18:
	ds_load_b128 v[18:21], v17 offset:128
	ds_load_b128 v[22:25], v17
	s_waitcnt lgkmcnt(0)
	v_add_f64 v[18:19], v[18:19], v[22:23]
	v_add_f64 v[20:21], v[20:21], v[24:25]
	ds_store_b128 v17, v[18:21]
.LBB444_19:
	s_or_b32 exec_lo, exec_lo, s0
	s_delay_alu instid0(SALU_CYCLE_1)
	s_mov_b32 s0, exec_lo
	s_waitcnt lgkmcnt(0)
	s_barrier
	buffer_gl0_inv
	;; [unrolled: 16-line block ×3, first 2 shown]
	v_cmpx_gt_u16_e32 2, v16
	s_cbranch_execz .LBB444_23
; %bb.22:
	ds_load_b128 v[13:16], v17
	ds_load_b128 v[18:21], v17 offset:32
	s_waitcnt lgkmcnt(0)
	v_add_f64 v[13:14], v[18:19], v[13:14]
	v_add_f64 v[15:16], v[20:21], v[15:16]
	ds_store_b128 v17, v[13:16]
.LBB444_23:
	s_or_b32 exec_lo, exec_lo, s0
	v_dual_mov_b32 v16, v3 :: v_dual_mov_b32 v15, v2
	v_dual_mov_b32 v14, v1 :: v_dual_mov_b32 v13, v0
	s_mov_b32 s0, exec_lo
	s_waitcnt lgkmcnt(0)
	s_barrier
	buffer_gl0_inv
	v_cmpx_gt_u32_e32 29, v4
	s_cbranch_execz .LBB444_25
; %bb.24:
	v_mul_u32_u24_e32 v13, 29, v4
	s_delay_alu instid0(VALU_DEP_1)
	v_lshlrev_b32_e32 v18, 4, v13
	ds_load_b128 v[13:16], v18
	ds_load_b128 v[18:21], v18 offset:16
	s_waitcnt lgkmcnt(0)
	v_add_f64 v[13:14], v[18:19], v[13:14]
	v_add_f64 v[15:16], v[20:21], v[15:16]
.LBB444_25:
	s_or_b32 exec_lo, exec_lo, s0
	s_branch .LBB444_38
.LBB444_26:
                                        ; implicit-def: $vgpr15_vgpr16
                                        ; implicit-def: $vgpr13_vgpr14
	s_cbranch_execz .LBB444_38
; %bb.27:
	s_mov_b32 s0, exec_lo
	v_cmpx_gt_u32_e32 0x179, v4
	s_cbranch_execz .LBB444_29
; %bb.28:
	ds_load_b128 v[13:16], v17 offset:7424
	ds_load_b128 v[18:21], v17
	s_waitcnt lgkmcnt(0)
	v_add_f64 v[13:14], v[13:14], v[18:19]
	v_add_f64 v[15:16], v[15:16], v[20:21]
	ds_store_b128 v17, v[13:16]
.LBB444_29:
	s_or_b32 exec_lo, exec_lo, s0
	s_delay_alu instid0(SALU_CYCLE_1)
	s_mov_b32 s0, exec_lo
	s_waitcnt lgkmcnt(0)
	s_barrier
	buffer_gl0_inv
	v_cmpx_gt_u32_e32 0xe8, v4
	s_cbranch_execz .LBB444_31
; %bb.30:
	ds_load_b128 v[13:16], v17 offset:3712
	ds_load_b128 v[18:21], v17
	s_waitcnt lgkmcnt(0)
	v_add_f64 v[13:14], v[13:14], v[18:19]
	v_add_f64 v[15:16], v[15:16], v[20:21]
	ds_store_b128 v17, v[13:16]
.LBB444_31:
	s_or_b32 exec_lo, exec_lo, s0
	s_delay_alu instid0(SALU_CYCLE_1)
	s_mov_b32 s0, exec_lo
	s_waitcnt lgkmcnt(0)
	s_barrier
	buffer_gl0_inv
	;; [unrolled: 16-line block ×3, first 2 shown]
	v_cmpx_gt_u32_e32 58, v4
	s_cbranch_execz .LBB444_35
; %bb.34:
	ds_load_b128 v[13:16], v17 offset:928
	ds_load_b128 v[18:21], v17
	s_waitcnt lgkmcnt(0)
	v_add_f64 v[13:14], v[13:14], v[18:19]
	v_add_f64 v[15:16], v[15:16], v[20:21]
	ds_store_b128 v17, v[13:16]
.LBB444_35:
	s_or_b32 exec_lo, exec_lo, s0
	s_delay_alu instid0(SALU_CYCLE_1)
	s_mov_b32 s0, exec_lo
	s_waitcnt lgkmcnt(0)
	buffer_gl0_inv
	v_cmpx_gt_u32_e32 29, v4
	s_cbranch_execz .LBB444_37
; %bb.36:
	ds_load_b128 v[0:3], v17 offset:464
	ds_load_b128 v[13:16], v17
	s_waitcnt lgkmcnt(0)
	v_add_f64 v[0:1], v[0:1], v[13:14]
	v_add_f64 v[2:3], v[2:3], v[15:16]
.LBB444_37:
	s_or_b32 exec_lo, exec_lo, s0
	s_delay_alu instid0(VALU_DEP_1) | instskip(NEXT) | instid1(VALU_DEP_3)
	v_dual_mov_b32 v16, v3 :: v_dual_mov_b32 v15, v2
	v_dual_mov_b32 v14, v1 :: v_dual_mov_b32 v13, v0
.LBB444_38:
	v_cmp_gt_u32_e32 vcc_lo, 29, v4
	s_and_b32 exec_lo, exec_lo, vcc_lo
	s_cbranch_execz .LBB444_43
; %bb.39:
	s_delay_alu instid0(VALU_DEP_2) | instskip(SKIP_3) | instid1(VALU_DEP_4)
	v_mul_f64 v[0:1], v[15:16], -v[11:12]
	v_mul_f64 v[2:3], v[9:10], v[15:16]
	v_cmp_eq_f64_e32 vcc_lo, 0, v[5:6]
	v_cmp_eq_f64_e64 s0, 0, v[7:8]
	v_fma_f64 v[0:1], v[9:10], v[13:14], v[0:1]
	s_delay_alu instid0(VALU_DEP_4) | instskip(NEXT) | instid1(VALU_DEP_3)
	v_fma_f64 v[2:3], v[11:12], v[13:14], v[2:3]
	s_and_b32 s0, vcc_lo, s0
	s_delay_alu instid0(SALU_CYCLE_1) | instskip(NEXT) | instid1(SALU_CYCLE_1)
	s_and_saveexec_b32 s1, s0
	s_xor_b32 s0, exec_lo, s1
	s_cbranch_execz .LBB444_41
; %bb.40:
	v_mad_u64_u32 v[5:6], null, s12, 29, v[4:5]
	v_mov_b32_e32 v6, 0
                                        ; implicit-def: $vgpr7_vgpr8
	s_delay_alu instid0(VALU_DEP_1) | instskip(NEXT) | instid1(VALU_DEP_1)
	v_lshlrev_b64 v[4:5], 4, v[5:6]
	v_add_co_u32 v4, vcc_lo, s4, v4
	s_delay_alu instid0(VALU_DEP_2)
	v_add_co_ci_u32_e32 v5, vcc_lo, s5, v5, vcc_lo
	global_store_b128 v[4:5], v[0:3], off
                                        ; implicit-def: $vgpr4
                                        ; implicit-def: $vgpr5_vgpr6
                                        ; implicit-def: $vgpr0_vgpr1
.LBB444_41:
	s_and_not1_saveexec_b32 s0, s0
	s_cbranch_execz .LBB444_43
; %bb.42:
	v_mad_u64_u32 v[9:10], null, s12, 29, v[4:5]
	v_mov_b32_e32 v10, 0
	s_delay_alu instid0(VALU_DEP_1) | instskip(NEXT) | instid1(VALU_DEP_1)
	v_lshlrev_b64 v[9:10], 4, v[9:10]
	v_add_co_u32 v13, vcc_lo, s4, v9
	s_delay_alu instid0(VALU_DEP_2) | instskip(SKIP_4) | instid1(VALU_DEP_2)
	v_add_co_ci_u32_e32 v14, vcc_lo, s5, v10, vcc_lo
	global_load_b128 v[9:12], v[13:14], off
	s_waitcnt vmcnt(0)
	v_fma_f64 v[0:1], v[5:6], v[9:10], v[0:1]
	v_fma_f64 v[2:3], v[7:8], v[9:10], v[2:3]
	v_fma_f64 v[0:1], -v[7:8], v[11:12], v[0:1]
	s_delay_alu instid0(VALU_DEP_2)
	v_fma_f64 v[2:3], v[5:6], v[11:12], v[2:3]
	global_store_b128 v[13:14], v[0:3], off
.LBB444_43:
	s_nop 0
	s_sendmsg sendmsg(MSG_DEALLOC_VGPRS)
	s_endpgm
	.section	.rodata,"a",@progbits
	.p2align	6, 0x0
	.amdhsa_kernel _ZN9rocsparseL20bsrxmvn_17_32_kernelILj29E21rocsparse_complex_numIdEiidS2_S2_EEvT2_20rocsparse_direction_NS_24const_host_device_scalarIT0_EES3_PKS3_PKT1_SC_S9_PKT3_PKT4_S7_PT5_21rocsparse_index_base_b
		.amdhsa_group_segment_fixed_size 26912
		.amdhsa_private_segment_fixed_size 0
		.amdhsa_kernarg_size 112
		.amdhsa_user_sgpr_count 15
		.amdhsa_user_sgpr_dispatch_ptr 1
		.amdhsa_user_sgpr_queue_ptr 0
		.amdhsa_user_sgpr_kernarg_segment_ptr 1
		.amdhsa_user_sgpr_dispatch_id 0
		.amdhsa_user_sgpr_private_segment_size 0
		.amdhsa_wavefront_size32 1
		.amdhsa_uses_dynamic_stack 0
		.amdhsa_enable_private_segment 0
		.amdhsa_system_sgpr_workgroup_id_x 1
		.amdhsa_system_sgpr_workgroup_id_y 0
		.amdhsa_system_sgpr_workgroup_id_z 0
		.amdhsa_system_sgpr_workgroup_info 0
		.amdhsa_system_vgpr_workitem_id 2
		.amdhsa_next_free_vgpr 26
		.amdhsa_next_free_sgpr 20
		.amdhsa_reserve_vcc 1
		.amdhsa_float_round_mode_32 0
		.amdhsa_float_round_mode_16_64 0
		.amdhsa_float_denorm_mode_32 3
		.amdhsa_float_denorm_mode_16_64 3
		.amdhsa_dx10_clamp 1
		.amdhsa_ieee_mode 1
		.amdhsa_fp16_overflow 0
		.amdhsa_workgroup_processor_mode 1
		.amdhsa_memory_ordered 1
		.amdhsa_forward_progress 0
		.amdhsa_shared_vgpr_count 0
		.amdhsa_exception_fp_ieee_invalid_op 0
		.amdhsa_exception_fp_denorm_src 0
		.amdhsa_exception_fp_ieee_div_zero 0
		.amdhsa_exception_fp_ieee_overflow 0
		.amdhsa_exception_fp_ieee_underflow 0
		.amdhsa_exception_fp_ieee_inexact 0
		.amdhsa_exception_int_div_zero 0
	.end_amdhsa_kernel
	.section	.text._ZN9rocsparseL20bsrxmvn_17_32_kernelILj29E21rocsparse_complex_numIdEiidS2_S2_EEvT2_20rocsparse_direction_NS_24const_host_device_scalarIT0_EES3_PKS3_PKT1_SC_S9_PKT3_PKT4_S7_PT5_21rocsparse_index_base_b,"axG",@progbits,_ZN9rocsparseL20bsrxmvn_17_32_kernelILj29E21rocsparse_complex_numIdEiidS2_S2_EEvT2_20rocsparse_direction_NS_24const_host_device_scalarIT0_EES3_PKS3_PKT1_SC_S9_PKT3_PKT4_S7_PT5_21rocsparse_index_base_b,comdat
.Lfunc_end444:
	.size	_ZN9rocsparseL20bsrxmvn_17_32_kernelILj29E21rocsparse_complex_numIdEiidS2_S2_EEvT2_20rocsparse_direction_NS_24const_host_device_scalarIT0_EES3_PKS3_PKT1_SC_S9_PKT3_PKT4_S7_PT5_21rocsparse_index_base_b, .Lfunc_end444-_ZN9rocsparseL20bsrxmvn_17_32_kernelILj29E21rocsparse_complex_numIdEiidS2_S2_EEvT2_20rocsparse_direction_NS_24const_host_device_scalarIT0_EES3_PKS3_PKT1_SC_S9_PKT3_PKT4_S7_PT5_21rocsparse_index_base_b
                                        ; -- End function
	.section	.AMDGPU.csdata,"",@progbits
; Kernel info:
; codeLenInByte = 2000
; NumSgprs: 22
; NumVgprs: 26
; ScratchSize: 0
; MemoryBound: 0
; FloatMode: 240
; IeeeMode: 1
; LDSByteSize: 26912 bytes/workgroup (compile time only)
; SGPRBlocks: 2
; VGPRBlocks: 3
; NumSGPRsForWavesPerEU: 22
; NumVGPRsForWavesPerEU: 26
; Occupancy: 14
; WaveLimiterHint : 1
; COMPUTE_PGM_RSRC2:SCRATCH_EN: 0
; COMPUTE_PGM_RSRC2:USER_SGPR: 15
; COMPUTE_PGM_RSRC2:TRAP_HANDLER: 0
; COMPUTE_PGM_RSRC2:TGID_X_EN: 1
; COMPUTE_PGM_RSRC2:TGID_Y_EN: 0
; COMPUTE_PGM_RSRC2:TGID_Z_EN: 0
; COMPUTE_PGM_RSRC2:TIDIG_COMP_CNT: 2
	.section	.text._ZN9rocsparseL20bsrxmvn_17_32_kernelILj30E21rocsparse_complex_numIdEiidS2_S2_EEvT2_20rocsparse_direction_NS_24const_host_device_scalarIT0_EES3_PKS3_PKT1_SC_S9_PKT3_PKT4_S7_PT5_21rocsparse_index_base_b,"axG",@progbits,_ZN9rocsparseL20bsrxmvn_17_32_kernelILj30E21rocsparse_complex_numIdEiidS2_S2_EEvT2_20rocsparse_direction_NS_24const_host_device_scalarIT0_EES3_PKS3_PKT1_SC_S9_PKT3_PKT4_S7_PT5_21rocsparse_index_base_b,comdat
	.globl	_ZN9rocsparseL20bsrxmvn_17_32_kernelILj30E21rocsparse_complex_numIdEiidS2_S2_EEvT2_20rocsparse_direction_NS_24const_host_device_scalarIT0_EES3_PKS3_PKT1_SC_S9_PKT3_PKT4_S7_PT5_21rocsparse_index_base_b ; -- Begin function _ZN9rocsparseL20bsrxmvn_17_32_kernelILj30E21rocsparse_complex_numIdEiidS2_S2_EEvT2_20rocsparse_direction_NS_24const_host_device_scalarIT0_EES3_PKS3_PKT1_SC_S9_PKT3_PKT4_S7_PT5_21rocsparse_index_base_b
	.p2align	8
	.type	_ZN9rocsparseL20bsrxmvn_17_32_kernelILj30E21rocsparse_complex_numIdEiidS2_S2_EEvT2_20rocsparse_direction_NS_24const_host_device_scalarIT0_EES3_PKS3_PKT1_SC_S9_PKT3_PKT4_S7_PT5_21rocsparse_index_base_b,@function
_ZN9rocsparseL20bsrxmvn_17_32_kernelILj30E21rocsparse_complex_numIdEiidS2_S2_EEvT2_20rocsparse_direction_NS_24const_host_device_scalarIT0_EES3_PKS3_PKT1_SC_S9_PKT3_PKT4_S7_PT5_21rocsparse_index_base_b: ; @_ZN9rocsparseL20bsrxmvn_17_32_kernelILj30E21rocsparse_complex_numIdEiidS2_S2_EEvT2_20rocsparse_direction_NS_24const_host_device_scalarIT0_EES3_PKS3_PKT1_SC_S9_PKT3_PKT4_S7_PT5_21rocsparse_index_base_b
; %bb.0:
	s_mov_b32 s12, s15
	s_clause 0x1
	s_load_b64 s[14:15], s[2:3], 0x68
	s_load_b128 s[4:7], s[2:3], 0x8
	s_load_b64 s[16:17], s[0:1], 0x4
	s_mov_b64 s[0:1], src_shared_base
	v_and_b32_e32 v4, 0x3ff, v0
	s_load_b128 s[8:11], s[2:3], 0x50
	v_bfe_u32 v2, v0, 10, 10
	v_bfe_u32 v0, v0, 20, 10
	s_waitcnt lgkmcnt(0)
	s_bitcmp1_b32 s15, 0
	v_mov_b32_e32 v12, s7
	s_cselect_b32 s0, -1, 0
	v_mov_b32_e32 v11, s6
	s_and_b32 vcc_lo, s0, exec_lo
	s_cselect_b32 s13, s1, s5
	s_lshr_b32 s15, s16, 16
	v_mov_b32_e32 v6, s13
	s_mul_i32 s15, s15, s17
	s_xor_b32 s6, s0, -1
	v_mul_lo_u32 v1, s15, v4
	s_delay_alu instid0(VALU_DEP_1) | instskip(SKIP_1) | instid1(VALU_DEP_2)
	v_mad_u32_u24 v1, v2, s17, v1
	v_dual_mov_b32 v2, s8 :: v_dual_mov_b32 v3, s9
	v_add_lshl_u32 v7, v1, v0, 3
	v_dual_mov_b32 v0, s4 :: v_dual_mov_b32 v1, s5
	ds_store_b64 v7, v[0:1] offset:21600
	ds_store_b64 v7, v[2:3] offset:14400
	v_add_nc_u32_e32 v5, 0x5460, v7
	v_add_nc_u32_e32 v0, 0x3840, v7
	s_delay_alu instid0(VALU_DEP_2)
	v_cndmask_b32_e64 v5, s4, v5, s0
	flat_load_b64 v[9:10], v[5:6]
	s_cbranch_vccnz .LBB445_2
; %bb.1:
	v_dual_mov_b32 v1, s4 :: v_dual_mov_b32 v2, s5
	flat_load_b64 v[11:12], v[1:2] offset:8
.LBB445_2:
	s_and_b32 s4, s0, exec_lo
	s_cselect_b32 s1, s1, s9
	v_cndmask_b32_e64 v0, s8, v0, s0
	v_mov_b32_e32 v1, s1
	v_dual_mov_b32 v7, s10 :: v_dual_mov_b32 v8, s11
	s_and_not1_b32 vcc_lo, exec_lo, s6
	flat_load_b64 v[5:6], v[0:1]
	s_cbranch_vccnz .LBB445_4
; %bb.3:
	v_dual_mov_b32 v0, s8 :: v_dual_mov_b32 v1, s9
	flat_load_b64 v[7:8], v[0:1] offset:8
.LBB445_4:
	s_waitcnt vmcnt(1) lgkmcnt(1)
	v_cmp_eq_f64_e32 vcc_lo, 0, v[9:10]
	v_cmp_eq_f64_e64 s0, 0, v[11:12]
	s_delay_alu instid0(VALU_DEP_1)
	s_and_b32 s4, vcc_lo, s0
	s_mov_b32 s0, -1
	s_and_saveexec_b32 s1, s4
	s_cbranch_execz .LBB445_6
; %bb.5:
	s_waitcnt vmcnt(0) lgkmcnt(0)
	v_cmp_neq_f64_e32 vcc_lo, 1.0, v[5:6]
	v_cmp_neq_f64_e64 s0, 0, v[7:8]
	s_delay_alu instid0(VALU_DEP_1) | instskip(NEXT) | instid1(SALU_CYCLE_1)
	s_or_b32 s0, vcc_lo, s0
	s_or_not1_b32 s0, s0, exec_lo
.LBB445_6:
	s_or_b32 exec_lo, exec_lo, s1
	s_and_saveexec_b32 s1, s0
	s_cbranch_execz .LBB445_43
; %bb.7:
	s_clause 0x1
	s_load_b128 s[4:7], s[2:3], 0x20
	s_load_b64 s[0:1], s[2:3], 0x30
	s_waitcnt lgkmcnt(0)
	s_cmp_eq_u64 s[4:5], 0
	s_cbranch_scc1 .LBB445_9
; %bb.8:
	s_ashr_i32 s13, s12, 31
	s_delay_alu instid0(SALU_CYCLE_1) | instskip(NEXT) | instid1(SALU_CYCLE_1)
	s_lshl_b64 s[8:9], s[12:13], 2
	s_add_u32 s4, s4, s8
	s_addc_u32 s5, s5, s9
	s_load_b32 s4, s[4:5], 0x0
	s_waitcnt lgkmcnt(0)
	s_sub_i32 s12, s4, s14
.LBB445_9:
	s_load_b32 s4, s[2:3], 0x4
	v_mul_u32_u24_e32 v0, 0x889, v4
	v_mov_b32_e32 v2, 0
	v_mov_b32_e32 v3, 0
	s_delay_alu instid0(VALU_DEP_3) | instskip(NEXT) | instid1(VALU_DEP_1)
	v_lshrrev_b32_e32 v13, 16, v0
	v_mul_lo_u16 v0, v13, 30
	s_delay_alu instid0(VALU_DEP_1) | instskip(NEXT) | instid1(VALU_DEP_4)
	v_sub_nc_u16 v16, v4, v0
	v_dual_mov_b32 v0, v2 :: v_dual_mov_b32 v1, v3
	s_waitcnt lgkmcnt(0)
	s_cmp_eq_u32 s4, 1
	s_cselect_b32 vcc_lo, -1, 0
	s_cmp_lg_u32 s4, 1
	s_cselect_b32 s8, -1, 0
	s_ashr_i32 s13, s12, 31
	s_delay_alu instid0(SALU_CYCLE_1) | instskip(NEXT) | instid1(SALU_CYCLE_1)
	s_lshl_b64 s[4:5], s[12:13], 2
	s_add_u32 s6, s6, s4
	s_addc_u32 s7, s7, s5
	s_add_u32 s9, s6, 4
	s_addc_u32 s10, s7, 0
	;; [unrolled: 2-line block ×3, first 2 shown]
	s_cmp_eq_u64 s[0:1], 0
	s_cselect_b32 s1, s10, s5
	s_cselect_b32 s0, s9, s4
	s_load_b32 s6, s[6:7], 0x0
	s_load_b32 s7, s[0:1], 0x0
	s_load_b64 s[4:5], s[2:3], 0x60
	s_waitcnt lgkmcnt(0)
	s_cmp_ge_i32 s6, s7
	s_cbranch_scc1 .LBB445_14
; %bb.10:
	s_clause 0x1
	s_load_b128 s[16:19], s[2:3], 0x38
	s_load_b64 s[0:1], s[2:3], 0x48
	v_dual_mov_b32 v2, 0 :: v_dual_and_b32 v1, 0xffff, v13
	s_sub_i32 s2, s6, s14
	v_dual_mov_b32 v3, 0 :: v_dual_and_b32 v0, 0xffff, v16
	v_lshlrev_b32_e32 v14, 3, v4
	s_sub_i32 s9, s7, s14
	s_mul_i32 s7, s2, 0x1c20
	s_delay_alu instid0(VALU_DEP_2)
	v_cndmask_b32_e32 v13, v0, v1, vcc_lo
	s_ashr_i32 s3, s2, 31
	s_mul_hi_i32 s6, s2, 0x1c20
	v_dual_mov_b32 v0, v2 :: v_dual_mov_b32 v1, v3
	s_waitcnt lgkmcnt(0)
	s_add_u32 s10, s18, s7
	s_addc_u32 s11, s19, s6
	s_lshl_b64 s[6:7], s[2:3], 2
	v_add_co_u32 v14, s3, s10, v14
	s_delay_alu instid0(VALU_DEP_1)
	v_add_co_ci_u32_e64 v15, null, s11, 0, s3
	s_add_u32 s6, s16, s6
	s_addc_u32 s7, s17, s7
	s_set_inst_prefetch_distance 0x1
	s_branch .LBB445_12
	.p2align	6
.LBB445_11:                             ;   in Loop: Header=BB445_12 Depth=1
	s_add_i32 s2, s2, 1
	s_add_u32 s6, s6, 4
	s_addc_u32 s7, s7, 0
	s_cmp_lt_i32 s2, s9
	s_cbranch_scc0 .LBB445_14
.LBB445_12:                             ; =>This Inner Loop Header: Depth=1
	s_cmp_ge_i32 s2, s9
	s_cbranch_scc1 .LBB445_11
; %bb.13:                               ;   in Loop: Header=BB445_12 Depth=1
	s_load_b32 s3, s[6:7], 0x0
	s_waitcnt lgkmcnt(0)
	s_sub_i32 s3, s3, s14
	s_delay_alu instid0(SALU_CYCLE_1) | instskip(NEXT) | instid1(VALU_DEP_1)
	v_mad_u64_u32 v[17:18], null, s3, 30, v[13:14]
	v_ashrrev_i32_e32 v18, 31, v17
	s_delay_alu instid0(VALU_DEP_1) | instskip(NEXT) | instid1(VALU_DEP_1)
	v_lshlrev_b64 v[17:18], 4, v[17:18]
	v_add_co_u32 v17, vcc_lo, s0, v17
	s_delay_alu instid0(VALU_DEP_2)
	v_add_co_ci_u32_e32 v18, vcc_lo, s1, v18, vcc_lo
	global_load_b64 v[21:22], v[14:15], off
	global_load_b128 v[17:20], v[17:18], off
	v_add_co_u32 v14, vcc_lo, 0x1c20, v14
	v_add_co_ci_u32_e32 v15, vcc_lo, 0, v15, vcc_lo
	s_waitcnt vmcnt(0)
	v_fma_f64 v[0:1], v[21:22], v[17:18], v[0:1]
	v_fma_f64 v[2:3], v[17:18], 0, v[2:3]
	s_delay_alu instid0(VALU_DEP_2) | instskip(NEXT) | instid1(VALU_DEP_2)
	v_fma_f64 v[0:1], 0x80000000, v[19:20], v[0:1]
	v_fma_f64 v[2:3], v[21:22], v[19:20], v[2:3]
	s_branch .LBB445_11
.LBB445_14:
	s_set_inst_prefetch_distance 0x2
	v_lshlrev_b32_e32 v17, 4, v4
	s_and_b32 vcc_lo, exec_lo, s8
	ds_store_b128 v17, v[0:3]
	s_waitcnt vmcnt(0) lgkmcnt(0)
	s_barrier
	buffer_gl0_inv
	s_cbranch_vccz .LBB445_26
; %bb.15:
	s_mov_b32 s0, exec_lo
	v_cmpx_gt_u16_e32 14, v16
	s_cbranch_execz .LBB445_17
; %bb.16:
	ds_load_b128 v[18:21], v17 offset:256
	ds_load_b128 v[22:25], v17
	s_waitcnt lgkmcnt(0)
	v_add_f64 v[18:19], v[18:19], v[22:23]
	v_add_f64 v[20:21], v[20:21], v[24:25]
	ds_store_b128 v17, v[18:21]
.LBB445_17:
	s_or_b32 exec_lo, exec_lo, s0
	s_delay_alu instid0(SALU_CYCLE_1)
	s_mov_b32 s0, exec_lo
	s_waitcnt lgkmcnt(0)
	s_barrier
	buffer_gl0_inv
	v_cmpx_gt_u16_e32 8, v16
	s_cbranch_execz .LBB445_19
; %bb.18:
	ds_load_b128 v[18:21], v17 offset:128
	ds_load_b128 v[22:25], v17
	s_waitcnt lgkmcnt(0)
	v_add_f64 v[18:19], v[18:19], v[22:23]
	v_add_f64 v[20:21], v[20:21], v[24:25]
	ds_store_b128 v17, v[18:21]
.LBB445_19:
	s_or_b32 exec_lo, exec_lo, s0
	s_delay_alu instid0(SALU_CYCLE_1)
	s_mov_b32 s0, exec_lo
	s_waitcnt lgkmcnt(0)
	s_barrier
	buffer_gl0_inv
	;; [unrolled: 16-line block ×3, first 2 shown]
	v_cmpx_gt_u16_e32 2, v16
	s_cbranch_execz .LBB445_23
; %bb.22:
	ds_load_b128 v[13:16], v17
	ds_load_b128 v[18:21], v17 offset:32
	s_waitcnt lgkmcnt(0)
	v_add_f64 v[13:14], v[18:19], v[13:14]
	v_add_f64 v[15:16], v[20:21], v[15:16]
	ds_store_b128 v17, v[13:16]
.LBB445_23:
	s_or_b32 exec_lo, exec_lo, s0
	v_dual_mov_b32 v16, v3 :: v_dual_mov_b32 v15, v2
	v_dual_mov_b32 v14, v1 :: v_dual_mov_b32 v13, v0
	s_mov_b32 s0, exec_lo
	s_waitcnt lgkmcnt(0)
	s_barrier
	buffer_gl0_inv
	v_cmpx_gt_u32_e32 30, v4
	s_cbranch_execz .LBB445_25
; %bb.24:
	v_mul_u32_u24_e32 v13, 30, v4
	s_delay_alu instid0(VALU_DEP_1)
	v_lshlrev_b32_e32 v18, 4, v13
	ds_load_b128 v[13:16], v18
	ds_load_b128 v[18:21], v18 offset:16
	s_waitcnt lgkmcnt(0)
	v_add_f64 v[13:14], v[18:19], v[13:14]
	v_add_f64 v[15:16], v[20:21], v[15:16]
.LBB445_25:
	s_or_b32 exec_lo, exec_lo, s0
	s_branch .LBB445_38
.LBB445_26:
                                        ; implicit-def: $vgpr15_vgpr16
                                        ; implicit-def: $vgpr13_vgpr14
	s_cbranch_execz .LBB445_38
; %bb.27:
	s_mov_b32 s0, exec_lo
	v_cmpx_gt_u32_e32 0x1a4, v4
	s_cbranch_execz .LBB445_29
; %bb.28:
	ds_load_b128 v[13:16], v17 offset:7680
	ds_load_b128 v[18:21], v17
	s_waitcnt lgkmcnt(0)
	v_add_f64 v[13:14], v[13:14], v[18:19]
	v_add_f64 v[15:16], v[15:16], v[20:21]
	ds_store_b128 v17, v[13:16]
.LBB445_29:
	s_or_b32 exec_lo, exec_lo, s0
	s_delay_alu instid0(SALU_CYCLE_1)
	s_mov_b32 s0, exec_lo
	s_waitcnt lgkmcnt(0)
	s_barrier
	buffer_gl0_inv
	v_cmpx_gt_u32_e32 0xf0, v4
	s_cbranch_execz .LBB445_31
; %bb.30:
	ds_load_b128 v[13:16], v17 offset:3840
	ds_load_b128 v[18:21], v17
	s_waitcnt lgkmcnt(0)
	v_add_f64 v[13:14], v[13:14], v[18:19]
	v_add_f64 v[15:16], v[15:16], v[20:21]
	ds_store_b128 v17, v[13:16]
.LBB445_31:
	s_or_b32 exec_lo, exec_lo, s0
	s_delay_alu instid0(SALU_CYCLE_1)
	s_mov_b32 s0, exec_lo
	s_waitcnt lgkmcnt(0)
	s_barrier
	buffer_gl0_inv
	;; [unrolled: 16-line block ×3, first 2 shown]
	v_cmpx_gt_u32_e32 60, v4
	s_cbranch_execz .LBB445_35
; %bb.34:
	ds_load_b128 v[13:16], v17 offset:960
	ds_load_b128 v[18:21], v17
	s_waitcnt lgkmcnt(0)
	v_add_f64 v[13:14], v[13:14], v[18:19]
	v_add_f64 v[15:16], v[15:16], v[20:21]
	ds_store_b128 v17, v[13:16]
.LBB445_35:
	s_or_b32 exec_lo, exec_lo, s0
	s_delay_alu instid0(SALU_CYCLE_1)
	s_mov_b32 s0, exec_lo
	s_waitcnt lgkmcnt(0)
	buffer_gl0_inv
	v_cmpx_gt_u32_e32 30, v4
	s_cbranch_execz .LBB445_37
; %bb.36:
	ds_load_b128 v[0:3], v17 offset:480
	ds_load_b128 v[13:16], v17
	s_waitcnt lgkmcnt(0)
	v_add_f64 v[0:1], v[0:1], v[13:14]
	v_add_f64 v[2:3], v[2:3], v[15:16]
.LBB445_37:
	s_or_b32 exec_lo, exec_lo, s0
	s_delay_alu instid0(VALU_DEP_1) | instskip(NEXT) | instid1(VALU_DEP_3)
	v_dual_mov_b32 v16, v3 :: v_dual_mov_b32 v15, v2
	v_dual_mov_b32 v14, v1 :: v_dual_mov_b32 v13, v0
.LBB445_38:
	v_cmp_gt_u32_e32 vcc_lo, 30, v4
	s_and_b32 exec_lo, exec_lo, vcc_lo
	s_cbranch_execz .LBB445_43
; %bb.39:
	s_delay_alu instid0(VALU_DEP_2) | instskip(SKIP_3) | instid1(VALU_DEP_4)
	v_mul_f64 v[0:1], v[15:16], -v[11:12]
	v_mul_f64 v[2:3], v[9:10], v[15:16]
	v_cmp_eq_f64_e32 vcc_lo, 0, v[5:6]
	v_cmp_eq_f64_e64 s0, 0, v[7:8]
	v_fma_f64 v[0:1], v[9:10], v[13:14], v[0:1]
	s_delay_alu instid0(VALU_DEP_4) | instskip(NEXT) | instid1(VALU_DEP_3)
	v_fma_f64 v[2:3], v[11:12], v[13:14], v[2:3]
	s_and_b32 s0, vcc_lo, s0
	s_delay_alu instid0(SALU_CYCLE_1) | instskip(NEXT) | instid1(SALU_CYCLE_1)
	s_and_saveexec_b32 s1, s0
	s_xor_b32 s0, exec_lo, s1
	s_cbranch_execz .LBB445_41
; %bb.40:
	v_mad_u64_u32 v[5:6], null, s12, 30, v[4:5]
	v_mov_b32_e32 v6, 0
                                        ; implicit-def: $vgpr7_vgpr8
	s_delay_alu instid0(VALU_DEP_1) | instskip(NEXT) | instid1(VALU_DEP_1)
	v_lshlrev_b64 v[4:5], 4, v[5:6]
	v_add_co_u32 v4, vcc_lo, s4, v4
	s_delay_alu instid0(VALU_DEP_2)
	v_add_co_ci_u32_e32 v5, vcc_lo, s5, v5, vcc_lo
	global_store_b128 v[4:5], v[0:3], off
                                        ; implicit-def: $vgpr4
                                        ; implicit-def: $vgpr5_vgpr6
                                        ; implicit-def: $vgpr0_vgpr1
.LBB445_41:
	s_and_not1_saveexec_b32 s0, s0
	s_cbranch_execz .LBB445_43
; %bb.42:
	v_mad_u64_u32 v[9:10], null, s12, 30, v[4:5]
	v_mov_b32_e32 v10, 0
	s_delay_alu instid0(VALU_DEP_1) | instskip(NEXT) | instid1(VALU_DEP_1)
	v_lshlrev_b64 v[9:10], 4, v[9:10]
	v_add_co_u32 v13, vcc_lo, s4, v9
	s_delay_alu instid0(VALU_DEP_2) | instskip(SKIP_4) | instid1(VALU_DEP_2)
	v_add_co_ci_u32_e32 v14, vcc_lo, s5, v10, vcc_lo
	global_load_b128 v[9:12], v[13:14], off
	s_waitcnt vmcnt(0)
	v_fma_f64 v[0:1], v[5:6], v[9:10], v[0:1]
	v_fma_f64 v[2:3], v[7:8], v[9:10], v[2:3]
	v_fma_f64 v[0:1], -v[7:8], v[11:12], v[0:1]
	s_delay_alu instid0(VALU_DEP_2)
	v_fma_f64 v[2:3], v[5:6], v[11:12], v[2:3]
	global_store_b128 v[13:14], v[0:3], off
.LBB445_43:
	s_nop 0
	s_sendmsg sendmsg(MSG_DEALLOC_VGPRS)
	s_endpgm
	.section	.rodata,"a",@progbits
	.p2align	6, 0x0
	.amdhsa_kernel _ZN9rocsparseL20bsrxmvn_17_32_kernelILj30E21rocsparse_complex_numIdEiidS2_S2_EEvT2_20rocsparse_direction_NS_24const_host_device_scalarIT0_EES3_PKS3_PKT1_SC_S9_PKT3_PKT4_S7_PT5_21rocsparse_index_base_b
		.amdhsa_group_segment_fixed_size 28800
		.amdhsa_private_segment_fixed_size 0
		.amdhsa_kernarg_size 112
		.amdhsa_user_sgpr_count 15
		.amdhsa_user_sgpr_dispatch_ptr 1
		.amdhsa_user_sgpr_queue_ptr 0
		.amdhsa_user_sgpr_kernarg_segment_ptr 1
		.amdhsa_user_sgpr_dispatch_id 0
		.amdhsa_user_sgpr_private_segment_size 0
		.amdhsa_wavefront_size32 1
		.amdhsa_uses_dynamic_stack 0
		.amdhsa_enable_private_segment 0
		.amdhsa_system_sgpr_workgroup_id_x 1
		.amdhsa_system_sgpr_workgroup_id_y 0
		.amdhsa_system_sgpr_workgroup_id_z 0
		.amdhsa_system_sgpr_workgroup_info 0
		.amdhsa_system_vgpr_workitem_id 2
		.amdhsa_next_free_vgpr 26
		.amdhsa_next_free_sgpr 20
		.amdhsa_reserve_vcc 1
		.amdhsa_float_round_mode_32 0
		.amdhsa_float_round_mode_16_64 0
		.amdhsa_float_denorm_mode_32 3
		.amdhsa_float_denorm_mode_16_64 3
		.amdhsa_dx10_clamp 1
		.amdhsa_ieee_mode 1
		.amdhsa_fp16_overflow 0
		.amdhsa_workgroup_processor_mode 1
		.amdhsa_memory_ordered 1
		.amdhsa_forward_progress 0
		.amdhsa_shared_vgpr_count 0
		.amdhsa_exception_fp_ieee_invalid_op 0
		.amdhsa_exception_fp_denorm_src 0
		.amdhsa_exception_fp_ieee_div_zero 0
		.amdhsa_exception_fp_ieee_overflow 0
		.amdhsa_exception_fp_ieee_underflow 0
		.amdhsa_exception_fp_ieee_inexact 0
		.amdhsa_exception_int_div_zero 0
	.end_amdhsa_kernel
	.section	.text._ZN9rocsparseL20bsrxmvn_17_32_kernelILj30E21rocsparse_complex_numIdEiidS2_S2_EEvT2_20rocsparse_direction_NS_24const_host_device_scalarIT0_EES3_PKS3_PKT1_SC_S9_PKT3_PKT4_S7_PT5_21rocsparse_index_base_b,"axG",@progbits,_ZN9rocsparseL20bsrxmvn_17_32_kernelILj30E21rocsparse_complex_numIdEiidS2_S2_EEvT2_20rocsparse_direction_NS_24const_host_device_scalarIT0_EES3_PKS3_PKT1_SC_S9_PKT3_PKT4_S7_PT5_21rocsparse_index_base_b,comdat
.Lfunc_end445:
	.size	_ZN9rocsparseL20bsrxmvn_17_32_kernelILj30E21rocsparse_complex_numIdEiidS2_S2_EEvT2_20rocsparse_direction_NS_24const_host_device_scalarIT0_EES3_PKS3_PKT1_SC_S9_PKT3_PKT4_S7_PT5_21rocsparse_index_base_b, .Lfunc_end445-_ZN9rocsparseL20bsrxmvn_17_32_kernelILj30E21rocsparse_complex_numIdEiidS2_S2_EEvT2_20rocsparse_direction_NS_24const_host_device_scalarIT0_EES3_PKS3_PKT1_SC_S9_PKT3_PKT4_S7_PT5_21rocsparse_index_base_b
                                        ; -- End function
	.section	.AMDGPU.csdata,"",@progbits
; Kernel info:
; codeLenInByte = 2000
; NumSgprs: 22
; NumVgprs: 26
; ScratchSize: 0
; MemoryBound: 0
; FloatMode: 240
; IeeeMode: 1
; LDSByteSize: 28800 bytes/workgroup (compile time only)
; SGPRBlocks: 2
; VGPRBlocks: 3
; NumSGPRsForWavesPerEU: 22
; NumVGPRsForWavesPerEU: 26
; Occupancy: 15
; WaveLimiterHint : 1
; COMPUTE_PGM_RSRC2:SCRATCH_EN: 0
; COMPUTE_PGM_RSRC2:USER_SGPR: 15
; COMPUTE_PGM_RSRC2:TRAP_HANDLER: 0
; COMPUTE_PGM_RSRC2:TGID_X_EN: 1
; COMPUTE_PGM_RSRC2:TGID_Y_EN: 0
; COMPUTE_PGM_RSRC2:TGID_Z_EN: 0
; COMPUTE_PGM_RSRC2:TIDIG_COMP_CNT: 2
	.section	.text._ZN9rocsparseL20bsrxmvn_17_32_kernelILj31E21rocsparse_complex_numIdEiidS2_S2_EEvT2_20rocsparse_direction_NS_24const_host_device_scalarIT0_EES3_PKS3_PKT1_SC_S9_PKT3_PKT4_S7_PT5_21rocsparse_index_base_b,"axG",@progbits,_ZN9rocsparseL20bsrxmvn_17_32_kernelILj31E21rocsparse_complex_numIdEiidS2_S2_EEvT2_20rocsparse_direction_NS_24const_host_device_scalarIT0_EES3_PKS3_PKT1_SC_S9_PKT3_PKT4_S7_PT5_21rocsparse_index_base_b,comdat
	.globl	_ZN9rocsparseL20bsrxmvn_17_32_kernelILj31E21rocsparse_complex_numIdEiidS2_S2_EEvT2_20rocsparse_direction_NS_24const_host_device_scalarIT0_EES3_PKS3_PKT1_SC_S9_PKT3_PKT4_S7_PT5_21rocsparse_index_base_b ; -- Begin function _ZN9rocsparseL20bsrxmvn_17_32_kernelILj31E21rocsparse_complex_numIdEiidS2_S2_EEvT2_20rocsparse_direction_NS_24const_host_device_scalarIT0_EES3_PKS3_PKT1_SC_S9_PKT3_PKT4_S7_PT5_21rocsparse_index_base_b
	.p2align	8
	.type	_ZN9rocsparseL20bsrxmvn_17_32_kernelILj31E21rocsparse_complex_numIdEiidS2_S2_EEvT2_20rocsparse_direction_NS_24const_host_device_scalarIT0_EES3_PKS3_PKT1_SC_S9_PKT3_PKT4_S7_PT5_21rocsparse_index_base_b,@function
_ZN9rocsparseL20bsrxmvn_17_32_kernelILj31E21rocsparse_complex_numIdEiidS2_S2_EEvT2_20rocsparse_direction_NS_24const_host_device_scalarIT0_EES3_PKS3_PKT1_SC_S9_PKT3_PKT4_S7_PT5_21rocsparse_index_base_b: ; @_ZN9rocsparseL20bsrxmvn_17_32_kernelILj31E21rocsparse_complex_numIdEiidS2_S2_EEvT2_20rocsparse_direction_NS_24const_host_device_scalarIT0_EES3_PKS3_PKT1_SC_S9_PKT3_PKT4_S7_PT5_21rocsparse_index_base_b
; %bb.0:
	s_mov_b32 s12, s15
	s_clause 0x1
	s_load_b64 s[14:15], s[2:3], 0x68
	s_load_b128 s[4:7], s[2:3], 0x8
	s_load_b64 s[16:17], s[0:1], 0x4
	s_mov_b64 s[0:1], src_shared_base
	v_and_b32_e32 v4, 0x3ff, v0
	s_load_b128 s[8:11], s[2:3], 0x50
	v_bfe_u32 v2, v0, 10, 10
	v_bfe_u32 v0, v0, 20, 10
	s_waitcnt lgkmcnt(0)
	s_bitcmp1_b32 s15, 0
	v_mov_b32_e32 v12, s7
	s_cselect_b32 s0, -1, 0
	v_mov_b32_e32 v11, s6
	s_and_b32 vcc_lo, s0, exec_lo
	s_cselect_b32 s13, s1, s5
	s_lshr_b32 s15, s16, 16
	v_mov_b32_e32 v6, s13
	s_mul_i32 s15, s15, s17
	s_xor_b32 s6, s0, -1
	v_mul_lo_u32 v1, s15, v4
	s_delay_alu instid0(VALU_DEP_1) | instskip(SKIP_1) | instid1(VALU_DEP_2)
	v_mad_u32_u24 v1, v2, s17, v1
	v_dual_mov_b32 v2, s8 :: v_dual_mov_b32 v3, s9
	v_add_lshl_u32 v7, v1, v0, 3
	v_dual_mov_b32 v0, s4 :: v_dual_mov_b32 v1, s5
	ds_store_b64 v7, v[0:1] offset:23064
	ds_store_b64 v7, v[2:3] offset:15376
	v_add_nc_u32_e32 v5, 0x5a18, v7
	v_add_nc_u32_e32 v0, 0x3c10, v7
	s_delay_alu instid0(VALU_DEP_2)
	v_cndmask_b32_e64 v5, s4, v5, s0
	flat_load_b64 v[9:10], v[5:6]
	s_cbranch_vccnz .LBB446_2
; %bb.1:
	v_dual_mov_b32 v1, s4 :: v_dual_mov_b32 v2, s5
	flat_load_b64 v[11:12], v[1:2] offset:8
.LBB446_2:
	s_and_b32 s4, s0, exec_lo
	s_cselect_b32 s1, s1, s9
	v_cndmask_b32_e64 v0, s8, v0, s0
	v_mov_b32_e32 v1, s1
	v_dual_mov_b32 v7, s10 :: v_dual_mov_b32 v8, s11
	s_and_not1_b32 vcc_lo, exec_lo, s6
	flat_load_b64 v[5:6], v[0:1]
	s_cbranch_vccnz .LBB446_4
; %bb.3:
	v_dual_mov_b32 v0, s8 :: v_dual_mov_b32 v1, s9
	flat_load_b64 v[7:8], v[0:1] offset:8
.LBB446_4:
	s_waitcnt vmcnt(1) lgkmcnt(1)
	v_cmp_eq_f64_e32 vcc_lo, 0, v[9:10]
	v_cmp_eq_f64_e64 s0, 0, v[11:12]
	s_delay_alu instid0(VALU_DEP_1)
	s_and_b32 s4, vcc_lo, s0
	s_mov_b32 s0, -1
	s_and_saveexec_b32 s1, s4
	s_cbranch_execz .LBB446_6
; %bb.5:
	s_waitcnt vmcnt(0) lgkmcnt(0)
	v_cmp_neq_f64_e32 vcc_lo, 1.0, v[5:6]
	v_cmp_neq_f64_e64 s0, 0, v[7:8]
	s_delay_alu instid0(VALU_DEP_1) | instskip(NEXT) | instid1(SALU_CYCLE_1)
	s_or_b32 s0, vcc_lo, s0
	s_or_not1_b32 s0, s0, exec_lo
.LBB446_6:
	s_or_b32 exec_lo, exec_lo, s1
	s_and_saveexec_b32 s1, s0
	s_cbranch_execz .LBB446_43
; %bb.7:
	s_clause 0x1
	s_load_b128 s[4:7], s[2:3], 0x20
	s_load_b64 s[0:1], s[2:3], 0x30
	s_waitcnt lgkmcnt(0)
	s_cmp_eq_u64 s[4:5], 0
	s_cbranch_scc1 .LBB446_9
; %bb.8:
	s_ashr_i32 s13, s12, 31
	s_delay_alu instid0(SALU_CYCLE_1) | instskip(NEXT) | instid1(SALU_CYCLE_1)
	s_lshl_b64 s[8:9], s[12:13], 2
	s_add_u32 s4, s4, s8
	s_addc_u32 s5, s5, s9
	s_load_b32 s4, s[4:5], 0x0
	s_waitcnt lgkmcnt(0)
	s_sub_i32 s12, s4, s14
.LBB446_9:
	s_load_b32 s4, s[2:3], 0x4
	v_mul_u32_u24_e32 v0, 0x843, v4
	v_mov_b32_e32 v2, 0
	v_mov_b32_e32 v3, 0
	s_delay_alu instid0(VALU_DEP_3) | instskip(NEXT) | instid1(VALU_DEP_1)
	v_lshrrev_b32_e32 v13, 16, v0
	v_mul_lo_u16 v0, v13, 31
	s_delay_alu instid0(VALU_DEP_1) | instskip(NEXT) | instid1(VALU_DEP_4)
	v_sub_nc_u16 v16, v4, v0
	v_dual_mov_b32 v0, v2 :: v_dual_mov_b32 v1, v3
	s_waitcnt lgkmcnt(0)
	s_cmp_eq_u32 s4, 1
	s_cselect_b32 vcc_lo, -1, 0
	s_cmp_lg_u32 s4, 1
	s_cselect_b32 s8, -1, 0
	s_ashr_i32 s13, s12, 31
	s_delay_alu instid0(SALU_CYCLE_1) | instskip(NEXT) | instid1(SALU_CYCLE_1)
	s_lshl_b64 s[4:5], s[12:13], 2
	s_add_u32 s6, s6, s4
	s_addc_u32 s7, s7, s5
	s_add_u32 s9, s6, 4
	s_addc_u32 s10, s7, 0
	s_add_u32 s4, s0, s4
	s_addc_u32 s5, s1, s5
	s_cmp_eq_u64 s[0:1], 0
	s_cselect_b32 s1, s10, s5
	s_cselect_b32 s0, s9, s4
	s_load_b32 s6, s[6:7], 0x0
	s_load_b32 s7, s[0:1], 0x0
	s_load_b64 s[4:5], s[2:3], 0x60
	s_waitcnt lgkmcnt(0)
	s_cmp_ge_i32 s6, s7
	s_cbranch_scc1 .LBB446_14
; %bb.10:
	s_clause 0x1
	s_load_b128 s[16:19], s[2:3], 0x38
	s_load_b64 s[0:1], s[2:3], 0x48
	v_dual_mov_b32 v2, 0 :: v_dual_and_b32 v1, 0xffff, v13
	s_sub_i32 s2, s6, s14
	v_dual_mov_b32 v3, 0 :: v_dual_and_b32 v0, 0xffff, v16
	v_lshlrev_b32_e32 v14, 3, v4
	s_sub_i32 s9, s7, s14
	s_mul_i32 s7, s2, 0x1e08
	s_delay_alu instid0(VALU_DEP_2)
	v_cndmask_b32_e32 v13, v0, v1, vcc_lo
	s_ashr_i32 s3, s2, 31
	s_mul_hi_i32 s6, s2, 0x1e08
	v_dual_mov_b32 v0, v2 :: v_dual_mov_b32 v1, v3
	s_waitcnt lgkmcnt(0)
	s_add_u32 s10, s18, s7
	s_addc_u32 s11, s19, s6
	s_lshl_b64 s[6:7], s[2:3], 2
	v_add_co_u32 v14, s3, s10, v14
	s_delay_alu instid0(VALU_DEP_1)
	v_add_co_ci_u32_e64 v15, null, s11, 0, s3
	s_add_u32 s6, s16, s6
	s_addc_u32 s7, s17, s7
	s_set_inst_prefetch_distance 0x1
	s_branch .LBB446_12
	.p2align	6
.LBB446_11:                             ;   in Loop: Header=BB446_12 Depth=1
	s_add_i32 s2, s2, 1
	s_add_u32 s6, s6, 4
	s_addc_u32 s7, s7, 0
	s_cmp_lt_i32 s2, s9
	s_cbranch_scc0 .LBB446_14
.LBB446_12:                             ; =>This Inner Loop Header: Depth=1
	s_cmp_ge_i32 s2, s9
	s_cbranch_scc1 .LBB446_11
; %bb.13:                               ;   in Loop: Header=BB446_12 Depth=1
	s_load_b32 s3, s[6:7], 0x0
	s_waitcnt lgkmcnt(0)
	s_sub_i32 s3, s3, s14
	s_delay_alu instid0(SALU_CYCLE_1) | instskip(NEXT) | instid1(VALU_DEP_1)
	v_mad_u64_u32 v[17:18], null, s3, 31, v[13:14]
	v_ashrrev_i32_e32 v18, 31, v17
	s_delay_alu instid0(VALU_DEP_1) | instskip(NEXT) | instid1(VALU_DEP_1)
	v_lshlrev_b64 v[17:18], 4, v[17:18]
	v_add_co_u32 v17, vcc_lo, s0, v17
	s_delay_alu instid0(VALU_DEP_2)
	v_add_co_ci_u32_e32 v18, vcc_lo, s1, v18, vcc_lo
	global_load_b64 v[21:22], v[14:15], off
	global_load_b128 v[17:20], v[17:18], off
	v_add_co_u32 v14, vcc_lo, 0x1e08, v14
	v_add_co_ci_u32_e32 v15, vcc_lo, 0, v15, vcc_lo
	s_waitcnt vmcnt(0)
	v_fma_f64 v[0:1], v[21:22], v[17:18], v[0:1]
	v_fma_f64 v[2:3], v[17:18], 0, v[2:3]
	s_delay_alu instid0(VALU_DEP_2) | instskip(NEXT) | instid1(VALU_DEP_2)
	v_fma_f64 v[0:1], 0x80000000, v[19:20], v[0:1]
	v_fma_f64 v[2:3], v[21:22], v[19:20], v[2:3]
	s_branch .LBB446_11
.LBB446_14:
	s_set_inst_prefetch_distance 0x2
	v_lshlrev_b32_e32 v17, 4, v4
	s_and_b32 vcc_lo, exec_lo, s8
	ds_store_b128 v17, v[0:3]
	s_waitcnt vmcnt(0) lgkmcnt(0)
	s_barrier
	buffer_gl0_inv
	s_cbranch_vccz .LBB446_26
; %bb.15:
	s_mov_b32 s0, exec_lo
	v_cmpx_gt_u16_e32 15, v16
	s_cbranch_execz .LBB446_17
; %bb.16:
	ds_load_b128 v[18:21], v17 offset:256
	ds_load_b128 v[22:25], v17
	s_waitcnt lgkmcnt(0)
	v_add_f64 v[18:19], v[18:19], v[22:23]
	v_add_f64 v[20:21], v[20:21], v[24:25]
	ds_store_b128 v17, v[18:21]
.LBB446_17:
	s_or_b32 exec_lo, exec_lo, s0
	s_delay_alu instid0(SALU_CYCLE_1)
	s_mov_b32 s0, exec_lo
	s_waitcnt lgkmcnt(0)
	s_barrier
	buffer_gl0_inv
	v_cmpx_gt_u16_e32 8, v16
	s_cbranch_execz .LBB446_19
; %bb.18:
	ds_load_b128 v[18:21], v17 offset:128
	ds_load_b128 v[22:25], v17
	s_waitcnt lgkmcnt(0)
	v_add_f64 v[18:19], v[18:19], v[22:23]
	v_add_f64 v[20:21], v[20:21], v[24:25]
	ds_store_b128 v17, v[18:21]
.LBB446_19:
	s_or_b32 exec_lo, exec_lo, s0
	s_delay_alu instid0(SALU_CYCLE_1)
	s_mov_b32 s0, exec_lo
	s_waitcnt lgkmcnt(0)
	s_barrier
	buffer_gl0_inv
	;; [unrolled: 16-line block ×3, first 2 shown]
	v_cmpx_gt_u16_e32 2, v16
	s_cbranch_execz .LBB446_23
; %bb.22:
	ds_load_b128 v[13:16], v17
	ds_load_b128 v[18:21], v17 offset:32
	s_waitcnt lgkmcnt(0)
	v_add_f64 v[13:14], v[18:19], v[13:14]
	v_add_f64 v[15:16], v[20:21], v[15:16]
	ds_store_b128 v17, v[13:16]
.LBB446_23:
	s_or_b32 exec_lo, exec_lo, s0
	v_dual_mov_b32 v16, v3 :: v_dual_mov_b32 v15, v2
	v_dual_mov_b32 v14, v1 :: v_dual_mov_b32 v13, v0
	s_mov_b32 s0, exec_lo
	s_waitcnt lgkmcnt(0)
	s_barrier
	buffer_gl0_inv
	v_cmpx_gt_u32_e32 31, v4
	s_cbranch_execz .LBB446_25
; %bb.24:
	v_mul_u32_u24_e32 v13, 31, v4
	s_delay_alu instid0(VALU_DEP_1)
	v_lshlrev_b32_e32 v18, 4, v13
	ds_load_b128 v[13:16], v18
	ds_load_b128 v[18:21], v18 offset:16
	s_waitcnt lgkmcnt(0)
	v_add_f64 v[13:14], v[18:19], v[13:14]
	v_add_f64 v[15:16], v[20:21], v[15:16]
.LBB446_25:
	s_or_b32 exec_lo, exec_lo, s0
	s_branch .LBB446_38
.LBB446_26:
                                        ; implicit-def: $vgpr15_vgpr16
                                        ; implicit-def: $vgpr13_vgpr14
	s_cbranch_execz .LBB446_38
; %bb.27:
	s_mov_b32 s0, exec_lo
	v_cmpx_gt_u32_e32 0x1d1, v4
	s_cbranch_execz .LBB446_29
; %bb.28:
	ds_load_b128 v[13:16], v17 offset:7936
	ds_load_b128 v[18:21], v17
	s_waitcnt lgkmcnt(0)
	v_add_f64 v[13:14], v[13:14], v[18:19]
	v_add_f64 v[15:16], v[15:16], v[20:21]
	ds_store_b128 v17, v[13:16]
.LBB446_29:
	s_or_b32 exec_lo, exec_lo, s0
	s_delay_alu instid0(SALU_CYCLE_1)
	s_mov_b32 s0, exec_lo
	s_waitcnt lgkmcnt(0)
	s_barrier
	buffer_gl0_inv
	v_cmpx_gt_u32_e32 0xf8, v4
	s_cbranch_execz .LBB446_31
; %bb.30:
	ds_load_b128 v[13:16], v17 offset:3968
	ds_load_b128 v[18:21], v17
	s_waitcnt lgkmcnt(0)
	v_add_f64 v[13:14], v[13:14], v[18:19]
	v_add_f64 v[15:16], v[15:16], v[20:21]
	ds_store_b128 v17, v[13:16]
.LBB446_31:
	s_or_b32 exec_lo, exec_lo, s0
	s_delay_alu instid0(SALU_CYCLE_1)
	s_mov_b32 s0, exec_lo
	s_waitcnt lgkmcnt(0)
	s_barrier
	buffer_gl0_inv
	;; [unrolled: 16-line block ×3, first 2 shown]
	v_cmpx_gt_u32_e32 62, v4
	s_cbranch_execz .LBB446_35
; %bb.34:
	ds_load_b128 v[13:16], v17 offset:992
	ds_load_b128 v[18:21], v17
	s_waitcnt lgkmcnt(0)
	v_add_f64 v[13:14], v[13:14], v[18:19]
	v_add_f64 v[15:16], v[15:16], v[20:21]
	ds_store_b128 v17, v[13:16]
.LBB446_35:
	s_or_b32 exec_lo, exec_lo, s0
	s_delay_alu instid0(SALU_CYCLE_1)
	s_mov_b32 s0, exec_lo
	s_waitcnt lgkmcnt(0)
	buffer_gl0_inv
	v_cmpx_gt_u32_e32 31, v4
	s_cbranch_execz .LBB446_37
; %bb.36:
	ds_load_b128 v[0:3], v17 offset:496
	ds_load_b128 v[13:16], v17
	s_waitcnt lgkmcnt(0)
	v_add_f64 v[0:1], v[0:1], v[13:14]
	v_add_f64 v[2:3], v[2:3], v[15:16]
.LBB446_37:
	s_or_b32 exec_lo, exec_lo, s0
	s_delay_alu instid0(VALU_DEP_1) | instskip(NEXT) | instid1(VALU_DEP_3)
	v_dual_mov_b32 v16, v3 :: v_dual_mov_b32 v15, v2
	v_dual_mov_b32 v14, v1 :: v_dual_mov_b32 v13, v0
.LBB446_38:
	v_cmp_gt_u32_e32 vcc_lo, 31, v4
	s_and_b32 exec_lo, exec_lo, vcc_lo
	s_cbranch_execz .LBB446_43
; %bb.39:
	s_delay_alu instid0(VALU_DEP_2) | instskip(SKIP_3) | instid1(VALU_DEP_4)
	v_mul_f64 v[0:1], v[15:16], -v[11:12]
	v_mul_f64 v[2:3], v[9:10], v[15:16]
	v_cmp_eq_f64_e32 vcc_lo, 0, v[5:6]
	v_cmp_eq_f64_e64 s0, 0, v[7:8]
	v_fma_f64 v[0:1], v[9:10], v[13:14], v[0:1]
	s_delay_alu instid0(VALU_DEP_4) | instskip(NEXT) | instid1(VALU_DEP_3)
	v_fma_f64 v[2:3], v[11:12], v[13:14], v[2:3]
	s_and_b32 s0, vcc_lo, s0
	s_delay_alu instid0(SALU_CYCLE_1) | instskip(NEXT) | instid1(SALU_CYCLE_1)
	s_and_saveexec_b32 s1, s0
	s_xor_b32 s0, exec_lo, s1
	s_cbranch_execz .LBB446_41
; %bb.40:
	v_mad_u64_u32 v[5:6], null, s12, 31, v[4:5]
	v_mov_b32_e32 v6, 0
                                        ; implicit-def: $vgpr7_vgpr8
	s_delay_alu instid0(VALU_DEP_1) | instskip(NEXT) | instid1(VALU_DEP_1)
	v_lshlrev_b64 v[4:5], 4, v[5:6]
	v_add_co_u32 v4, vcc_lo, s4, v4
	s_delay_alu instid0(VALU_DEP_2)
	v_add_co_ci_u32_e32 v5, vcc_lo, s5, v5, vcc_lo
	global_store_b128 v[4:5], v[0:3], off
                                        ; implicit-def: $vgpr4
                                        ; implicit-def: $vgpr5_vgpr6
                                        ; implicit-def: $vgpr0_vgpr1
.LBB446_41:
	s_and_not1_saveexec_b32 s0, s0
	s_cbranch_execz .LBB446_43
; %bb.42:
	v_mad_u64_u32 v[9:10], null, s12, 31, v[4:5]
	v_mov_b32_e32 v10, 0
	s_delay_alu instid0(VALU_DEP_1) | instskip(NEXT) | instid1(VALU_DEP_1)
	v_lshlrev_b64 v[9:10], 4, v[9:10]
	v_add_co_u32 v13, vcc_lo, s4, v9
	s_delay_alu instid0(VALU_DEP_2) | instskip(SKIP_4) | instid1(VALU_DEP_2)
	v_add_co_ci_u32_e32 v14, vcc_lo, s5, v10, vcc_lo
	global_load_b128 v[9:12], v[13:14], off
	s_waitcnt vmcnt(0)
	v_fma_f64 v[0:1], v[5:6], v[9:10], v[0:1]
	v_fma_f64 v[2:3], v[7:8], v[9:10], v[2:3]
	v_fma_f64 v[0:1], -v[7:8], v[11:12], v[0:1]
	s_delay_alu instid0(VALU_DEP_2)
	v_fma_f64 v[2:3], v[5:6], v[11:12], v[2:3]
	global_store_b128 v[13:14], v[0:3], off
.LBB446_43:
	s_nop 0
	s_sendmsg sendmsg(MSG_DEALLOC_VGPRS)
	s_endpgm
	.section	.rodata,"a",@progbits
	.p2align	6, 0x0
	.amdhsa_kernel _ZN9rocsparseL20bsrxmvn_17_32_kernelILj31E21rocsparse_complex_numIdEiidS2_S2_EEvT2_20rocsparse_direction_NS_24const_host_device_scalarIT0_EES3_PKS3_PKT1_SC_S9_PKT3_PKT4_S7_PT5_21rocsparse_index_base_b
		.amdhsa_group_segment_fixed_size 30752
		.amdhsa_private_segment_fixed_size 0
		.amdhsa_kernarg_size 112
		.amdhsa_user_sgpr_count 15
		.amdhsa_user_sgpr_dispatch_ptr 1
		.amdhsa_user_sgpr_queue_ptr 0
		.amdhsa_user_sgpr_kernarg_segment_ptr 1
		.amdhsa_user_sgpr_dispatch_id 0
		.amdhsa_user_sgpr_private_segment_size 0
		.amdhsa_wavefront_size32 1
		.amdhsa_uses_dynamic_stack 0
		.amdhsa_enable_private_segment 0
		.amdhsa_system_sgpr_workgroup_id_x 1
		.amdhsa_system_sgpr_workgroup_id_y 0
		.amdhsa_system_sgpr_workgroup_id_z 0
		.amdhsa_system_sgpr_workgroup_info 0
		.amdhsa_system_vgpr_workitem_id 2
		.amdhsa_next_free_vgpr 26
		.amdhsa_next_free_sgpr 20
		.amdhsa_reserve_vcc 1
		.amdhsa_float_round_mode_32 0
		.amdhsa_float_round_mode_16_64 0
		.amdhsa_float_denorm_mode_32 3
		.amdhsa_float_denorm_mode_16_64 3
		.amdhsa_dx10_clamp 1
		.amdhsa_ieee_mode 1
		.amdhsa_fp16_overflow 0
		.amdhsa_workgroup_processor_mode 1
		.amdhsa_memory_ordered 1
		.amdhsa_forward_progress 0
		.amdhsa_shared_vgpr_count 0
		.amdhsa_exception_fp_ieee_invalid_op 0
		.amdhsa_exception_fp_denorm_src 0
		.amdhsa_exception_fp_ieee_div_zero 0
		.amdhsa_exception_fp_ieee_overflow 0
		.amdhsa_exception_fp_ieee_underflow 0
		.amdhsa_exception_fp_ieee_inexact 0
		.amdhsa_exception_int_div_zero 0
	.end_amdhsa_kernel
	.section	.text._ZN9rocsparseL20bsrxmvn_17_32_kernelILj31E21rocsparse_complex_numIdEiidS2_S2_EEvT2_20rocsparse_direction_NS_24const_host_device_scalarIT0_EES3_PKS3_PKT1_SC_S9_PKT3_PKT4_S7_PT5_21rocsparse_index_base_b,"axG",@progbits,_ZN9rocsparseL20bsrxmvn_17_32_kernelILj31E21rocsparse_complex_numIdEiidS2_S2_EEvT2_20rocsparse_direction_NS_24const_host_device_scalarIT0_EES3_PKS3_PKT1_SC_S9_PKT3_PKT4_S7_PT5_21rocsparse_index_base_b,comdat
.Lfunc_end446:
	.size	_ZN9rocsparseL20bsrxmvn_17_32_kernelILj31E21rocsparse_complex_numIdEiidS2_S2_EEvT2_20rocsparse_direction_NS_24const_host_device_scalarIT0_EES3_PKS3_PKT1_SC_S9_PKT3_PKT4_S7_PT5_21rocsparse_index_base_b, .Lfunc_end446-_ZN9rocsparseL20bsrxmvn_17_32_kernelILj31E21rocsparse_complex_numIdEiidS2_S2_EEvT2_20rocsparse_direction_NS_24const_host_device_scalarIT0_EES3_PKS3_PKT1_SC_S9_PKT3_PKT4_S7_PT5_21rocsparse_index_base_b
                                        ; -- End function
	.section	.AMDGPU.csdata,"",@progbits
; Kernel info:
; codeLenInByte = 2000
; NumSgprs: 22
; NumVgprs: 26
; ScratchSize: 0
; MemoryBound: 0
; FloatMode: 240
; IeeeMode: 1
; LDSByteSize: 30752 bytes/workgroup (compile time only)
; SGPRBlocks: 2
; VGPRBlocks: 3
; NumSGPRsForWavesPerEU: 22
; NumVGPRsForWavesPerEU: 26
; Occupancy: 16
; WaveLimiterHint : 1
; COMPUTE_PGM_RSRC2:SCRATCH_EN: 0
; COMPUTE_PGM_RSRC2:USER_SGPR: 15
; COMPUTE_PGM_RSRC2:TRAP_HANDLER: 0
; COMPUTE_PGM_RSRC2:TGID_X_EN: 1
; COMPUTE_PGM_RSRC2:TGID_Y_EN: 0
; COMPUTE_PGM_RSRC2:TGID_Z_EN: 0
; COMPUTE_PGM_RSRC2:TIDIG_COMP_CNT: 2
	.section	.text._ZN9rocsparseL20bsrxmvn_17_32_kernelILj32E21rocsparse_complex_numIdEiidS2_S2_EEvT2_20rocsparse_direction_NS_24const_host_device_scalarIT0_EES3_PKS3_PKT1_SC_S9_PKT3_PKT4_S7_PT5_21rocsparse_index_base_b,"axG",@progbits,_ZN9rocsparseL20bsrxmvn_17_32_kernelILj32E21rocsparse_complex_numIdEiidS2_S2_EEvT2_20rocsparse_direction_NS_24const_host_device_scalarIT0_EES3_PKS3_PKT1_SC_S9_PKT3_PKT4_S7_PT5_21rocsparse_index_base_b,comdat
	.globl	_ZN9rocsparseL20bsrxmvn_17_32_kernelILj32E21rocsparse_complex_numIdEiidS2_S2_EEvT2_20rocsparse_direction_NS_24const_host_device_scalarIT0_EES3_PKS3_PKT1_SC_S9_PKT3_PKT4_S7_PT5_21rocsparse_index_base_b ; -- Begin function _ZN9rocsparseL20bsrxmvn_17_32_kernelILj32E21rocsparse_complex_numIdEiidS2_S2_EEvT2_20rocsparse_direction_NS_24const_host_device_scalarIT0_EES3_PKS3_PKT1_SC_S9_PKT3_PKT4_S7_PT5_21rocsparse_index_base_b
	.p2align	8
	.type	_ZN9rocsparseL20bsrxmvn_17_32_kernelILj32E21rocsparse_complex_numIdEiidS2_S2_EEvT2_20rocsparse_direction_NS_24const_host_device_scalarIT0_EES3_PKS3_PKT1_SC_S9_PKT3_PKT4_S7_PT5_21rocsparse_index_base_b,@function
_ZN9rocsparseL20bsrxmvn_17_32_kernelILj32E21rocsparse_complex_numIdEiidS2_S2_EEvT2_20rocsparse_direction_NS_24const_host_device_scalarIT0_EES3_PKS3_PKT1_SC_S9_PKT3_PKT4_S7_PT5_21rocsparse_index_base_b: ; @_ZN9rocsparseL20bsrxmvn_17_32_kernelILj32E21rocsparse_complex_numIdEiidS2_S2_EEvT2_20rocsparse_direction_NS_24const_host_device_scalarIT0_EES3_PKS3_PKT1_SC_S9_PKT3_PKT4_S7_PT5_21rocsparse_index_base_b
; %bb.0:
	s_mov_b32 s12, s15
	s_clause 0x1
	s_load_b64 s[14:15], s[2:3], 0x68
	s_load_b128 s[4:7], s[2:3], 0x8
	s_load_b64 s[16:17], s[0:1], 0x4
	s_mov_b64 s[0:1], src_shared_base
	v_and_b32_e32 v16, 0x3ff, v0
	s_load_b128 s[8:11], s[2:3], 0x50
	v_bfe_u32 v2, v0, 10, 10
	v_bfe_u32 v0, v0, 20, 10
	s_waitcnt lgkmcnt(0)
	s_bitcmp1_b32 s15, 0
	v_mov_b32_e32 v11, s7
	s_cselect_b32 s0, -1, 0
	v_mov_b32_e32 v10, s6
	s_and_b32 vcc_lo, s0, exec_lo
	s_cselect_b32 s13, s1, s5
	s_lshr_b32 s15, s16, 16
	s_xor_b32 s6, s0, -1
	s_mul_i32 s15, s15, s17
	v_mov_b32_e32 v5, s13
	v_mul_lo_u32 v1, s15, v16
	s_delay_alu instid0(VALU_DEP_1) | instskip(SKIP_1) | instid1(VALU_DEP_2)
	v_mad_u32_u24 v1, v2, s17, v1
	v_dual_mov_b32 v2, s8 :: v_dual_mov_b32 v3, s9
	v_add_lshl_u32 v6, v1, v0, 3
	v_dual_mov_b32 v0, s4 :: v_dual_mov_b32 v1, s5
	s_delay_alu instid0(VALU_DEP_2)
	v_add_nc_u32_e32 v4, 0x6000, v6
	ds_store_2addr_stride64_b64 v6, v[2:3], v[0:1] offset0:32 offset1:48
	v_add_nc_u32_e32 v0, 0x4000, v6
	v_cndmask_b32_e64 v4, s4, v4, s0
	flat_load_b64 v[8:9], v[4:5]
	s_cbranch_vccnz .LBB447_2
; %bb.1:
	v_dual_mov_b32 v1, s4 :: v_dual_mov_b32 v2, s5
	flat_load_b64 v[10:11], v[1:2] offset:8
.LBB447_2:
	s_and_b32 s4, s0, exec_lo
	s_cselect_b32 s1, s1, s9
	v_cndmask_b32_e64 v0, s8, v0, s0
	v_dual_mov_b32 v1, s1 :: v_dual_mov_b32 v6, s10
	v_mov_b32_e32 v7, s11
	s_and_not1_b32 vcc_lo, exec_lo, s6
	flat_load_b64 v[4:5], v[0:1]
	s_cbranch_vccnz .LBB447_4
; %bb.3:
	v_dual_mov_b32 v0, s8 :: v_dual_mov_b32 v1, s9
	flat_load_b64 v[6:7], v[0:1] offset:8
.LBB447_4:
	s_waitcnt vmcnt(1) lgkmcnt(1)
	v_cmp_eq_f64_e32 vcc_lo, 0, v[8:9]
	v_cmp_eq_f64_e64 s0, 0, v[10:11]
	s_delay_alu instid0(VALU_DEP_1)
	s_and_b32 s4, vcc_lo, s0
	s_mov_b32 s0, -1
	s_and_saveexec_b32 s1, s4
	s_cbranch_execz .LBB447_6
; %bb.5:
	s_waitcnt vmcnt(0) lgkmcnt(0)
	v_cmp_neq_f64_e32 vcc_lo, 1.0, v[4:5]
	v_cmp_neq_f64_e64 s0, 0, v[6:7]
	s_delay_alu instid0(VALU_DEP_1) | instskip(NEXT) | instid1(SALU_CYCLE_1)
	s_or_b32 s0, vcc_lo, s0
	s_or_not1_b32 s0, s0, exec_lo
.LBB447_6:
	s_or_b32 exec_lo, exec_lo, s1
	s_and_saveexec_b32 s1, s0
	s_cbranch_execz .LBB447_41
; %bb.7:
	s_clause 0x1
	s_load_b128 s[4:7], s[2:3], 0x20
	s_load_b64 s[0:1], s[2:3], 0x30
	s_waitcnt lgkmcnt(0)
	s_cmp_eq_u64 s[4:5], 0
	s_cbranch_scc1 .LBB447_9
; %bb.8:
	s_ashr_i32 s13, s12, 31
	s_delay_alu instid0(SALU_CYCLE_1) | instskip(NEXT) | instid1(SALU_CYCLE_1)
	s_lshl_b64 s[8:9], s[12:13], 2
	s_add_u32 s4, s4, s8
	s_addc_u32 s5, s5, s9
	s_load_b32 s4, s[4:5], 0x0
	s_waitcnt lgkmcnt(0)
	s_sub_i32 s12, s4, s14
.LBB447_9:
	s_load_b32 s4, s[2:3], 0x4
	v_mov_b32_e32 v2, 0
	v_dual_mov_b32 v3, 0 :: v_dual_and_b32 v14, 31, v16
	s_delay_alu instid0(VALU_DEP_1)
	v_dual_mov_b32 v0, v2 :: v_dual_mov_b32 v1, v3
	s_waitcnt lgkmcnt(0)
	s_cmp_eq_u32 s4, 1
	s_cselect_b32 vcc_lo, -1, 0
	s_cmp_lg_u32 s4, 1
	s_cselect_b32 s8, -1, 0
	s_ashr_i32 s13, s12, 31
	s_delay_alu instid0(SALU_CYCLE_1) | instskip(NEXT) | instid1(SALU_CYCLE_1)
	s_lshl_b64 s[4:5], s[12:13], 2
	s_add_u32 s6, s6, s4
	s_addc_u32 s7, s7, s5
	s_add_u32 s9, s6, 4
	s_addc_u32 s10, s7, 0
	;; [unrolled: 2-line block ×3, first 2 shown]
	s_cmp_eq_u64 s[0:1], 0
	s_cselect_b32 s1, s10, s5
	s_cselect_b32 s0, s9, s4
	s_load_b32 s7, s[6:7], 0x0
	s_load_b32 s6, s[0:1], 0x0
	s_load_b64 s[4:5], s[2:3], 0x60
	s_waitcnt lgkmcnt(0)
	s_cmp_ge_i32 s7, s6
	s_cbranch_scc1 .LBB447_12
; %bb.10:
	s_clause 0x1
	s_load_b128 s[16:19], s[2:3], 0x38
	s_load_b64 s[0:1], s[2:3], 0x48
	s_sub_i32 s2, s7, s14
	v_lshrrev_b32_e32 v0, 5, v16
	s_ashr_i32 s3, s2, 31
	s_delay_alu instid0(SALU_CYCLE_1) | instskip(NEXT) | instid1(SALU_CYCLE_1)
	s_lshl_b64 s[10:11], s[2:3], 13
	v_dual_mov_b32 v2, 0 :: v_dual_mov_b32 v13, s11
	v_lshl_or_b32 v1, v16, 3, s10
	v_mov_b32_e32 v3, 0
	v_cndmask_b32_e32 v15, v14, v0, vcc_lo
	s_lshl_b64 s[20:21], s[2:3], 2
	s_sub_i32 s3, s6, s14
	s_waitcnt lgkmcnt(0)
	v_add_co_u32 v12, vcc_lo, s18, v1
	v_add_co_ci_u32_e32 v13, vcc_lo, s19, v13, vcc_lo
	v_dual_mov_b32 v0, v2 :: v_dual_mov_b32 v1, v3
	s_add_u32 s6, s16, s20
	s_addc_u32 s7, s17, s21
	s_set_inst_prefetch_distance 0x1
	.p2align	6
.LBB447_11:                             ; =>This Inner Loop Header: Depth=1
	s_load_b32 s9, s[6:7], 0x0
	s_add_i32 s2, s2, 1
	s_waitcnt lgkmcnt(0)
	s_sub_i32 s9, s9, s14
	s_add_u32 s6, s6, 4
	v_lshl_or_b32 v17, s9, 5, v15
	s_addc_u32 s7, s7, 0
	s_cmp_lt_i32 s2, s3
	s_delay_alu instid0(VALU_DEP_1) | instskip(NEXT) | instid1(VALU_DEP_1)
	v_ashrrev_i32_e32 v18, 31, v17
	v_lshlrev_b64 v[17:18], 4, v[17:18]
	s_delay_alu instid0(VALU_DEP_1) | instskip(NEXT) | instid1(VALU_DEP_2)
	v_add_co_u32 v17, vcc_lo, s0, v17
	v_add_co_ci_u32_e32 v18, vcc_lo, s1, v18, vcc_lo
	global_load_b64 v[21:22], v[12:13], off
	global_load_b128 v[17:20], v[17:18], off
	v_add_co_u32 v12, vcc_lo, 0x2000, v12
	v_add_co_ci_u32_e32 v13, vcc_lo, 0, v13, vcc_lo
	s_waitcnt vmcnt(0)
	v_fma_f64 v[0:1], v[21:22], v[17:18], v[0:1]
	v_fma_f64 v[2:3], v[17:18], 0, v[2:3]
	s_delay_alu instid0(VALU_DEP_2) | instskip(NEXT) | instid1(VALU_DEP_2)
	v_fma_f64 v[0:1], 0x80000000, v[19:20], v[0:1]
	v_fma_f64 v[2:3], v[21:22], v[19:20], v[2:3]
	s_cbranch_scc1 .LBB447_11
.LBB447_12:
	s_set_inst_prefetch_distance 0x2
	v_lshlrev_b32_e32 v17, 4, v16
	s_and_b32 vcc_lo, exec_lo, s8
	ds_store_b128 v17, v[0:3]
	s_waitcnt vmcnt(0) lgkmcnt(0)
	s_barrier
	buffer_gl0_inv
	s_cbranch_vccz .LBB447_24
; %bb.13:
	s_mov_b32 s0, exec_lo
	v_cmpx_gt_u32_e32 16, v14
	s_cbranch_execz .LBB447_15
; %bb.14:
	ds_load_b128 v[18:21], v17 offset:256
	ds_load_b128 v[22:25], v17
	s_waitcnt lgkmcnt(0)
	v_add_f64 v[18:19], v[18:19], v[22:23]
	v_add_f64 v[20:21], v[20:21], v[24:25]
	ds_store_b128 v17, v[18:21]
.LBB447_15:
	s_or_b32 exec_lo, exec_lo, s0
	s_delay_alu instid0(SALU_CYCLE_1)
	s_mov_b32 s0, exec_lo
	s_waitcnt lgkmcnt(0)
	s_barrier
	buffer_gl0_inv
	v_cmpx_gt_u32_e32 8, v14
	s_cbranch_execz .LBB447_17
; %bb.16:
	ds_load_b128 v[18:21], v17 offset:128
	ds_load_b128 v[22:25], v17
	s_waitcnt lgkmcnt(0)
	v_add_f64 v[18:19], v[18:19], v[22:23]
	v_add_f64 v[20:21], v[20:21], v[24:25]
	ds_store_b128 v17, v[18:21]
.LBB447_17:
	s_or_b32 exec_lo, exec_lo, s0
	s_delay_alu instid0(SALU_CYCLE_1)
	s_mov_b32 s0, exec_lo
	s_waitcnt lgkmcnt(0)
	s_barrier
	buffer_gl0_inv
	;; [unrolled: 16-line block ×3, first 2 shown]
	v_cmpx_gt_u32_e32 2, v14
	s_cbranch_execz .LBB447_21
; %bb.20:
	ds_load_b128 v[12:15], v17
	ds_load_b128 v[18:21], v17 offset:32
	s_waitcnt lgkmcnt(0)
	v_add_f64 v[12:13], v[18:19], v[12:13]
	v_add_f64 v[14:15], v[20:21], v[14:15]
	ds_store_b128 v17, v[12:15]
.LBB447_21:
	s_or_b32 exec_lo, exec_lo, s0
	v_dual_mov_b32 v15, v3 :: v_dual_mov_b32 v14, v2
	v_dual_mov_b32 v13, v1 :: v_dual_mov_b32 v12, v0
	s_mov_b32 s0, exec_lo
	s_waitcnt lgkmcnt(0)
	s_barrier
	buffer_gl0_inv
	v_cmpx_gt_u32_e32 32, v16
	s_cbranch_execz .LBB447_23
; %bb.22:
	v_mad_u32_u24 v18, 0x1f0, v16, v17
	ds_load_b128 v[12:15], v18
	ds_load_b128 v[18:21], v18 offset:16
	s_waitcnt lgkmcnt(0)
	v_add_f64 v[12:13], v[18:19], v[12:13]
	v_add_f64 v[14:15], v[20:21], v[14:15]
.LBB447_23:
	s_or_b32 exec_lo, exec_lo, s0
	s_branch .LBB447_36
.LBB447_24:
                                        ; implicit-def: $vgpr14_vgpr15
                                        ; implicit-def: $vgpr12_vgpr13
	s_cbranch_execz .LBB447_36
; %bb.25:
	s_mov_b32 s0, exec_lo
	v_cmpx_gt_u32_e32 0x200, v16
	s_cbranch_execz .LBB447_27
; %bb.26:
	ds_load_b128 v[12:15], v17 offset:8192
	ds_load_b128 v[18:21], v17
	s_waitcnt lgkmcnt(0)
	v_add_f64 v[12:13], v[12:13], v[18:19]
	v_add_f64 v[14:15], v[14:15], v[20:21]
	ds_store_b128 v17, v[12:15]
.LBB447_27:
	s_or_b32 exec_lo, exec_lo, s0
	s_delay_alu instid0(SALU_CYCLE_1)
	s_mov_b32 s0, exec_lo
	s_waitcnt lgkmcnt(0)
	s_barrier
	buffer_gl0_inv
	v_cmpx_gt_u32_e32 0x100, v16
	s_cbranch_execz .LBB447_29
; %bb.28:
	ds_load_b128 v[12:15], v17 offset:4096
	ds_load_b128 v[18:21], v17
	s_waitcnt lgkmcnt(0)
	v_add_f64 v[12:13], v[12:13], v[18:19]
	v_add_f64 v[14:15], v[14:15], v[20:21]
	ds_store_b128 v17, v[12:15]
.LBB447_29:
	s_or_b32 exec_lo, exec_lo, s0
	s_delay_alu instid0(SALU_CYCLE_1)
	s_mov_b32 s0, exec_lo
	s_waitcnt lgkmcnt(0)
	s_barrier
	buffer_gl0_inv
	;; [unrolled: 16-line block ×3, first 2 shown]
	v_cmpx_gt_u32_e32 64, v16
	s_cbranch_execz .LBB447_33
; %bb.32:
	ds_load_b128 v[12:15], v17 offset:1024
	ds_load_b128 v[18:21], v17
	s_waitcnt lgkmcnt(0)
	v_add_f64 v[12:13], v[12:13], v[18:19]
	v_add_f64 v[14:15], v[14:15], v[20:21]
	ds_store_b128 v17, v[12:15]
.LBB447_33:
	s_or_b32 exec_lo, exec_lo, s0
	s_delay_alu instid0(SALU_CYCLE_1)
	s_mov_b32 s0, exec_lo
	s_waitcnt lgkmcnt(0)
	buffer_gl0_inv
	v_cmpx_gt_u32_e32 32, v16
	s_cbranch_execz .LBB447_35
; %bb.34:
	ds_load_b128 v[0:3], v17 offset:512
	ds_load_b128 v[12:15], v17
	s_waitcnt lgkmcnt(0)
	v_add_f64 v[0:1], v[0:1], v[12:13]
	v_add_f64 v[2:3], v[2:3], v[14:15]
.LBB447_35:
	s_or_b32 exec_lo, exec_lo, s0
	s_delay_alu instid0(VALU_DEP_1) | instskip(NEXT) | instid1(VALU_DEP_3)
	v_dual_mov_b32 v15, v3 :: v_dual_mov_b32 v14, v2
	v_dual_mov_b32 v13, v1 :: v_dual_mov_b32 v12, v0
.LBB447_36:
	v_cmp_gt_u32_e32 vcc_lo, 32, v16
	s_and_b32 exec_lo, exec_lo, vcc_lo
	s_cbranch_execz .LBB447_41
; %bb.37:
	s_delay_alu instid0(VALU_DEP_2) | instskip(SKIP_3) | instid1(VALU_DEP_4)
	v_mul_f64 v[0:1], v[14:15], -v[10:11]
	v_mul_f64 v[2:3], v[8:9], v[14:15]
	v_cmp_eq_f64_e32 vcc_lo, 0, v[4:5]
	v_cmp_eq_f64_e64 s0, 0, v[6:7]
	v_fma_f64 v[0:1], v[8:9], v[12:13], v[0:1]
	s_delay_alu instid0(VALU_DEP_4) | instskip(SKIP_1) | instid1(VALU_DEP_4)
	v_fma_f64 v[2:3], v[10:11], v[12:13], v[2:3]
	v_lshl_or_b32 v8, s12, 5, v16
	s_and_b32 s0, vcc_lo, s0
	s_delay_alu instid0(SALU_CYCLE_1) | instskip(NEXT) | instid1(SALU_CYCLE_1)
	s_and_saveexec_b32 s1, s0
	s_xor_b32 s0, exec_lo, s1
	s_cbranch_execz .LBB447_39
; %bb.38:
	v_mov_b32_e32 v9, 0
                                        ; implicit-def: $vgpr6_vgpr7
	s_delay_alu instid0(VALU_DEP_1) | instskip(NEXT) | instid1(VALU_DEP_1)
	v_lshlrev_b64 v[4:5], 4, v[8:9]
                                        ; implicit-def: $vgpr8
	v_add_co_u32 v4, vcc_lo, s4, v4
	s_delay_alu instid0(VALU_DEP_2)
	v_add_co_ci_u32_e32 v5, vcc_lo, s5, v5, vcc_lo
	global_store_b128 v[4:5], v[0:3], off
                                        ; implicit-def: $vgpr4_vgpr5
                                        ; implicit-def: $vgpr0_vgpr1
.LBB447_39:
	s_and_not1_saveexec_b32 s0, s0
	s_cbranch_execz .LBB447_41
; %bb.40:
	v_mov_b32_e32 v9, 0
	s_delay_alu instid0(VALU_DEP_1) | instskip(NEXT) | instid1(VALU_DEP_1)
	v_lshlrev_b64 v[8:9], 4, v[8:9]
	v_add_co_u32 v12, vcc_lo, s4, v8
	s_delay_alu instid0(VALU_DEP_2) | instskip(SKIP_4) | instid1(VALU_DEP_2)
	v_add_co_ci_u32_e32 v13, vcc_lo, s5, v9, vcc_lo
	global_load_b128 v[8:11], v[12:13], off
	s_waitcnt vmcnt(0)
	v_fma_f64 v[0:1], v[4:5], v[8:9], v[0:1]
	v_fma_f64 v[2:3], v[6:7], v[8:9], v[2:3]
	v_fma_f64 v[0:1], -v[6:7], v[10:11], v[0:1]
	s_delay_alu instid0(VALU_DEP_2)
	v_fma_f64 v[2:3], v[4:5], v[10:11], v[2:3]
	global_store_b128 v[12:13], v[0:3], off
.LBB447_41:
	s_nop 0
	s_sendmsg sendmsg(MSG_DEALLOC_VGPRS)
	s_endpgm
	.section	.rodata,"a",@progbits
	.p2align	6, 0x0
	.amdhsa_kernel _ZN9rocsparseL20bsrxmvn_17_32_kernelILj32E21rocsparse_complex_numIdEiidS2_S2_EEvT2_20rocsparse_direction_NS_24const_host_device_scalarIT0_EES3_PKS3_PKT1_SC_S9_PKT3_PKT4_S7_PT5_21rocsparse_index_base_b
		.amdhsa_group_segment_fixed_size 32768
		.amdhsa_private_segment_fixed_size 0
		.amdhsa_kernarg_size 112
		.amdhsa_user_sgpr_count 15
		.amdhsa_user_sgpr_dispatch_ptr 1
		.amdhsa_user_sgpr_queue_ptr 0
		.amdhsa_user_sgpr_kernarg_segment_ptr 1
		.amdhsa_user_sgpr_dispatch_id 0
		.amdhsa_user_sgpr_private_segment_size 0
		.amdhsa_wavefront_size32 1
		.amdhsa_uses_dynamic_stack 0
		.amdhsa_enable_private_segment 0
		.amdhsa_system_sgpr_workgroup_id_x 1
		.amdhsa_system_sgpr_workgroup_id_y 0
		.amdhsa_system_sgpr_workgroup_id_z 0
		.amdhsa_system_sgpr_workgroup_info 0
		.amdhsa_system_vgpr_workitem_id 2
		.amdhsa_next_free_vgpr 26
		.amdhsa_next_free_sgpr 22
		.amdhsa_reserve_vcc 1
		.amdhsa_float_round_mode_32 0
		.amdhsa_float_round_mode_16_64 0
		.amdhsa_float_denorm_mode_32 3
		.amdhsa_float_denorm_mode_16_64 3
		.amdhsa_dx10_clamp 1
		.amdhsa_ieee_mode 1
		.amdhsa_fp16_overflow 0
		.amdhsa_workgroup_processor_mode 1
		.amdhsa_memory_ordered 1
		.amdhsa_forward_progress 0
		.amdhsa_shared_vgpr_count 0
		.amdhsa_exception_fp_ieee_invalid_op 0
		.amdhsa_exception_fp_denorm_src 0
		.amdhsa_exception_fp_ieee_div_zero 0
		.amdhsa_exception_fp_ieee_overflow 0
		.amdhsa_exception_fp_ieee_underflow 0
		.amdhsa_exception_fp_ieee_inexact 0
		.amdhsa_exception_int_div_zero 0
	.end_amdhsa_kernel
	.section	.text._ZN9rocsparseL20bsrxmvn_17_32_kernelILj32E21rocsparse_complex_numIdEiidS2_S2_EEvT2_20rocsparse_direction_NS_24const_host_device_scalarIT0_EES3_PKS3_PKT1_SC_S9_PKT3_PKT4_S7_PT5_21rocsparse_index_base_b,"axG",@progbits,_ZN9rocsparseL20bsrxmvn_17_32_kernelILj32E21rocsparse_complex_numIdEiidS2_S2_EEvT2_20rocsparse_direction_NS_24const_host_device_scalarIT0_EES3_PKS3_PKT1_SC_S9_PKT3_PKT4_S7_PT5_21rocsparse_index_base_b,comdat
.Lfunc_end447:
	.size	_ZN9rocsparseL20bsrxmvn_17_32_kernelILj32E21rocsparse_complex_numIdEiidS2_S2_EEvT2_20rocsparse_direction_NS_24const_host_device_scalarIT0_EES3_PKS3_PKT1_SC_S9_PKT3_PKT4_S7_PT5_21rocsparse_index_base_b, .Lfunc_end447-_ZN9rocsparseL20bsrxmvn_17_32_kernelILj32E21rocsparse_complex_numIdEiidS2_S2_EEvT2_20rocsparse_direction_NS_24const_host_device_scalarIT0_EES3_PKS3_PKT1_SC_S9_PKT3_PKT4_S7_PT5_21rocsparse_index_base_b
                                        ; -- End function
	.section	.AMDGPU.csdata,"",@progbits
; Kernel info:
; codeLenInByte = 1904
; NumSgprs: 24
; NumVgprs: 26
; ScratchSize: 0
; MemoryBound: 0
; FloatMode: 240
; IeeeMode: 1
; LDSByteSize: 32768 bytes/workgroup (compile time only)
; SGPRBlocks: 2
; VGPRBlocks: 3
; NumSGPRsForWavesPerEU: 24
; NumVGPRsForWavesPerEU: 26
; Occupancy: 16
; WaveLimiterHint : 1
; COMPUTE_PGM_RSRC2:SCRATCH_EN: 0
; COMPUTE_PGM_RSRC2:USER_SGPR: 15
; COMPUTE_PGM_RSRC2:TRAP_HANDLER: 0
; COMPUTE_PGM_RSRC2:TGID_X_EN: 1
; COMPUTE_PGM_RSRC2:TGID_Y_EN: 0
; COMPUTE_PGM_RSRC2:TGID_Z_EN: 0
; COMPUTE_PGM_RSRC2:TIDIG_COMP_CNT: 2
	.section	.text._ZN9rocsparseL20bsrxmvn_17_32_kernelILj17E21rocsparse_complex_numIdElidS2_S2_EEvT2_20rocsparse_direction_NS_24const_host_device_scalarIT0_EES3_PKS3_PKT1_SC_S9_PKT3_PKT4_S7_PT5_21rocsparse_index_base_b,"axG",@progbits,_ZN9rocsparseL20bsrxmvn_17_32_kernelILj17E21rocsparse_complex_numIdElidS2_S2_EEvT2_20rocsparse_direction_NS_24const_host_device_scalarIT0_EES3_PKS3_PKT1_SC_S9_PKT3_PKT4_S7_PT5_21rocsparse_index_base_b,comdat
	.globl	_ZN9rocsparseL20bsrxmvn_17_32_kernelILj17E21rocsparse_complex_numIdElidS2_S2_EEvT2_20rocsparse_direction_NS_24const_host_device_scalarIT0_EES3_PKS3_PKT1_SC_S9_PKT3_PKT4_S7_PT5_21rocsparse_index_base_b ; -- Begin function _ZN9rocsparseL20bsrxmvn_17_32_kernelILj17E21rocsparse_complex_numIdElidS2_S2_EEvT2_20rocsparse_direction_NS_24const_host_device_scalarIT0_EES3_PKS3_PKT1_SC_S9_PKT3_PKT4_S7_PT5_21rocsparse_index_base_b
	.p2align	8
	.type	_ZN9rocsparseL20bsrxmvn_17_32_kernelILj17E21rocsparse_complex_numIdElidS2_S2_EEvT2_20rocsparse_direction_NS_24const_host_device_scalarIT0_EES3_PKS3_PKT1_SC_S9_PKT3_PKT4_S7_PT5_21rocsparse_index_base_b,@function
_ZN9rocsparseL20bsrxmvn_17_32_kernelILj17E21rocsparse_complex_numIdElidS2_S2_EEvT2_20rocsparse_direction_NS_24const_host_device_scalarIT0_EES3_PKS3_PKT1_SC_S9_PKT3_PKT4_S7_PT5_21rocsparse_index_base_b: ; @_ZN9rocsparseL20bsrxmvn_17_32_kernelILj17E21rocsparse_complex_numIdElidS2_S2_EEvT2_20rocsparse_direction_NS_24const_host_device_scalarIT0_EES3_PKS3_PKT1_SC_S9_PKT3_PKT4_S7_PT5_21rocsparse_index_base_b
; %bb.0:
	s_mov_b32 s12, s15
	s_clause 0x1
	s_load_b64 s[14:15], s[2:3], 0x68
	s_load_b128 s[4:7], s[2:3], 0x8
	s_load_b64 s[16:17], s[0:1], 0x4
	s_mov_b64 s[0:1], src_shared_base
	v_and_b32_e32 v4, 0x3ff, v0
	s_load_b128 s[8:11], s[2:3], 0x50
	v_bfe_u32 v2, v0, 10, 10
	v_bfe_u32 v0, v0, 20, 10
	s_waitcnt lgkmcnt(0)
	s_bitcmp1_b32 s15, 0
	v_mov_b32_e32 v12, s7
	s_cselect_b32 s0, -1, 0
	v_mov_b32_e32 v11, s6
	s_and_b32 vcc_lo, s0, exec_lo
	s_cselect_b32 s13, s1, s5
	s_lshr_b32 s15, s16, 16
	v_mov_b32_e32 v6, s13
	s_mul_i32 s15, s15, s17
	s_xor_b32 s6, s0, -1
	v_mul_lo_u32 v1, s15, v4
	s_delay_alu instid0(VALU_DEP_1) | instskip(SKIP_1) | instid1(VALU_DEP_2)
	v_mad_u32_u24 v1, v2, s17, v1
	v_dual_mov_b32 v2, s8 :: v_dual_mov_b32 v3, s9
	v_add_lshl_u32 v7, v1, v0, 3
	v_dual_mov_b32 v0, s4 :: v_dual_mov_b32 v1, s5
	ds_store_b64 v7, v[0:1] offset:6936
	ds_store_b64 v7, v[2:3] offset:4624
	v_add_nc_u32_e32 v5, 0x1b18, v7
	v_add_nc_u32_e32 v0, 0x1210, v7
	s_delay_alu instid0(VALU_DEP_2)
	v_cndmask_b32_e64 v5, s4, v5, s0
	flat_load_b64 v[9:10], v[5:6]
	s_cbranch_vccnz .LBB448_2
; %bb.1:
	v_dual_mov_b32 v1, s4 :: v_dual_mov_b32 v2, s5
	flat_load_b64 v[11:12], v[1:2] offset:8
.LBB448_2:
	s_and_b32 s4, s0, exec_lo
	s_cselect_b32 s1, s1, s9
	v_cndmask_b32_e64 v0, s8, v0, s0
	v_mov_b32_e32 v1, s1
	v_dual_mov_b32 v7, s10 :: v_dual_mov_b32 v8, s11
	s_and_not1_b32 vcc_lo, exec_lo, s6
	flat_load_b64 v[5:6], v[0:1]
	s_cbranch_vccnz .LBB448_4
; %bb.3:
	v_dual_mov_b32 v0, s8 :: v_dual_mov_b32 v1, s9
	flat_load_b64 v[7:8], v[0:1] offset:8
.LBB448_4:
	s_waitcnt vmcnt(1) lgkmcnt(1)
	v_cmp_eq_f64_e32 vcc_lo, 0, v[9:10]
	v_cmp_eq_f64_e64 s0, 0, v[11:12]
	s_delay_alu instid0(VALU_DEP_1)
	s_and_b32 s4, vcc_lo, s0
	s_mov_b32 s0, -1
	s_and_saveexec_b32 s1, s4
	s_cbranch_execz .LBB448_6
; %bb.5:
	s_waitcnt vmcnt(0) lgkmcnt(0)
	v_cmp_neq_f64_e32 vcc_lo, 1.0, v[5:6]
	v_cmp_neq_f64_e64 s0, 0, v[7:8]
	s_delay_alu instid0(VALU_DEP_1) | instskip(NEXT) | instid1(SALU_CYCLE_1)
	s_or_b32 s0, vcc_lo, s0
	s_or_not1_b32 s0, s0, exec_lo
.LBB448_6:
	s_or_b32 exec_lo, exec_lo, s1
	s_and_saveexec_b32 s1, s0
	s_cbranch_execz .LBB448_43
; %bb.7:
	s_clause 0x1
	s_load_b128 s[4:7], s[2:3], 0x20
	s_load_b64 s[8:9], s[2:3], 0x30
	s_waitcnt lgkmcnt(0)
	s_cmp_eq_u64 s[4:5], 0
	s_cbranch_scc1 .LBB448_9
; %bb.8:
	s_ashr_i32 s13, s12, 31
	s_delay_alu instid0(SALU_CYCLE_1) | instskip(NEXT) | instid1(SALU_CYCLE_1)
	s_lshl_b64 s[0:1], s[12:13], 2
	s_add_u32 s0, s4, s0
	s_addc_u32 s1, s5, s1
	s_load_b32 s0, s[0:1], 0x0
	s_waitcnt lgkmcnt(0)
	s_sub_i32 s12, s0, s14
.LBB448_9:
	s_load_b32 s1, s[2:3], 0x4
	v_mul_u32_u24_e32 v0, 0xf10, v4
	v_mov_b32_e32 v2, 0
	v_mov_b32_e32 v3, 0
	s_delay_alu instid0(VALU_DEP_3) | instskip(NEXT) | instid1(VALU_DEP_1)
	v_lshrrev_b32_e32 v13, 16, v0
	v_mul_lo_u16 v0, v13, 17
	s_delay_alu instid0(VALU_DEP_1) | instskip(NEXT) | instid1(VALU_DEP_4)
	v_sub_nc_u16 v18, v4, v0
	v_dual_mov_b32 v0, v2 :: v_dual_mov_b32 v1, v3
	s_waitcnt lgkmcnt(0)
	s_cmp_eq_u32 s1, 1
	s_cselect_b32 s0, -1, 0
	s_cmp_lg_u32 s1, 1
	s_cselect_b32 s1, -1, 0
	s_ashr_i32 s13, s12, 31
	s_delay_alu instid0(SALU_CYCLE_1) | instskip(NEXT) | instid1(SALU_CYCLE_1)
	s_lshl_b64 s[4:5], s[12:13], 3
	s_add_u32 s6, s6, s4
	s_addc_u32 s7, s7, s5
	s_add_u32 s10, s6, 8
	s_addc_u32 s11, s7, 0
	;; [unrolled: 2-line block ×3, first 2 shown]
	s_cmp_eq_u64 s[8:9], 0
	s_load_b64 s[8:9], s[2:3], 0x60
	s_cselect_b32 s5, s11, s5
	s_cselect_b32 s4, s10, s4
	s_load_b64 s[18:19], s[6:7], 0x0
	s_load_b64 s[16:17], s[4:5], 0x0
	s_waitcnt lgkmcnt(0)
	v_cmp_ge_i64_e64 s4, s[18:19], s[16:17]
	s_delay_alu instid0(VALU_DEP_1)
	s_and_b32 vcc_lo, exec_lo, s4
	s_cbranch_vccnz .LBB448_14
; %bb.10:
	v_mul_lo_u16 v0, v13, 31
	v_and_b32_e32 v1, 0xffff, v4
	s_clause 0x1
	s_load_b64 s[10:11], s[2:3], 0x48
	s_load_b128 s[4:7], s[2:3], 0x38
	s_sub_u32 s2, s16, s14
	s_subb_u32 s3, s17, 0
	v_lshrrev_b16 v0, 9, v0
	v_mul_u32_u24_e32 v1, 0xe3, v1
	v_and_b32_e32 v2, 0xffff, v18
	s_sub_u32 s16, s18, s14
	s_subb_u32 s17, s19, 0
	v_mul_lo_u16 v0, v0, 17
	v_lshrrev_b32_e32 v19, 16, v1
	s_mul_hi_u32 s13, s16, 0x908
	s_mul_i32 s20, s17, 0x908
	s_mul_i32 s15, s16, 0x908
	v_sub_nc_u16 v0, v13, v0
	v_add_co_u32 v1, s18, s18, v19
	s_delay_alu instid0(VALU_DEP_1) | instskip(NEXT) | instid1(VALU_DEP_3)
	v_add_co_ci_u32_e64 v3, null, s19, 0, s18
	v_and_b32_e32 v0, 0xff, v0
	s_add_i32 s13, s13, s20
	s_delay_alu instid0(VALU_DEP_1) | instskip(SKIP_4) | instid1(VALU_DEP_3)
	v_cndmask_b32_e64 v13, v2, v0, s0
	v_sub_co_u32 v0, vcc_lo, v1, s14
	v_subrev_co_ci_u32_e32 v1, vcc_lo, 0, v3, vcc_lo
	v_mov_b32_e32 v2, 0
	v_dual_mov_b32 v3, 0 :: v_dual_lshlrev_b32 v14, 3, v4
	v_lshlrev_b64 v[0:1], 2, v[0:1]
	s_waitcnt lgkmcnt(0)
	s_add_u32 s0, s6, s15
	s_addc_u32 s6, s7, s13
	s_delay_alu instid0(VALU_DEP_1) | instskip(NEXT) | instid1(VALU_DEP_2)
	v_add_co_u32 v16, vcc_lo, s4, v0
	v_add_co_ci_u32_e32 v17, vcc_lo, s5, v1, vcc_lo
	v_dual_mov_b32 v0, v2 :: v_dual_mov_b32 v1, v3
	v_add_co_u32 v14, s0, s0, v14
	s_delay_alu instid0(VALU_DEP_1)
	v_add_co_ci_u32_e64 v15, null, s6, 0, s0
	s_set_inst_prefetch_distance 0x1
	s_branch .LBB448_12
	.p2align	6
.LBB448_11:                             ;   in Loop: Header=BB448_12 Depth=1
	s_or_b32 exec_lo, exec_lo, s0
	s_add_u32 s16, s16, 1
	s_addc_u32 s17, s17, 0
	v_add_co_u32 v16, vcc_lo, v16, 4
	v_cmp_lt_i64_e64 s0, s[16:17], s[2:3]
	v_add_co_ci_u32_e32 v17, vcc_lo, 0, v17, vcc_lo
	s_delay_alu instid0(VALU_DEP_2)
	s_and_b32 vcc_lo, exec_lo, s0
	s_cbranch_vccz .LBB448_14
.LBB448_12:                             ; =>This Inner Loop Header: Depth=1
	v_add_co_u32 v20, s0, v19, s16
	s_delay_alu instid0(VALU_DEP_1) | instskip(SKIP_1) | instid1(VALU_DEP_1)
	v_add_co_ci_u32_e64 v21, null, 0, s17, s0
	s_mov_b32 s0, exec_lo
	v_cmpx_gt_i64_e64 s[2:3], v[20:21]
	s_cbranch_execz .LBB448_11
; %bb.13:                               ;   in Loop: Header=BB448_12 Depth=1
	global_load_b32 v20, v[16:17], off
	s_waitcnt vmcnt(0)
	v_subrev_nc_u32_e32 v22, s14, v20
	s_delay_alu instid0(VALU_DEP_1) | instskip(NEXT) | instid1(VALU_DEP_1)
	v_mad_u64_u32 v[20:21], null, v22, 17, v[13:14]
	v_ashrrev_i32_e32 v21, 31, v20
	s_delay_alu instid0(VALU_DEP_1) | instskip(NEXT) | instid1(VALU_DEP_1)
	v_lshlrev_b64 v[20:21], 4, v[20:21]
	v_add_co_u32 v20, vcc_lo, s10, v20
	s_delay_alu instid0(VALU_DEP_2)
	v_add_co_ci_u32_e32 v21, vcc_lo, s11, v21, vcc_lo
	global_load_b64 v[24:25], v[14:15], off
	global_load_b128 v[20:23], v[20:21], off
	v_add_co_u32 v14, vcc_lo, 0x908, v14
	v_add_co_ci_u32_e32 v15, vcc_lo, 0, v15, vcc_lo
	s_waitcnt vmcnt(0)
	v_fma_f64 v[0:1], v[24:25], v[20:21], v[0:1]
	v_fma_f64 v[2:3], v[20:21], 0, v[2:3]
	s_delay_alu instid0(VALU_DEP_2) | instskip(NEXT) | instid1(VALU_DEP_2)
	v_fma_f64 v[0:1], 0x80000000, v[22:23], v[0:1]
	v_fma_f64 v[2:3], v[24:25], v[22:23], v[2:3]
	s_branch .LBB448_11
.LBB448_14:
	s_set_inst_prefetch_distance 0x2
	v_lshlrev_b32_e32 v17, 4, v4
	s_and_b32 vcc_lo, exec_lo, s1
	ds_store_b128 v17, v[0:3]
	s_waitcnt vmcnt(0) lgkmcnt(0)
	s_barrier
	buffer_gl0_inv
	s_cbranch_vccz .LBB448_26
; %bb.15:
	s_mov_b32 s0, exec_lo
	v_cmpx_eq_u16_e32 0, v18
	s_cbranch_execz .LBB448_17
; %bb.16:
	ds_load_b128 v[13:16], v17 offset:256
	ds_load_b128 v[19:22], v17
	s_waitcnt lgkmcnt(0)
	v_add_f64 v[13:14], v[13:14], v[19:20]
	v_add_f64 v[15:16], v[15:16], v[21:22]
	ds_store_b128 v17, v[13:16]
.LBB448_17:
	s_or_b32 exec_lo, exec_lo, s0
	s_delay_alu instid0(SALU_CYCLE_1)
	s_mov_b32 s0, exec_lo
	s_waitcnt lgkmcnt(0)
	s_barrier
	buffer_gl0_inv
	v_cmpx_gt_u16_e32 8, v18
	s_cbranch_execz .LBB448_19
; %bb.18:
	ds_load_b128 v[13:16], v17 offset:128
	ds_load_b128 v[19:22], v17
	s_waitcnt lgkmcnt(0)
	v_add_f64 v[13:14], v[13:14], v[19:20]
	v_add_f64 v[15:16], v[15:16], v[21:22]
	ds_store_b128 v17, v[13:16]
.LBB448_19:
	s_or_b32 exec_lo, exec_lo, s0
	s_delay_alu instid0(SALU_CYCLE_1)
	s_mov_b32 s0, exec_lo
	s_waitcnt lgkmcnt(0)
	s_barrier
	buffer_gl0_inv
	v_cmpx_gt_u16_e32 4, v18
	;; [unrolled: 16-line block ×3, first 2 shown]
	s_cbranch_execz .LBB448_23
; %bb.22:
	ds_load_b128 v[13:16], v17
	ds_load_b128 v[18:21], v17 offset:32
	s_waitcnt lgkmcnt(0)
	v_add_f64 v[13:14], v[18:19], v[13:14]
	v_add_f64 v[15:16], v[20:21], v[15:16]
	ds_store_b128 v17, v[13:16]
.LBB448_23:
	s_or_b32 exec_lo, exec_lo, s0
	v_dual_mov_b32 v16, v3 :: v_dual_mov_b32 v15, v2
	v_dual_mov_b32 v14, v1 :: v_dual_mov_b32 v13, v0
	s_mov_b32 s0, exec_lo
	s_waitcnt lgkmcnt(0)
	s_barrier
	buffer_gl0_inv
	v_cmpx_gt_u32_e32 17, v4
	s_cbranch_execz .LBB448_25
; %bb.24:
	v_mul_u32_u24_e32 v13, 17, v4
	s_delay_alu instid0(VALU_DEP_1)
	v_lshlrev_b32_e32 v18, 4, v13
	ds_load_b128 v[13:16], v18
	ds_load_b128 v[18:21], v18 offset:16
	s_waitcnt lgkmcnt(0)
	v_add_f64 v[13:14], v[18:19], v[13:14]
	v_add_f64 v[15:16], v[20:21], v[15:16]
.LBB448_25:
	s_or_b32 exec_lo, exec_lo, s0
	v_cmp_gt_u32_e64 s0, 17, v4
	s_branch .LBB448_38
.LBB448_26:
                                        ; implicit-def: $vgpr15_vgpr16
                                        ; implicit-def: $vgpr13_vgpr14
	v_cmp_gt_u32_e64 s0, 17, v4
	s_cbranch_execz .LBB448_38
; %bb.27:
	s_delay_alu instid0(VALU_DEP_1)
	s_and_saveexec_b32 s1, s0
	s_cbranch_execz .LBB448_29
; %bb.28:
	ds_load_b128 v[13:16], v17 offset:4352
	ds_load_b128 v[18:21], v17
	s_waitcnt lgkmcnt(0)
	v_add_f64 v[13:14], v[13:14], v[18:19]
	v_add_f64 v[15:16], v[15:16], v[20:21]
	ds_store_b128 v17, v[13:16]
.LBB448_29:
	s_or_b32 exec_lo, exec_lo, s1
	s_delay_alu instid0(SALU_CYCLE_1)
	s_mov_b32 s1, exec_lo
	s_waitcnt lgkmcnt(0)
	s_barrier
	buffer_gl0_inv
	v_cmpx_gt_u32_e32 0x88, v4
	s_cbranch_execz .LBB448_31
; %bb.30:
	ds_load_b128 v[13:16], v17 offset:2176
	ds_load_b128 v[18:21], v17
	s_waitcnt lgkmcnt(0)
	v_add_f64 v[13:14], v[13:14], v[18:19]
	v_add_f64 v[15:16], v[15:16], v[20:21]
	ds_store_b128 v17, v[13:16]
.LBB448_31:
	s_or_b32 exec_lo, exec_lo, s1
	s_delay_alu instid0(SALU_CYCLE_1)
	s_mov_b32 s1, exec_lo
	s_waitcnt lgkmcnt(0)
	s_barrier
	buffer_gl0_inv
	v_cmpx_gt_u32_e32 0x44, v4
	;; [unrolled: 16-line block ×3, first 2 shown]
	s_cbranch_execz .LBB448_35
; %bb.34:
	ds_load_b128 v[13:16], v17 offset:544
	ds_load_b128 v[18:21], v17
	s_waitcnt lgkmcnt(0)
	v_add_f64 v[13:14], v[13:14], v[18:19]
	v_add_f64 v[15:16], v[15:16], v[20:21]
	ds_store_b128 v17, v[13:16]
.LBB448_35:
	s_or_b32 exec_lo, exec_lo, s1
	s_waitcnt lgkmcnt(0)
	buffer_gl0_inv
	s_and_saveexec_b32 s1, s0
	s_cbranch_execz .LBB448_37
; %bb.36:
	ds_load_b128 v[0:3], v17 offset:272
	ds_load_b128 v[13:16], v17
	s_waitcnt lgkmcnt(0)
	v_add_f64 v[0:1], v[0:1], v[13:14]
	v_add_f64 v[2:3], v[2:3], v[15:16]
.LBB448_37:
	s_or_b32 exec_lo, exec_lo, s1
	s_delay_alu instid0(VALU_DEP_1) | instskip(NEXT) | instid1(VALU_DEP_3)
	v_dual_mov_b32 v16, v3 :: v_dual_mov_b32 v15, v2
	v_dual_mov_b32 v14, v1 :: v_dual_mov_b32 v13, v0
.LBB448_38:
	v_cmp_gt_u32_e32 vcc_lo, 17, v4
	s_and_b32 exec_lo, exec_lo, vcc_lo
	s_cbranch_execz .LBB448_43
; %bb.39:
	s_delay_alu instid0(VALU_DEP_3) | instskip(SKIP_3) | instid1(VALU_DEP_4)
	v_mul_f64 v[0:1], v[15:16], -v[11:12]
	v_mul_f64 v[2:3], v[9:10], v[15:16]
	v_cmp_eq_f64_e32 vcc_lo, 0, v[5:6]
	v_cmp_eq_f64_e64 s0, 0, v[7:8]
	v_fma_f64 v[0:1], v[9:10], v[13:14], v[0:1]
	s_delay_alu instid0(VALU_DEP_4) | instskip(NEXT) | instid1(VALU_DEP_3)
	v_fma_f64 v[2:3], v[11:12], v[13:14], v[2:3]
	s_and_b32 s0, vcc_lo, s0
	s_delay_alu instid0(SALU_CYCLE_1) | instskip(NEXT) | instid1(SALU_CYCLE_1)
	s_and_saveexec_b32 s1, s0
	s_xor_b32 s0, exec_lo, s1
	s_cbranch_execz .LBB448_41
; %bb.40:
	v_mad_u64_u32 v[5:6], null, s12, 17, v[4:5]
	v_mov_b32_e32 v6, 0
                                        ; implicit-def: $vgpr7_vgpr8
	s_delay_alu instid0(VALU_DEP_1) | instskip(NEXT) | instid1(VALU_DEP_1)
	v_lshlrev_b64 v[4:5], 4, v[5:6]
	v_add_co_u32 v4, vcc_lo, s8, v4
	s_delay_alu instid0(VALU_DEP_2)
	v_add_co_ci_u32_e32 v5, vcc_lo, s9, v5, vcc_lo
	global_store_b128 v[4:5], v[0:3], off
                                        ; implicit-def: $vgpr4
                                        ; implicit-def: $vgpr5_vgpr6
                                        ; implicit-def: $vgpr0_vgpr1
.LBB448_41:
	s_and_not1_saveexec_b32 s0, s0
	s_cbranch_execz .LBB448_43
; %bb.42:
	v_mad_u64_u32 v[9:10], null, s12, 17, v[4:5]
	v_mov_b32_e32 v10, 0
	s_delay_alu instid0(VALU_DEP_1) | instskip(NEXT) | instid1(VALU_DEP_1)
	v_lshlrev_b64 v[9:10], 4, v[9:10]
	v_add_co_u32 v13, vcc_lo, s8, v9
	s_delay_alu instid0(VALU_DEP_2) | instskip(SKIP_4) | instid1(VALU_DEP_2)
	v_add_co_ci_u32_e32 v14, vcc_lo, s9, v10, vcc_lo
	global_load_b128 v[9:12], v[13:14], off
	s_waitcnt vmcnt(0)
	v_fma_f64 v[0:1], v[5:6], v[9:10], v[0:1]
	v_fma_f64 v[2:3], v[7:8], v[9:10], v[2:3]
	v_fma_f64 v[0:1], -v[7:8], v[11:12], v[0:1]
	s_delay_alu instid0(VALU_DEP_2)
	v_fma_f64 v[2:3], v[5:6], v[11:12], v[2:3]
	global_store_b128 v[13:14], v[0:3], off
.LBB448_43:
	s_nop 0
	s_sendmsg sendmsg(MSG_DEALLOC_VGPRS)
	s_endpgm
	.section	.rodata,"a",@progbits
	.p2align	6, 0x0
	.amdhsa_kernel _ZN9rocsparseL20bsrxmvn_17_32_kernelILj17E21rocsparse_complex_numIdElidS2_S2_EEvT2_20rocsparse_direction_NS_24const_host_device_scalarIT0_EES3_PKS3_PKT1_SC_S9_PKT3_PKT4_S7_PT5_21rocsparse_index_base_b
		.amdhsa_group_segment_fixed_size 9248
		.amdhsa_private_segment_fixed_size 0
		.amdhsa_kernarg_size 112
		.amdhsa_user_sgpr_count 15
		.amdhsa_user_sgpr_dispatch_ptr 1
		.amdhsa_user_sgpr_queue_ptr 0
		.amdhsa_user_sgpr_kernarg_segment_ptr 1
		.amdhsa_user_sgpr_dispatch_id 0
		.amdhsa_user_sgpr_private_segment_size 0
		.amdhsa_wavefront_size32 1
		.amdhsa_uses_dynamic_stack 0
		.amdhsa_enable_private_segment 0
		.amdhsa_system_sgpr_workgroup_id_x 1
		.amdhsa_system_sgpr_workgroup_id_y 0
		.amdhsa_system_sgpr_workgroup_id_z 0
		.amdhsa_system_sgpr_workgroup_info 0
		.amdhsa_system_vgpr_workitem_id 2
		.amdhsa_next_free_vgpr 26
		.amdhsa_next_free_sgpr 21
		.amdhsa_reserve_vcc 1
		.amdhsa_float_round_mode_32 0
		.amdhsa_float_round_mode_16_64 0
		.amdhsa_float_denorm_mode_32 3
		.amdhsa_float_denorm_mode_16_64 3
		.amdhsa_dx10_clamp 1
		.amdhsa_ieee_mode 1
		.amdhsa_fp16_overflow 0
		.amdhsa_workgroup_processor_mode 1
		.amdhsa_memory_ordered 1
		.amdhsa_forward_progress 0
		.amdhsa_shared_vgpr_count 0
		.amdhsa_exception_fp_ieee_invalid_op 0
		.amdhsa_exception_fp_denorm_src 0
		.amdhsa_exception_fp_ieee_div_zero 0
		.amdhsa_exception_fp_ieee_overflow 0
		.amdhsa_exception_fp_ieee_underflow 0
		.amdhsa_exception_fp_ieee_inexact 0
		.amdhsa_exception_int_div_zero 0
	.end_amdhsa_kernel
	.section	.text._ZN9rocsparseL20bsrxmvn_17_32_kernelILj17E21rocsparse_complex_numIdElidS2_S2_EEvT2_20rocsparse_direction_NS_24const_host_device_scalarIT0_EES3_PKS3_PKT1_SC_S9_PKT3_PKT4_S7_PT5_21rocsparse_index_base_b,"axG",@progbits,_ZN9rocsparseL20bsrxmvn_17_32_kernelILj17E21rocsparse_complex_numIdElidS2_S2_EEvT2_20rocsparse_direction_NS_24const_host_device_scalarIT0_EES3_PKS3_PKT1_SC_S9_PKT3_PKT4_S7_PT5_21rocsparse_index_base_b,comdat
.Lfunc_end448:
	.size	_ZN9rocsparseL20bsrxmvn_17_32_kernelILj17E21rocsparse_complex_numIdElidS2_S2_EEvT2_20rocsparse_direction_NS_24const_host_device_scalarIT0_EES3_PKS3_PKT1_SC_S9_PKT3_PKT4_S7_PT5_21rocsparse_index_base_b, .Lfunc_end448-_ZN9rocsparseL20bsrxmvn_17_32_kernelILj17E21rocsparse_complex_numIdElidS2_S2_EEvT2_20rocsparse_direction_NS_24const_host_device_scalarIT0_EES3_PKS3_PKT1_SC_S9_PKT3_PKT4_S7_PT5_21rocsparse_index_base_b
                                        ; -- End function
	.section	.AMDGPU.csdata,"",@progbits
; Kernel info:
; codeLenInByte = 2184
; NumSgprs: 23
; NumVgprs: 26
; ScratchSize: 0
; MemoryBound: 0
; FloatMode: 240
; IeeeMode: 1
; LDSByteSize: 9248 bytes/workgroup (compile time only)
; SGPRBlocks: 2
; VGPRBlocks: 3
; NumSGPRsForWavesPerEU: 23
; NumVGPRsForWavesPerEU: 26
; Occupancy: 15
; WaveLimiterHint : 1
; COMPUTE_PGM_RSRC2:SCRATCH_EN: 0
; COMPUTE_PGM_RSRC2:USER_SGPR: 15
; COMPUTE_PGM_RSRC2:TRAP_HANDLER: 0
; COMPUTE_PGM_RSRC2:TGID_X_EN: 1
; COMPUTE_PGM_RSRC2:TGID_Y_EN: 0
; COMPUTE_PGM_RSRC2:TGID_Z_EN: 0
; COMPUTE_PGM_RSRC2:TIDIG_COMP_CNT: 2
	.section	.text._ZN9rocsparseL20bsrxmvn_17_32_kernelILj18E21rocsparse_complex_numIdElidS2_S2_EEvT2_20rocsparse_direction_NS_24const_host_device_scalarIT0_EES3_PKS3_PKT1_SC_S9_PKT3_PKT4_S7_PT5_21rocsparse_index_base_b,"axG",@progbits,_ZN9rocsparseL20bsrxmvn_17_32_kernelILj18E21rocsparse_complex_numIdElidS2_S2_EEvT2_20rocsparse_direction_NS_24const_host_device_scalarIT0_EES3_PKS3_PKT1_SC_S9_PKT3_PKT4_S7_PT5_21rocsparse_index_base_b,comdat
	.globl	_ZN9rocsparseL20bsrxmvn_17_32_kernelILj18E21rocsparse_complex_numIdElidS2_S2_EEvT2_20rocsparse_direction_NS_24const_host_device_scalarIT0_EES3_PKS3_PKT1_SC_S9_PKT3_PKT4_S7_PT5_21rocsparse_index_base_b ; -- Begin function _ZN9rocsparseL20bsrxmvn_17_32_kernelILj18E21rocsparse_complex_numIdElidS2_S2_EEvT2_20rocsparse_direction_NS_24const_host_device_scalarIT0_EES3_PKS3_PKT1_SC_S9_PKT3_PKT4_S7_PT5_21rocsparse_index_base_b
	.p2align	8
	.type	_ZN9rocsparseL20bsrxmvn_17_32_kernelILj18E21rocsparse_complex_numIdElidS2_S2_EEvT2_20rocsparse_direction_NS_24const_host_device_scalarIT0_EES3_PKS3_PKT1_SC_S9_PKT3_PKT4_S7_PT5_21rocsparse_index_base_b,@function
_ZN9rocsparseL20bsrxmvn_17_32_kernelILj18E21rocsparse_complex_numIdElidS2_S2_EEvT2_20rocsparse_direction_NS_24const_host_device_scalarIT0_EES3_PKS3_PKT1_SC_S9_PKT3_PKT4_S7_PT5_21rocsparse_index_base_b: ; @_ZN9rocsparseL20bsrxmvn_17_32_kernelILj18E21rocsparse_complex_numIdElidS2_S2_EEvT2_20rocsparse_direction_NS_24const_host_device_scalarIT0_EES3_PKS3_PKT1_SC_S9_PKT3_PKT4_S7_PT5_21rocsparse_index_base_b
; %bb.0:
	s_mov_b32 s12, s15
	s_clause 0x1
	s_load_b64 s[14:15], s[2:3], 0x68
	s_load_b128 s[4:7], s[2:3], 0x8
	s_load_b64 s[16:17], s[0:1], 0x4
	s_mov_b64 s[0:1], src_shared_base
	v_and_b32_e32 v4, 0x3ff, v0
	s_load_b128 s[8:11], s[2:3], 0x50
	v_bfe_u32 v2, v0, 10, 10
	v_bfe_u32 v0, v0, 20, 10
	s_waitcnt lgkmcnt(0)
	s_bitcmp1_b32 s15, 0
	v_mov_b32_e32 v12, s7
	s_cselect_b32 s0, -1, 0
	v_mov_b32_e32 v11, s6
	s_and_b32 vcc_lo, s0, exec_lo
	s_cselect_b32 s13, s1, s5
	s_lshr_b32 s15, s16, 16
	v_mov_b32_e32 v6, s13
	s_mul_i32 s15, s15, s17
	s_xor_b32 s6, s0, -1
	v_mul_lo_u32 v1, s15, v4
	s_delay_alu instid0(VALU_DEP_1) | instskip(SKIP_1) | instid1(VALU_DEP_2)
	v_mad_u32_u24 v1, v2, s17, v1
	v_dual_mov_b32 v2, s8 :: v_dual_mov_b32 v3, s9
	v_add_lshl_u32 v7, v1, v0, 3
	v_dual_mov_b32 v0, s4 :: v_dual_mov_b32 v1, s5
	ds_store_b64 v7, v[0:1] offset:7776
	ds_store_b64 v7, v[2:3] offset:5184
	v_add_nc_u32_e32 v5, 0x1e60, v7
	v_add_nc_u32_e32 v0, 0x1440, v7
	s_delay_alu instid0(VALU_DEP_2)
	v_cndmask_b32_e64 v5, s4, v5, s0
	flat_load_b64 v[9:10], v[5:6]
	s_cbranch_vccnz .LBB449_2
; %bb.1:
	v_dual_mov_b32 v1, s4 :: v_dual_mov_b32 v2, s5
	flat_load_b64 v[11:12], v[1:2] offset:8
.LBB449_2:
	s_and_b32 s4, s0, exec_lo
	s_cselect_b32 s1, s1, s9
	v_cndmask_b32_e64 v0, s8, v0, s0
	v_mov_b32_e32 v1, s1
	v_dual_mov_b32 v7, s10 :: v_dual_mov_b32 v8, s11
	s_and_not1_b32 vcc_lo, exec_lo, s6
	flat_load_b64 v[5:6], v[0:1]
	s_cbranch_vccnz .LBB449_4
; %bb.3:
	v_dual_mov_b32 v0, s8 :: v_dual_mov_b32 v1, s9
	flat_load_b64 v[7:8], v[0:1] offset:8
.LBB449_4:
	s_waitcnt vmcnt(1) lgkmcnt(1)
	v_cmp_eq_f64_e32 vcc_lo, 0, v[9:10]
	v_cmp_eq_f64_e64 s0, 0, v[11:12]
	s_delay_alu instid0(VALU_DEP_1)
	s_and_b32 s4, vcc_lo, s0
	s_mov_b32 s0, -1
	s_and_saveexec_b32 s1, s4
	s_cbranch_execz .LBB449_6
; %bb.5:
	s_waitcnt vmcnt(0) lgkmcnt(0)
	v_cmp_neq_f64_e32 vcc_lo, 1.0, v[5:6]
	v_cmp_neq_f64_e64 s0, 0, v[7:8]
	s_delay_alu instid0(VALU_DEP_1) | instskip(NEXT) | instid1(SALU_CYCLE_1)
	s_or_b32 s0, vcc_lo, s0
	s_or_not1_b32 s0, s0, exec_lo
.LBB449_6:
	s_or_b32 exec_lo, exec_lo, s1
	s_and_saveexec_b32 s1, s0
	s_cbranch_execz .LBB449_43
; %bb.7:
	s_clause 0x1
	s_load_b128 s[4:7], s[2:3], 0x20
	s_load_b64 s[8:9], s[2:3], 0x30
	s_waitcnt lgkmcnt(0)
	s_cmp_eq_u64 s[4:5], 0
	s_cbranch_scc1 .LBB449_9
; %bb.8:
	s_ashr_i32 s13, s12, 31
	s_delay_alu instid0(SALU_CYCLE_1) | instskip(NEXT) | instid1(SALU_CYCLE_1)
	s_lshl_b64 s[0:1], s[12:13], 2
	s_add_u32 s0, s4, s0
	s_addc_u32 s1, s5, s1
	s_load_b32 s0, s[0:1], 0x0
	s_waitcnt lgkmcnt(0)
	s_sub_i32 s12, s0, s14
.LBB449_9:
	s_load_b32 s1, s[2:3], 0x4
	v_mul_u32_u24_e32 v0, 0xe39, v4
	v_mov_b32_e32 v2, 0
	v_mov_b32_e32 v3, 0
	s_delay_alu instid0(VALU_DEP_3) | instskip(NEXT) | instid1(VALU_DEP_1)
	v_lshrrev_b32_e32 v13, 16, v0
	v_mul_lo_u16 v0, v13, 18
	s_delay_alu instid0(VALU_DEP_1) | instskip(NEXT) | instid1(VALU_DEP_4)
	v_sub_nc_u16 v18, v4, v0
	v_dual_mov_b32 v0, v2 :: v_dual_mov_b32 v1, v3
	s_waitcnt lgkmcnt(0)
	s_cmp_eq_u32 s1, 1
	s_cselect_b32 s0, -1, 0
	s_cmp_lg_u32 s1, 1
	s_cselect_b32 s1, -1, 0
	s_ashr_i32 s13, s12, 31
	s_delay_alu instid0(SALU_CYCLE_1) | instskip(NEXT) | instid1(SALU_CYCLE_1)
	s_lshl_b64 s[4:5], s[12:13], 3
	s_add_u32 s6, s6, s4
	s_addc_u32 s7, s7, s5
	s_add_u32 s10, s6, 8
	s_addc_u32 s11, s7, 0
	;; [unrolled: 2-line block ×3, first 2 shown]
	s_cmp_eq_u64 s[8:9], 0
	s_load_b64 s[8:9], s[2:3], 0x60
	s_cselect_b32 s5, s11, s5
	s_cselect_b32 s4, s10, s4
	s_load_b64 s[18:19], s[6:7], 0x0
	s_load_b64 s[16:17], s[4:5], 0x0
	s_waitcnt lgkmcnt(0)
	v_cmp_ge_i64_e64 s4, s[18:19], s[16:17]
	s_delay_alu instid0(VALU_DEP_1)
	s_and_b32 vcc_lo, exec_lo, s4
	s_cbranch_vccnz .LBB449_14
; %bb.10:
	v_mul_lo_u16 v0, v13, 15
	v_and_b32_e32 v1, 0xffff, v4
	s_clause 0x1
	s_load_b64 s[10:11], s[2:3], 0x48
	s_load_b128 s[4:7], s[2:3], 0x38
	s_sub_u32 s2, s16, s14
	s_subb_u32 s3, s17, 0
	v_lshrrev_b16 v0, 8, v0
	v_mul_u32_u24_e32 v1, 0x195, v1
	v_and_b32_e32 v2, 0xffff, v18
	s_sub_u32 s16, s18, s14
	s_subb_u32 s17, s19, 0
	v_mul_lo_u16 v0, v0, 18
	v_lshrrev_b32_e32 v19, 17, v1
	s_mul_hi_u32 s13, s16, 0xa20
	s_mul_i32 s20, s17, 0xa20
	s_mul_i32 s15, s16, 0xa20
	v_sub_nc_u16 v0, v13, v0
	v_add_co_u32 v1, s18, s18, v19
	s_delay_alu instid0(VALU_DEP_1) | instskip(NEXT) | instid1(VALU_DEP_3)
	v_add_co_ci_u32_e64 v3, null, s19, 0, s18
	v_and_b32_e32 v0, 0xff, v0
	s_add_i32 s13, s13, s20
	s_delay_alu instid0(VALU_DEP_1) | instskip(SKIP_4) | instid1(VALU_DEP_3)
	v_cndmask_b32_e64 v13, v2, v0, s0
	v_sub_co_u32 v0, vcc_lo, v1, s14
	v_subrev_co_ci_u32_e32 v1, vcc_lo, 0, v3, vcc_lo
	v_mov_b32_e32 v2, 0
	v_dual_mov_b32 v3, 0 :: v_dual_lshlrev_b32 v14, 3, v4
	v_lshlrev_b64 v[0:1], 2, v[0:1]
	s_waitcnt lgkmcnt(0)
	s_add_u32 s0, s6, s15
	s_addc_u32 s6, s7, s13
	s_delay_alu instid0(VALU_DEP_1) | instskip(NEXT) | instid1(VALU_DEP_2)
	v_add_co_u32 v16, vcc_lo, s4, v0
	v_add_co_ci_u32_e32 v17, vcc_lo, s5, v1, vcc_lo
	v_dual_mov_b32 v0, v2 :: v_dual_mov_b32 v1, v3
	v_add_co_u32 v14, s0, s0, v14
	s_delay_alu instid0(VALU_DEP_1)
	v_add_co_ci_u32_e64 v15, null, s6, 0, s0
	s_set_inst_prefetch_distance 0x1
	s_branch .LBB449_12
	.p2align	6
.LBB449_11:                             ;   in Loop: Header=BB449_12 Depth=1
	s_or_b32 exec_lo, exec_lo, s0
	s_add_u32 s16, s16, 1
	s_addc_u32 s17, s17, 0
	v_add_co_u32 v16, vcc_lo, v16, 4
	v_cmp_lt_i64_e64 s0, s[16:17], s[2:3]
	v_add_co_ci_u32_e32 v17, vcc_lo, 0, v17, vcc_lo
	s_delay_alu instid0(VALU_DEP_2)
	s_and_b32 vcc_lo, exec_lo, s0
	s_cbranch_vccz .LBB449_14
.LBB449_12:                             ; =>This Inner Loop Header: Depth=1
	v_add_co_u32 v20, s0, v19, s16
	s_delay_alu instid0(VALU_DEP_1) | instskip(SKIP_1) | instid1(VALU_DEP_1)
	v_add_co_ci_u32_e64 v21, null, 0, s17, s0
	s_mov_b32 s0, exec_lo
	v_cmpx_gt_i64_e64 s[2:3], v[20:21]
	s_cbranch_execz .LBB449_11
; %bb.13:                               ;   in Loop: Header=BB449_12 Depth=1
	global_load_b32 v20, v[16:17], off
	s_waitcnt vmcnt(0)
	v_subrev_nc_u32_e32 v22, s14, v20
	s_delay_alu instid0(VALU_DEP_1) | instskip(NEXT) | instid1(VALU_DEP_1)
	v_mad_u64_u32 v[20:21], null, v22, 18, v[13:14]
	v_ashrrev_i32_e32 v21, 31, v20
	s_delay_alu instid0(VALU_DEP_1) | instskip(NEXT) | instid1(VALU_DEP_1)
	v_lshlrev_b64 v[20:21], 4, v[20:21]
	v_add_co_u32 v20, vcc_lo, s10, v20
	s_delay_alu instid0(VALU_DEP_2)
	v_add_co_ci_u32_e32 v21, vcc_lo, s11, v21, vcc_lo
	global_load_b64 v[24:25], v[14:15], off
	global_load_b128 v[20:23], v[20:21], off
	v_add_co_u32 v14, vcc_lo, 0xa20, v14
	v_add_co_ci_u32_e32 v15, vcc_lo, 0, v15, vcc_lo
	s_waitcnt vmcnt(0)
	v_fma_f64 v[0:1], v[24:25], v[20:21], v[0:1]
	v_fma_f64 v[2:3], v[20:21], 0, v[2:3]
	s_delay_alu instid0(VALU_DEP_2) | instskip(NEXT) | instid1(VALU_DEP_2)
	v_fma_f64 v[0:1], 0x80000000, v[22:23], v[0:1]
	v_fma_f64 v[2:3], v[24:25], v[22:23], v[2:3]
	s_branch .LBB449_11
.LBB449_14:
	s_set_inst_prefetch_distance 0x2
	v_lshlrev_b32_e32 v17, 4, v4
	s_and_b32 vcc_lo, exec_lo, s1
	ds_store_b128 v17, v[0:3]
	s_waitcnt vmcnt(0) lgkmcnt(0)
	s_barrier
	buffer_gl0_inv
	s_cbranch_vccz .LBB449_26
; %bb.15:
	v_cmp_gt_u16_e32 vcc_lo, 2, v18
	s_and_saveexec_b32 s0, vcc_lo
	s_cbranch_execz .LBB449_17
; %bb.16:
	ds_load_b128 v[13:16], v17 offset:256
	ds_load_b128 v[19:22], v17
	s_waitcnt lgkmcnt(0)
	v_add_f64 v[13:14], v[13:14], v[19:20]
	v_add_f64 v[15:16], v[15:16], v[21:22]
	ds_store_b128 v17, v[13:16]
.LBB449_17:
	s_or_b32 exec_lo, exec_lo, s0
	s_delay_alu instid0(SALU_CYCLE_1)
	s_mov_b32 s1, exec_lo
	s_waitcnt lgkmcnt(0)
	s_barrier
	buffer_gl0_inv
	v_cmpx_gt_u16_e32 8, v18
	s_cbranch_execz .LBB449_19
; %bb.18:
	ds_load_b128 v[13:16], v17 offset:128
	ds_load_b128 v[19:22], v17
	s_waitcnt lgkmcnt(0)
	v_add_f64 v[13:14], v[13:14], v[19:20]
	v_add_f64 v[15:16], v[15:16], v[21:22]
	ds_store_b128 v17, v[13:16]
.LBB449_19:
	s_or_b32 exec_lo, exec_lo, s1
	s_delay_alu instid0(SALU_CYCLE_1)
	s_mov_b32 s1, exec_lo
	s_waitcnt lgkmcnt(0)
	s_barrier
	buffer_gl0_inv
	v_cmpx_gt_u16_e32 4, v18
	s_cbranch_execz .LBB449_21
; %bb.20:
	ds_load_b128 v[13:16], v17 offset:64
	ds_load_b128 v[18:21], v17
	s_waitcnt lgkmcnt(0)
	v_add_f64 v[13:14], v[13:14], v[18:19]
	v_add_f64 v[15:16], v[15:16], v[20:21]
	ds_store_b128 v17, v[13:16]
.LBB449_21:
	s_or_b32 exec_lo, exec_lo, s1
	s_waitcnt lgkmcnt(0)
	s_barrier
	buffer_gl0_inv
	s_and_saveexec_b32 s0, vcc_lo
	s_cbranch_execz .LBB449_23
; %bb.22:
	ds_load_b128 v[13:16], v17
	ds_load_b128 v[18:21], v17 offset:32
	s_waitcnt lgkmcnt(0)
	v_add_f64 v[13:14], v[18:19], v[13:14]
	v_add_f64 v[15:16], v[20:21], v[15:16]
	ds_store_b128 v17, v[13:16]
.LBB449_23:
	s_or_b32 exec_lo, exec_lo, s0
	v_dual_mov_b32 v16, v3 :: v_dual_mov_b32 v15, v2
	v_dual_mov_b32 v14, v1 :: v_dual_mov_b32 v13, v0
	s_mov_b32 s0, exec_lo
	s_waitcnt lgkmcnt(0)
	s_barrier
	buffer_gl0_inv
	v_cmpx_gt_u32_e32 18, v4
	s_cbranch_execz .LBB449_25
; %bb.24:
	v_mul_u32_u24_e32 v13, 18, v4
	s_delay_alu instid0(VALU_DEP_1)
	v_lshlrev_b32_e32 v18, 4, v13
	ds_load_b128 v[13:16], v18
	ds_load_b128 v[18:21], v18 offset:16
	s_waitcnt lgkmcnt(0)
	v_add_f64 v[13:14], v[18:19], v[13:14]
	v_add_f64 v[15:16], v[20:21], v[15:16]
.LBB449_25:
	s_or_b32 exec_lo, exec_lo, s0
	s_branch .LBB449_38
.LBB449_26:
                                        ; implicit-def: $vgpr15_vgpr16
                                        ; implicit-def: $vgpr13_vgpr14
	s_cbranch_execz .LBB449_38
; %bb.27:
	v_cmp_gt_u32_e32 vcc_lo, 36, v4
	s_and_saveexec_b32 s0, vcc_lo
	s_cbranch_execz .LBB449_29
; %bb.28:
	ds_load_b128 v[13:16], v17 offset:4608
	ds_load_b128 v[18:21], v17
	s_waitcnt lgkmcnt(0)
	v_add_f64 v[13:14], v[13:14], v[18:19]
	v_add_f64 v[15:16], v[15:16], v[20:21]
	ds_store_b128 v17, v[13:16]
.LBB449_29:
	s_or_b32 exec_lo, exec_lo, s0
	s_delay_alu instid0(SALU_CYCLE_1)
	s_mov_b32 s1, exec_lo
	s_waitcnt lgkmcnt(0)
	s_barrier
	buffer_gl0_inv
	v_cmpx_gt_u32_e32 0x90, v4
	s_cbranch_execz .LBB449_31
; %bb.30:
	ds_load_b128 v[13:16], v17 offset:2304
	ds_load_b128 v[18:21], v17
	s_waitcnt lgkmcnt(0)
	v_add_f64 v[13:14], v[13:14], v[18:19]
	v_add_f64 v[15:16], v[15:16], v[20:21]
	ds_store_b128 v17, v[13:16]
.LBB449_31:
	s_or_b32 exec_lo, exec_lo, s1
	s_delay_alu instid0(SALU_CYCLE_1)
	s_mov_b32 s1, exec_lo
	s_waitcnt lgkmcnt(0)
	s_barrier
	buffer_gl0_inv
	v_cmpx_gt_u32_e32 0x48, v4
	s_cbranch_execz .LBB449_33
; %bb.32:
	ds_load_b128 v[13:16], v17 offset:1152
	ds_load_b128 v[18:21], v17
	s_waitcnt lgkmcnt(0)
	v_add_f64 v[13:14], v[13:14], v[18:19]
	v_add_f64 v[15:16], v[15:16], v[20:21]
	ds_store_b128 v17, v[13:16]
.LBB449_33:
	s_or_b32 exec_lo, exec_lo, s1
	s_waitcnt lgkmcnt(0)
	s_barrier
	buffer_gl0_inv
	s_and_saveexec_b32 s0, vcc_lo
	s_cbranch_execz .LBB449_35
; %bb.34:
	ds_load_b128 v[13:16], v17 offset:576
	ds_load_b128 v[18:21], v17
	s_waitcnt lgkmcnt(0)
	v_add_f64 v[13:14], v[13:14], v[18:19]
	v_add_f64 v[15:16], v[15:16], v[20:21]
	ds_store_b128 v17, v[13:16]
.LBB449_35:
	s_or_b32 exec_lo, exec_lo, s0
	s_delay_alu instid0(SALU_CYCLE_1)
	s_mov_b32 s0, exec_lo
	s_waitcnt lgkmcnt(0)
	buffer_gl0_inv
	v_cmpx_gt_u32_e32 18, v4
	s_cbranch_execz .LBB449_37
; %bb.36:
	ds_load_b128 v[0:3], v17 offset:288
	ds_load_b128 v[13:16], v17
	s_waitcnt lgkmcnt(0)
	v_add_f64 v[0:1], v[0:1], v[13:14]
	v_add_f64 v[2:3], v[2:3], v[15:16]
.LBB449_37:
	s_or_b32 exec_lo, exec_lo, s0
	s_delay_alu instid0(VALU_DEP_1) | instskip(NEXT) | instid1(VALU_DEP_3)
	v_dual_mov_b32 v16, v3 :: v_dual_mov_b32 v15, v2
	v_dual_mov_b32 v14, v1 :: v_dual_mov_b32 v13, v0
.LBB449_38:
	v_cmp_gt_u32_e32 vcc_lo, 18, v4
	s_and_b32 exec_lo, exec_lo, vcc_lo
	s_cbranch_execz .LBB449_43
; %bb.39:
	s_delay_alu instid0(VALU_DEP_2) | instskip(SKIP_3) | instid1(VALU_DEP_4)
	v_mul_f64 v[0:1], v[15:16], -v[11:12]
	v_mul_f64 v[2:3], v[9:10], v[15:16]
	v_cmp_eq_f64_e32 vcc_lo, 0, v[5:6]
	v_cmp_eq_f64_e64 s0, 0, v[7:8]
	v_fma_f64 v[0:1], v[9:10], v[13:14], v[0:1]
	s_delay_alu instid0(VALU_DEP_4) | instskip(NEXT) | instid1(VALU_DEP_3)
	v_fma_f64 v[2:3], v[11:12], v[13:14], v[2:3]
	s_and_b32 s0, vcc_lo, s0
	s_delay_alu instid0(SALU_CYCLE_1) | instskip(NEXT) | instid1(SALU_CYCLE_1)
	s_and_saveexec_b32 s1, s0
	s_xor_b32 s0, exec_lo, s1
	s_cbranch_execz .LBB449_41
; %bb.40:
	v_mad_u64_u32 v[5:6], null, s12, 18, v[4:5]
	v_mov_b32_e32 v6, 0
                                        ; implicit-def: $vgpr7_vgpr8
	s_delay_alu instid0(VALU_DEP_1) | instskip(NEXT) | instid1(VALU_DEP_1)
	v_lshlrev_b64 v[4:5], 4, v[5:6]
	v_add_co_u32 v4, vcc_lo, s8, v4
	s_delay_alu instid0(VALU_DEP_2)
	v_add_co_ci_u32_e32 v5, vcc_lo, s9, v5, vcc_lo
	global_store_b128 v[4:5], v[0:3], off
                                        ; implicit-def: $vgpr4
                                        ; implicit-def: $vgpr5_vgpr6
                                        ; implicit-def: $vgpr0_vgpr1
.LBB449_41:
	s_and_not1_saveexec_b32 s0, s0
	s_cbranch_execz .LBB449_43
; %bb.42:
	v_mad_u64_u32 v[9:10], null, s12, 18, v[4:5]
	v_mov_b32_e32 v10, 0
	s_delay_alu instid0(VALU_DEP_1) | instskip(NEXT) | instid1(VALU_DEP_1)
	v_lshlrev_b64 v[9:10], 4, v[9:10]
	v_add_co_u32 v13, vcc_lo, s8, v9
	s_delay_alu instid0(VALU_DEP_2) | instskip(SKIP_4) | instid1(VALU_DEP_2)
	v_add_co_ci_u32_e32 v14, vcc_lo, s9, v10, vcc_lo
	global_load_b128 v[9:12], v[13:14], off
	s_waitcnt vmcnt(0)
	v_fma_f64 v[0:1], v[5:6], v[9:10], v[0:1]
	v_fma_f64 v[2:3], v[7:8], v[9:10], v[2:3]
	v_fma_f64 v[0:1], -v[7:8], v[11:12], v[0:1]
	s_delay_alu instid0(VALU_DEP_2)
	v_fma_f64 v[2:3], v[5:6], v[11:12], v[2:3]
	global_store_b128 v[13:14], v[0:3], off
.LBB449_43:
	s_nop 0
	s_sendmsg sendmsg(MSG_DEALLOC_VGPRS)
	s_endpgm
	.section	.rodata,"a",@progbits
	.p2align	6, 0x0
	.amdhsa_kernel _ZN9rocsparseL20bsrxmvn_17_32_kernelILj18E21rocsparse_complex_numIdElidS2_S2_EEvT2_20rocsparse_direction_NS_24const_host_device_scalarIT0_EES3_PKS3_PKT1_SC_S9_PKT3_PKT4_S7_PT5_21rocsparse_index_base_b
		.amdhsa_group_segment_fixed_size 10368
		.amdhsa_private_segment_fixed_size 0
		.amdhsa_kernarg_size 112
		.amdhsa_user_sgpr_count 15
		.amdhsa_user_sgpr_dispatch_ptr 1
		.amdhsa_user_sgpr_queue_ptr 0
		.amdhsa_user_sgpr_kernarg_segment_ptr 1
		.amdhsa_user_sgpr_dispatch_id 0
		.amdhsa_user_sgpr_private_segment_size 0
		.amdhsa_wavefront_size32 1
		.amdhsa_uses_dynamic_stack 0
		.amdhsa_enable_private_segment 0
		.amdhsa_system_sgpr_workgroup_id_x 1
		.amdhsa_system_sgpr_workgroup_id_y 0
		.amdhsa_system_sgpr_workgroup_id_z 0
		.amdhsa_system_sgpr_workgroup_info 0
		.amdhsa_system_vgpr_workitem_id 2
		.amdhsa_next_free_vgpr 26
		.amdhsa_next_free_sgpr 21
		.amdhsa_reserve_vcc 1
		.amdhsa_float_round_mode_32 0
		.amdhsa_float_round_mode_16_64 0
		.amdhsa_float_denorm_mode_32 3
		.amdhsa_float_denorm_mode_16_64 3
		.amdhsa_dx10_clamp 1
		.amdhsa_ieee_mode 1
		.amdhsa_fp16_overflow 0
		.amdhsa_workgroup_processor_mode 1
		.amdhsa_memory_ordered 1
		.amdhsa_forward_progress 0
		.amdhsa_shared_vgpr_count 0
		.amdhsa_exception_fp_ieee_invalid_op 0
		.amdhsa_exception_fp_denorm_src 0
		.amdhsa_exception_fp_ieee_div_zero 0
		.amdhsa_exception_fp_ieee_overflow 0
		.amdhsa_exception_fp_ieee_underflow 0
		.amdhsa_exception_fp_ieee_inexact 0
		.amdhsa_exception_int_div_zero 0
	.end_amdhsa_kernel
	.section	.text._ZN9rocsparseL20bsrxmvn_17_32_kernelILj18E21rocsparse_complex_numIdElidS2_S2_EEvT2_20rocsparse_direction_NS_24const_host_device_scalarIT0_EES3_PKS3_PKT1_SC_S9_PKT3_PKT4_S7_PT5_21rocsparse_index_base_b,"axG",@progbits,_ZN9rocsparseL20bsrxmvn_17_32_kernelILj18E21rocsparse_complex_numIdElidS2_S2_EEvT2_20rocsparse_direction_NS_24const_host_device_scalarIT0_EES3_PKS3_PKT1_SC_S9_PKT3_PKT4_S7_PT5_21rocsparse_index_base_b,comdat
.Lfunc_end449:
	.size	_ZN9rocsparseL20bsrxmvn_17_32_kernelILj18E21rocsparse_complex_numIdElidS2_S2_EEvT2_20rocsparse_direction_NS_24const_host_device_scalarIT0_EES3_PKS3_PKT1_SC_S9_PKT3_PKT4_S7_PT5_21rocsparse_index_base_b, .Lfunc_end449-_ZN9rocsparseL20bsrxmvn_17_32_kernelILj18E21rocsparse_complex_numIdElidS2_S2_EEvT2_20rocsparse_direction_NS_24const_host_device_scalarIT0_EES3_PKS3_PKT1_SC_S9_PKT3_PKT4_S7_PT5_21rocsparse_index_base_b
                                        ; -- End function
	.section	.AMDGPU.csdata,"",@progbits
; Kernel info:
; codeLenInByte = 2160
; NumSgprs: 23
; NumVgprs: 26
; ScratchSize: 0
; MemoryBound: 0
; FloatMode: 240
; IeeeMode: 1
; LDSByteSize: 10368 bytes/workgroup (compile time only)
; SGPRBlocks: 2
; VGPRBlocks: 3
; NumSGPRsForWavesPerEU: 23
; NumVGPRsForWavesPerEU: 26
; Occupancy: 14
; WaveLimiterHint : 1
; COMPUTE_PGM_RSRC2:SCRATCH_EN: 0
; COMPUTE_PGM_RSRC2:USER_SGPR: 15
; COMPUTE_PGM_RSRC2:TRAP_HANDLER: 0
; COMPUTE_PGM_RSRC2:TGID_X_EN: 1
; COMPUTE_PGM_RSRC2:TGID_Y_EN: 0
; COMPUTE_PGM_RSRC2:TGID_Z_EN: 0
; COMPUTE_PGM_RSRC2:TIDIG_COMP_CNT: 2
	.section	.text._ZN9rocsparseL20bsrxmvn_17_32_kernelILj19E21rocsparse_complex_numIdElidS2_S2_EEvT2_20rocsparse_direction_NS_24const_host_device_scalarIT0_EES3_PKS3_PKT1_SC_S9_PKT3_PKT4_S7_PT5_21rocsparse_index_base_b,"axG",@progbits,_ZN9rocsparseL20bsrxmvn_17_32_kernelILj19E21rocsparse_complex_numIdElidS2_S2_EEvT2_20rocsparse_direction_NS_24const_host_device_scalarIT0_EES3_PKS3_PKT1_SC_S9_PKT3_PKT4_S7_PT5_21rocsparse_index_base_b,comdat
	.globl	_ZN9rocsparseL20bsrxmvn_17_32_kernelILj19E21rocsparse_complex_numIdElidS2_S2_EEvT2_20rocsparse_direction_NS_24const_host_device_scalarIT0_EES3_PKS3_PKT1_SC_S9_PKT3_PKT4_S7_PT5_21rocsparse_index_base_b ; -- Begin function _ZN9rocsparseL20bsrxmvn_17_32_kernelILj19E21rocsparse_complex_numIdElidS2_S2_EEvT2_20rocsparse_direction_NS_24const_host_device_scalarIT0_EES3_PKS3_PKT1_SC_S9_PKT3_PKT4_S7_PT5_21rocsparse_index_base_b
	.p2align	8
	.type	_ZN9rocsparseL20bsrxmvn_17_32_kernelILj19E21rocsparse_complex_numIdElidS2_S2_EEvT2_20rocsparse_direction_NS_24const_host_device_scalarIT0_EES3_PKS3_PKT1_SC_S9_PKT3_PKT4_S7_PT5_21rocsparse_index_base_b,@function
_ZN9rocsparseL20bsrxmvn_17_32_kernelILj19E21rocsparse_complex_numIdElidS2_S2_EEvT2_20rocsparse_direction_NS_24const_host_device_scalarIT0_EES3_PKS3_PKT1_SC_S9_PKT3_PKT4_S7_PT5_21rocsparse_index_base_b: ; @_ZN9rocsparseL20bsrxmvn_17_32_kernelILj19E21rocsparse_complex_numIdElidS2_S2_EEvT2_20rocsparse_direction_NS_24const_host_device_scalarIT0_EES3_PKS3_PKT1_SC_S9_PKT3_PKT4_S7_PT5_21rocsparse_index_base_b
; %bb.0:
	s_mov_b32 s12, s15
	s_clause 0x1
	s_load_b64 s[14:15], s[2:3], 0x68
	s_load_b128 s[4:7], s[2:3], 0x8
	s_load_b64 s[16:17], s[0:1], 0x4
	s_mov_b64 s[0:1], src_shared_base
	v_and_b32_e32 v4, 0x3ff, v0
	s_load_b128 s[8:11], s[2:3], 0x50
	v_bfe_u32 v2, v0, 10, 10
	v_bfe_u32 v0, v0, 20, 10
	s_waitcnt lgkmcnt(0)
	s_bitcmp1_b32 s15, 0
	v_mov_b32_e32 v12, s7
	s_cselect_b32 s0, -1, 0
	v_mov_b32_e32 v11, s6
	s_and_b32 vcc_lo, s0, exec_lo
	s_cselect_b32 s13, s1, s5
	s_lshr_b32 s15, s16, 16
	v_mov_b32_e32 v6, s13
	s_mul_i32 s15, s15, s17
	s_xor_b32 s6, s0, -1
	v_mul_lo_u32 v1, s15, v4
	s_delay_alu instid0(VALU_DEP_1) | instskip(SKIP_1) | instid1(VALU_DEP_2)
	v_mad_u32_u24 v1, v2, s17, v1
	v_dual_mov_b32 v2, s8 :: v_dual_mov_b32 v3, s9
	v_add_lshl_u32 v7, v1, v0, 3
	v_dual_mov_b32 v0, s4 :: v_dual_mov_b32 v1, s5
	ds_store_b64 v7, v[0:1] offset:8664
	ds_store_b64 v7, v[2:3] offset:5776
	v_add_nc_u32_e32 v5, 0x21d8, v7
	v_add_nc_u32_e32 v0, 0x1690, v7
	s_delay_alu instid0(VALU_DEP_2)
	v_cndmask_b32_e64 v5, s4, v5, s0
	flat_load_b64 v[9:10], v[5:6]
	s_cbranch_vccnz .LBB450_2
; %bb.1:
	v_dual_mov_b32 v1, s4 :: v_dual_mov_b32 v2, s5
	flat_load_b64 v[11:12], v[1:2] offset:8
.LBB450_2:
	s_and_b32 s4, s0, exec_lo
	s_cselect_b32 s1, s1, s9
	v_cndmask_b32_e64 v0, s8, v0, s0
	v_mov_b32_e32 v1, s1
	v_dual_mov_b32 v7, s10 :: v_dual_mov_b32 v8, s11
	s_and_not1_b32 vcc_lo, exec_lo, s6
	flat_load_b64 v[5:6], v[0:1]
	s_cbranch_vccnz .LBB450_4
; %bb.3:
	v_dual_mov_b32 v0, s8 :: v_dual_mov_b32 v1, s9
	flat_load_b64 v[7:8], v[0:1] offset:8
.LBB450_4:
	s_waitcnt vmcnt(1) lgkmcnt(1)
	v_cmp_eq_f64_e32 vcc_lo, 0, v[9:10]
	v_cmp_eq_f64_e64 s0, 0, v[11:12]
	s_delay_alu instid0(VALU_DEP_1)
	s_and_b32 s4, vcc_lo, s0
	s_mov_b32 s0, -1
	s_and_saveexec_b32 s1, s4
	s_cbranch_execz .LBB450_6
; %bb.5:
	s_waitcnt vmcnt(0) lgkmcnt(0)
	v_cmp_neq_f64_e32 vcc_lo, 1.0, v[5:6]
	v_cmp_neq_f64_e64 s0, 0, v[7:8]
	s_delay_alu instid0(VALU_DEP_1) | instskip(NEXT) | instid1(SALU_CYCLE_1)
	s_or_b32 s0, vcc_lo, s0
	s_or_not1_b32 s0, s0, exec_lo
.LBB450_6:
	s_or_b32 exec_lo, exec_lo, s1
	s_and_saveexec_b32 s1, s0
	s_cbranch_execz .LBB450_43
; %bb.7:
	s_clause 0x1
	s_load_b128 s[4:7], s[2:3], 0x20
	s_load_b64 s[8:9], s[2:3], 0x30
	s_waitcnt lgkmcnt(0)
	s_cmp_eq_u64 s[4:5], 0
	s_cbranch_scc1 .LBB450_9
; %bb.8:
	s_ashr_i32 s13, s12, 31
	s_delay_alu instid0(SALU_CYCLE_1) | instskip(NEXT) | instid1(SALU_CYCLE_1)
	s_lshl_b64 s[0:1], s[12:13], 2
	s_add_u32 s0, s4, s0
	s_addc_u32 s1, s5, s1
	s_load_b32 s0, s[0:1], 0x0
	s_waitcnt lgkmcnt(0)
	s_sub_i32 s12, s0, s14
.LBB450_9:
	s_load_b32 s1, s[2:3], 0x4
	v_mul_u32_u24_e32 v0, 0xd7a, v4
	v_mov_b32_e32 v2, 0
	v_mov_b32_e32 v3, 0
	s_delay_alu instid0(VALU_DEP_3) | instskip(NEXT) | instid1(VALU_DEP_1)
	v_lshrrev_b32_e32 v13, 16, v0
	v_mul_lo_u16 v0, v13, 19
	s_delay_alu instid0(VALU_DEP_1) | instskip(NEXT) | instid1(VALU_DEP_4)
	v_sub_nc_u16 v18, v4, v0
	v_dual_mov_b32 v0, v2 :: v_dual_mov_b32 v1, v3
	s_waitcnt lgkmcnt(0)
	s_cmp_eq_u32 s1, 1
	s_cselect_b32 s0, -1, 0
	s_cmp_lg_u32 s1, 1
	s_cselect_b32 s1, -1, 0
	s_ashr_i32 s13, s12, 31
	s_delay_alu instid0(SALU_CYCLE_1) | instskip(NEXT) | instid1(SALU_CYCLE_1)
	s_lshl_b64 s[4:5], s[12:13], 3
	s_add_u32 s6, s6, s4
	s_addc_u32 s7, s7, s5
	s_add_u32 s10, s6, 8
	s_addc_u32 s11, s7, 0
	;; [unrolled: 2-line block ×3, first 2 shown]
	s_cmp_eq_u64 s[8:9], 0
	s_load_b64 s[8:9], s[2:3], 0x60
	s_cselect_b32 s5, s11, s5
	s_cselect_b32 s4, s10, s4
	s_load_b64 s[18:19], s[6:7], 0x0
	s_load_b64 s[16:17], s[4:5], 0x0
	s_waitcnt lgkmcnt(0)
	v_cmp_ge_i64_e64 s4, s[18:19], s[16:17]
	s_delay_alu instid0(VALU_DEP_1)
	s_and_b32 vcc_lo, exec_lo, s4
	s_cbranch_vccnz .LBB450_14
; %bb.10:
	v_mul_lo_u16 v0, v13, 14
	v_and_b32_e32 v1, 0xffff, v4
	s_clause 0x1
	s_load_b64 s[10:11], s[2:3], 0x48
	s_load_b128 s[4:7], s[2:3], 0x38
	s_sub_u32 s2, s16, s14
	s_subb_u32 s3, s17, 0
	v_lshrrev_b16 v0, 8, v0
	v_mul_u32_u24_e32 v1, 0xb6, v1
	v_and_b32_e32 v2, 0xffff, v18
	s_sub_u32 s16, s18, s14
	s_subb_u32 s17, s19, 0
	v_mul_lo_u16 v0, v0, 19
	v_lshrrev_b32_e32 v19, 16, v1
	s_mul_hi_u32 s13, s16, 0xb48
	s_mul_i32 s20, s17, 0xb48
	s_mul_i32 s15, s16, 0xb48
	v_sub_nc_u16 v0, v13, v0
	v_add_co_u32 v1, s18, s18, v19
	s_delay_alu instid0(VALU_DEP_1) | instskip(NEXT) | instid1(VALU_DEP_3)
	v_add_co_ci_u32_e64 v3, null, s19, 0, s18
	v_and_b32_e32 v0, 0xff, v0
	s_add_i32 s13, s13, s20
	s_delay_alu instid0(VALU_DEP_1) | instskip(SKIP_4) | instid1(VALU_DEP_3)
	v_cndmask_b32_e64 v13, v2, v0, s0
	v_sub_co_u32 v0, vcc_lo, v1, s14
	v_subrev_co_ci_u32_e32 v1, vcc_lo, 0, v3, vcc_lo
	v_mov_b32_e32 v2, 0
	v_dual_mov_b32 v3, 0 :: v_dual_lshlrev_b32 v14, 3, v4
	v_lshlrev_b64 v[0:1], 2, v[0:1]
	s_waitcnt lgkmcnt(0)
	s_add_u32 s0, s6, s15
	s_addc_u32 s6, s7, s13
	s_delay_alu instid0(VALU_DEP_1) | instskip(NEXT) | instid1(VALU_DEP_2)
	v_add_co_u32 v16, vcc_lo, s4, v0
	v_add_co_ci_u32_e32 v17, vcc_lo, s5, v1, vcc_lo
	v_dual_mov_b32 v0, v2 :: v_dual_mov_b32 v1, v3
	v_add_co_u32 v14, s0, s0, v14
	s_delay_alu instid0(VALU_DEP_1)
	v_add_co_ci_u32_e64 v15, null, s6, 0, s0
	s_set_inst_prefetch_distance 0x1
	s_branch .LBB450_12
	.p2align	6
.LBB450_11:                             ;   in Loop: Header=BB450_12 Depth=1
	s_or_b32 exec_lo, exec_lo, s0
	s_add_u32 s16, s16, 1
	s_addc_u32 s17, s17, 0
	v_add_co_u32 v16, vcc_lo, v16, 4
	v_cmp_lt_i64_e64 s0, s[16:17], s[2:3]
	v_add_co_ci_u32_e32 v17, vcc_lo, 0, v17, vcc_lo
	s_delay_alu instid0(VALU_DEP_2)
	s_and_b32 vcc_lo, exec_lo, s0
	s_cbranch_vccz .LBB450_14
.LBB450_12:                             ; =>This Inner Loop Header: Depth=1
	v_add_co_u32 v20, s0, v19, s16
	s_delay_alu instid0(VALU_DEP_1) | instskip(SKIP_1) | instid1(VALU_DEP_1)
	v_add_co_ci_u32_e64 v21, null, 0, s17, s0
	s_mov_b32 s0, exec_lo
	v_cmpx_gt_i64_e64 s[2:3], v[20:21]
	s_cbranch_execz .LBB450_11
; %bb.13:                               ;   in Loop: Header=BB450_12 Depth=1
	global_load_b32 v20, v[16:17], off
	s_waitcnt vmcnt(0)
	v_subrev_nc_u32_e32 v22, s14, v20
	s_delay_alu instid0(VALU_DEP_1) | instskip(NEXT) | instid1(VALU_DEP_1)
	v_mad_u64_u32 v[20:21], null, v22, 19, v[13:14]
	v_ashrrev_i32_e32 v21, 31, v20
	s_delay_alu instid0(VALU_DEP_1) | instskip(NEXT) | instid1(VALU_DEP_1)
	v_lshlrev_b64 v[20:21], 4, v[20:21]
	v_add_co_u32 v20, vcc_lo, s10, v20
	s_delay_alu instid0(VALU_DEP_2)
	v_add_co_ci_u32_e32 v21, vcc_lo, s11, v21, vcc_lo
	global_load_b64 v[24:25], v[14:15], off
	global_load_b128 v[20:23], v[20:21], off
	v_add_co_u32 v14, vcc_lo, 0xb48, v14
	v_add_co_ci_u32_e32 v15, vcc_lo, 0, v15, vcc_lo
	s_waitcnt vmcnt(0)
	v_fma_f64 v[0:1], v[24:25], v[20:21], v[0:1]
	v_fma_f64 v[2:3], v[20:21], 0, v[2:3]
	s_delay_alu instid0(VALU_DEP_2) | instskip(NEXT) | instid1(VALU_DEP_2)
	v_fma_f64 v[0:1], 0x80000000, v[22:23], v[0:1]
	v_fma_f64 v[2:3], v[24:25], v[22:23], v[2:3]
	s_branch .LBB450_11
.LBB450_14:
	s_set_inst_prefetch_distance 0x2
	v_lshlrev_b32_e32 v17, 4, v4
	s_and_b32 vcc_lo, exec_lo, s1
	ds_store_b128 v17, v[0:3]
	s_waitcnt vmcnt(0) lgkmcnt(0)
	s_barrier
	buffer_gl0_inv
	s_cbranch_vccz .LBB450_26
; %bb.15:
	s_mov_b32 s0, exec_lo
	v_cmpx_gt_u16_e32 3, v18
	s_cbranch_execz .LBB450_17
; %bb.16:
	ds_load_b128 v[13:16], v17 offset:256
	ds_load_b128 v[19:22], v17
	s_waitcnt lgkmcnt(0)
	v_add_f64 v[13:14], v[13:14], v[19:20]
	v_add_f64 v[15:16], v[15:16], v[21:22]
	ds_store_b128 v17, v[13:16]
.LBB450_17:
	s_or_b32 exec_lo, exec_lo, s0
	s_delay_alu instid0(SALU_CYCLE_1)
	s_mov_b32 s0, exec_lo
	s_waitcnt lgkmcnt(0)
	s_barrier
	buffer_gl0_inv
	v_cmpx_gt_u16_e32 8, v18
	s_cbranch_execz .LBB450_19
; %bb.18:
	ds_load_b128 v[13:16], v17 offset:128
	ds_load_b128 v[19:22], v17
	s_waitcnt lgkmcnt(0)
	v_add_f64 v[13:14], v[13:14], v[19:20]
	v_add_f64 v[15:16], v[15:16], v[21:22]
	ds_store_b128 v17, v[13:16]
.LBB450_19:
	s_or_b32 exec_lo, exec_lo, s0
	s_delay_alu instid0(SALU_CYCLE_1)
	s_mov_b32 s0, exec_lo
	s_waitcnt lgkmcnt(0)
	s_barrier
	buffer_gl0_inv
	;; [unrolled: 16-line block ×3, first 2 shown]
	v_cmpx_gt_u16_e32 2, v18
	s_cbranch_execz .LBB450_23
; %bb.22:
	ds_load_b128 v[13:16], v17
	ds_load_b128 v[18:21], v17 offset:32
	s_waitcnt lgkmcnt(0)
	v_add_f64 v[13:14], v[18:19], v[13:14]
	v_add_f64 v[15:16], v[20:21], v[15:16]
	ds_store_b128 v17, v[13:16]
.LBB450_23:
	s_or_b32 exec_lo, exec_lo, s0
	v_dual_mov_b32 v16, v3 :: v_dual_mov_b32 v15, v2
	v_dual_mov_b32 v14, v1 :: v_dual_mov_b32 v13, v0
	s_mov_b32 s0, exec_lo
	s_waitcnt lgkmcnt(0)
	s_barrier
	buffer_gl0_inv
	v_cmpx_gt_u32_e32 19, v4
	s_cbranch_execz .LBB450_25
; %bb.24:
	v_mul_u32_u24_e32 v13, 19, v4
	s_delay_alu instid0(VALU_DEP_1)
	v_lshlrev_b32_e32 v18, 4, v13
	ds_load_b128 v[13:16], v18
	ds_load_b128 v[18:21], v18 offset:16
	s_waitcnt lgkmcnt(0)
	v_add_f64 v[13:14], v[18:19], v[13:14]
	v_add_f64 v[15:16], v[20:21], v[15:16]
.LBB450_25:
	s_or_b32 exec_lo, exec_lo, s0
	s_branch .LBB450_38
.LBB450_26:
                                        ; implicit-def: $vgpr15_vgpr16
                                        ; implicit-def: $vgpr13_vgpr14
	s_cbranch_execz .LBB450_38
; %bb.27:
	s_mov_b32 s0, exec_lo
	v_cmpx_gt_u32_e32 57, v4
	s_cbranch_execz .LBB450_29
; %bb.28:
	ds_load_b128 v[13:16], v17 offset:4864
	ds_load_b128 v[18:21], v17
	s_waitcnt lgkmcnt(0)
	v_add_f64 v[13:14], v[13:14], v[18:19]
	v_add_f64 v[15:16], v[15:16], v[20:21]
	ds_store_b128 v17, v[13:16]
.LBB450_29:
	s_or_b32 exec_lo, exec_lo, s0
	s_delay_alu instid0(SALU_CYCLE_1)
	s_mov_b32 s0, exec_lo
	s_waitcnt lgkmcnt(0)
	s_barrier
	buffer_gl0_inv
	v_cmpx_gt_u32_e32 0x98, v4
	s_cbranch_execz .LBB450_31
; %bb.30:
	ds_load_b128 v[13:16], v17 offset:2432
	ds_load_b128 v[18:21], v17
	s_waitcnt lgkmcnt(0)
	v_add_f64 v[13:14], v[13:14], v[18:19]
	v_add_f64 v[15:16], v[15:16], v[20:21]
	ds_store_b128 v17, v[13:16]
.LBB450_31:
	s_or_b32 exec_lo, exec_lo, s0
	s_delay_alu instid0(SALU_CYCLE_1)
	s_mov_b32 s0, exec_lo
	s_waitcnt lgkmcnt(0)
	s_barrier
	buffer_gl0_inv
	;; [unrolled: 16-line block ×3, first 2 shown]
	v_cmpx_gt_u32_e32 38, v4
	s_cbranch_execz .LBB450_35
; %bb.34:
	ds_load_b128 v[13:16], v17 offset:608
	ds_load_b128 v[18:21], v17
	s_waitcnt lgkmcnt(0)
	v_add_f64 v[13:14], v[13:14], v[18:19]
	v_add_f64 v[15:16], v[15:16], v[20:21]
	ds_store_b128 v17, v[13:16]
.LBB450_35:
	s_or_b32 exec_lo, exec_lo, s0
	s_delay_alu instid0(SALU_CYCLE_1)
	s_mov_b32 s0, exec_lo
	s_waitcnt lgkmcnt(0)
	buffer_gl0_inv
	v_cmpx_gt_u32_e32 19, v4
	s_cbranch_execz .LBB450_37
; %bb.36:
	ds_load_b128 v[0:3], v17 offset:304
	ds_load_b128 v[13:16], v17
	s_waitcnt lgkmcnt(0)
	v_add_f64 v[0:1], v[0:1], v[13:14]
	v_add_f64 v[2:3], v[2:3], v[15:16]
.LBB450_37:
	s_or_b32 exec_lo, exec_lo, s0
	s_delay_alu instid0(VALU_DEP_1) | instskip(NEXT) | instid1(VALU_DEP_3)
	v_dual_mov_b32 v16, v3 :: v_dual_mov_b32 v15, v2
	v_dual_mov_b32 v14, v1 :: v_dual_mov_b32 v13, v0
.LBB450_38:
	v_cmp_gt_u32_e32 vcc_lo, 19, v4
	s_and_b32 exec_lo, exec_lo, vcc_lo
	s_cbranch_execz .LBB450_43
; %bb.39:
	s_delay_alu instid0(VALU_DEP_2) | instskip(SKIP_3) | instid1(VALU_DEP_4)
	v_mul_f64 v[0:1], v[15:16], -v[11:12]
	v_mul_f64 v[2:3], v[9:10], v[15:16]
	v_cmp_eq_f64_e32 vcc_lo, 0, v[5:6]
	v_cmp_eq_f64_e64 s0, 0, v[7:8]
	v_fma_f64 v[0:1], v[9:10], v[13:14], v[0:1]
	s_delay_alu instid0(VALU_DEP_4) | instskip(NEXT) | instid1(VALU_DEP_3)
	v_fma_f64 v[2:3], v[11:12], v[13:14], v[2:3]
	s_and_b32 s0, vcc_lo, s0
	s_delay_alu instid0(SALU_CYCLE_1) | instskip(NEXT) | instid1(SALU_CYCLE_1)
	s_and_saveexec_b32 s1, s0
	s_xor_b32 s0, exec_lo, s1
	s_cbranch_execz .LBB450_41
; %bb.40:
	v_mad_u64_u32 v[5:6], null, s12, 19, v[4:5]
	v_mov_b32_e32 v6, 0
                                        ; implicit-def: $vgpr7_vgpr8
	s_delay_alu instid0(VALU_DEP_1) | instskip(NEXT) | instid1(VALU_DEP_1)
	v_lshlrev_b64 v[4:5], 4, v[5:6]
	v_add_co_u32 v4, vcc_lo, s8, v4
	s_delay_alu instid0(VALU_DEP_2)
	v_add_co_ci_u32_e32 v5, vcc_lo, s9, v5, vcc_lo
	global_store_b128 v[4:5], v[0:3], off
                                        ; implicit-def: $vgpr4
                                        ; implicit-def: $vgpr5_vgpr6
                                        ; implicit-def: $vgpr0_vgpr1
.LBB450_41:
	s_and_not1_saveexec_b32 s0, s0
	s_cbranch_execz .LBB450_43
; %bb.42:
	v_mad_u64_u32 v[9:10], null, s12, 19, v[4:5]
	v_mov_b32_e32 v10, 0
	s_delay_alu instid0(VALU_DEP_1) | instskip(NEXT) | instid1(VALU_DEP_1)
	v_lshlrev_b64 v[9:10], 4, v[9:10]
	v_add_co_u32 v13, vcc_lo, s8, v9
	s_delay_alu instid0(VALU_DEP_2) | instskip(SKIP_4) | instid1(VALU_DEP_2)
	v_add_co_ci_u32_e32 v14, vcc_lo, s9, v10, vcc_lo
	global_load_b128 v[9:12], v[13:14], off
	s_waitcnt vmcnt(0)
	v_fma_f64 v[0:1], v[5:6], v[9:10], v[0:1]
	v_fma_f64 v[2:3], v[7:8], v[9:10], v[2:3]
	v_fma_f64 v[0:1], -v[7:8], v[11:12], v[0:1]
	s_delay_alu instid0(VALU_DEP_2)
	v_fma_f64 v[2:3], v[5:6], v[11:12], v[2:3]
	global_store_b128 v[13:14], v[0:3], off
.LBB450_43:
	s_nop 0
	s_sendmsg sendmsg(MSG_DEALLOC_VGPRS)
	s_endpgm
	.section	.rodata,"a",@progbits
	.p2align	6, 0x0
	.amdhsa_kernel _ZN9rocsparseL20bsrxmvn_17_32_kernelILj19E21rocsparse_complex_numIdElidS2_S2_EEvT2_20rocsparse_direction_NS_24const_host_device_scalarIT0_EES3_PKS3_PKT1_SC_S9_PKT3_PKT4_S7_PT5_21rocsparse_index_base_b
		.amdhsa_group_segment_fixed_size 11552
		.amdhsa_private_segment_fixed_size 0
		.amdhsa_kernarg_size 112
		.amdhsa_user_sgpr_count 15
		.amdhsa_user_sgpr_dispatch_ptr 1
		.amdhsa_user_sgpr_queue_ptr 0
		.amdhsa_user_sgpr_kernarg_segment_ptr 1
		.amdhsa_user_sgpr_dispatch_id 0
		.amdhsa_user_sgpr_private_segment_size 0
		.amdhsa_wavefront_size32 1
		.amdhsa_uses_dynamic_stack 0
		.amdhsa_enable_private_segment 0
		.amdhsa_system_sgpr_workgroup_id_x 1
		.amdhsa_system_sgpr_workgroup_id_y 0
		.amdhsa_system_sgpr_workgroup_id_z 0
		.amdhsa_system_sgpr_workgroup_info 0
		.amdhsa_system_vgpr_workitem_id 2
		.amdhsa_next_free_vgpr 26
		.amdhsa_next_free_sgpr 21
		.amdhsa_reserve_vcc 1
		.amdhsa_float_round_mode_32 0
		.amdhsa_float_round_mode_16_64 0
		.amdhsa_float_denorm_mode_32 3
		.amdhsa_float_denorm_mode_16_64 3
		.amdhsa_dx10_clamp 1
		.amdhsa_ieee_mode 1
		.amdhsa_fp16_overflow 0
		.amdhsa_workgroup_processor_mode 1
		.amdhsa_memory_ordered 1
		.amdhsa_forward_progress 0
		.amdhsa_shared_vgpr_count 0
		.amdhsa_exception_fp_ieee_invalid_op 0
		.amdhsa_exception_fp_denorm_src 0
		.amdhsa_exception_fp_ieee_div_zero 0
		.amdhsa_exception_fp_ieee_overflow 0
		.amdhsa_exception_fp_ieee_underflow 0
		.amdhsa_exception_fp_ieee_inexact 0
		.amdhsa_exception_int_div_zero 0
	.end_amdhsa_kernel
	.section	.text._ZN9rocsparseL20bsrxmvn_17_32_kernelILj19E21rocsparse_complex_numIdElidS2_S2_EEvT2_20rocsparse_direction_NS_24const_host_device_scalarIT0_EES3_PKS3_PKT1_SC_S9_PKT3_PKT4_S7_PT5_21rocsparse_index_base_b,"axG",@progbits,_ZN9rocsparseL20bsrxmvn_17_32_kernelILj19E21rocsparse_complex_numIdElidS2_S2_EEvT2_20rocsparse_direction_NS_24const_host_device_scalarIT0_EES3_PKS3_PKT1_SC_S9_PKT3_PKT4_S7_PT5_21rocsparse_index_base_b,comdat
.Lfunc_end450:
	.size	_ZN9rocsparseL20bsrxmvn_17_32_kernelILj19E21rocsparse_complex_numIdElidS2_S2_EEvT2_20rocsparse_direction_NS_24const_host_device_scalarIT0_EES3_PKS3_PKT1_SC_S9_PKT3_PKT4_S7_PT5_21rocsparse_index_base_b, .Lfunc_end450-_ZN9rocsparseL20bsrxmvn_17_32_kernelILj19E21rocsparse_complex_numIdElidS2_S2_EEvT2_20rocsparse_direction_NS_24const_host_device_scalarIT0_EES3_PKS3_PKT1_SC_S9_PKT3_PKT4_S7_PT5_21rocsparse_index_base_b
                                        ; -- End function
	.section	.AMDGPU.csdata,"",@progbits
; Kernel info:
; codeLenInByte = 2176
; NumSgprs: 23
; NumVgprs: 26
; ScratchSize: 0
; MemoryBound: 0
; FloatMode: 240
; IeeeMode: 1
; LDSByteSize: 11552 bytes/workgroup (compile time only)
; SGPRBlocks: 2
; VGPRBlocks: 3
; NumSGPRsForWavesPerEU: 23
; NumVGPRsForWavesPerEU: 26
; Occupancy: 15
; WaveLimiterHint : 1
; COMPUTE_PGM_RSRC2:SCRATCH_EN: 0
; COMPUTE_PGM_RSRC2:USER_SGPR: 15
; COMPUTE_PGM_RSRC2:TRAP_HANDLER: 0
; COMPUTE_PGM_RSRC2:TGID_X_EN: 1
; COMPUTE_PGM_RSRC2:TGID_Y_EN: 0
; COMPUTE_PGM_RSRC2:TGID_Z_EN: 0
; COMPUTE_PGM_RSRC2:TIDIG_COMP_CNT: 2
	.section	.text._ZN9rocsparseL20bsrxmvn_17_32_kernelILj20E21rocsparse_complex_numIdElidS2_S2_EEvT2_20rocsparse_direction_NS_24const_host_device_scalarIT0_EES3_PKS3_PKT1_SC_S9_PKT3_PKT4_S7_PT5_21rocsparse_index_base_b,"axG",@progbits,_ZN9rocsparseL20bsrxmvn_17_32_kernelILj20E21rocsparse_complex_numIdElidS2_S2_EEvT2_20rocsparse_direction_NS_24const_host_device_scalarIT0_EES3_PKS3_PKT1_SC_S9_PKT3_PKT4_S7_PT5_21rocsparse_index_base_b,comdat
	.globl	_ZN9rocsparseL20bsrxmvn_17_32_kernelILj20E21rocsparse_complex_numIdElidS2_S2_EEvT2_20rocsparse_direction_NS_24const_host_device_scalarIT0_EES3_PKS3_PKT1_SC_S9_PKT3_PKT4_S7_PT5_21rocsparse_index_base_b ; -- Begin function _ZN9rocsparseL20bsrxmvn_17_32_kernelILj20E21rocsparse_complex_numIdElidS2_S2_EEvT2_20rocsparse_direction_NS_24const_host_device_scalarIT0_EES3_PKS3_PKT1_SC_S9_PKT3_PKT4_S7_PT5_21rocsparse_index_base_b
	.p2align	8
	.type	_ZN9rocsparseL20bsrxmvn_17_32_kernelILj20E21rocsparse_complex_numIdElidS2_S2_EEvT2_20rocsparse_direction_NS_24const_host_device_scalarIT0_EES3_PKS3_PKT1_SC_S9_PKT3_PKT4_S7_PT5_21rocsparse_index_base_b,@function
_ZN9rocsparseL20bsrxmvn_17_32_kernelILj20E21rocsparse_complex_numIdElidS2_S2_EEvT2_20rocsparse_direction_NS_24const_host_device_scalarIT0_EES3_PKS3_PKT1_SC_S9_PKT3_PKT4_S7_PT5_21rocsparse_index_base_b: ; @_ZN9rocsparseL20bsrxmvn_17_32_kernelILj20E21rocsparse_complex_numIdElidS2_S2_EEvT2_20rocsparse_direction_NS_24const_host_device_scalarIT0_EES3_PKS3_PKT1_SC_S9_PKT3_PKT4_S7_PT5_21rocsparse_index_base_b
; %bb.0:
	s_mov_b32 s12, s15
	s_clause 0x1
	s_load_b64 s[14:15], s[2:3], 0x68
	s_load_b128 s[4:7], s[2:3], 0x8
	s_load_b64 s[16:17], s[0:1], 0x4
	s_mov_b64 s[0:1], src_shared_base
	v_and_b32_e32 v4, 0x3ff, v0
	s_load_b128 s[8:11], s[2:3], 0x50
	v_bfe_u32 v2, v0, 10, 10
	v_bfe_u32 v0, v0, 20, 10
	s_waitcnt lgkmcnt(0)
	s_bitcmp1_b32 s15, 0
	v_mov_b32_e32 v12, s7
	s_cselect_b32 s0, -1, 0
	v_mov_b32_e32 v11, s6
	s_and_b32 vcc_lo, s0, exec_lo
	s_cselect_b32 s13, s1, s5
	s_lshr_b32 s15, s16, 16
	v_mov_b32_e32 v6, s13
	s_mul_i32 s15, s15, s17
	s_xor_b32 s6, s0, -1
	v_mul_lo_u32 v1, s15, v4
	s_delay_alu instid0(VALU_DEP_1) | instskip(SKIP_1) | instid1(VALU_DEP_2)
	v_mad_u32_u24 v1, v2, s17, v1
	v_dual_mov_b32 v2, s8 :: v_dual_mov_b32 v3, s9
	v_add_lshl_u32 v7, v1, v0, 3
	v_dual_mov_b32 v0, s4 :: v_dual_mov_b32 v1, s5
	ds_store_b64 v7, v[0:1] offset:9600
	ds_store_b64 v7, v[2:3] offset:6400
	v_add_nc_u32_e32 v5, 0x2580, v7
	v_add_nc_u32_e32 v0, 0x1900, v7
	s_delay_alu instid0(VALU_DEP_2)
	v_cndmask_b32_e64 v5, s4, v5, s0
	flat_load_b64 v[9:10], v[5:6]
	s_cbranch_vccnz .LBB451_2
; %bb.1:
	v_dual_mov_b32 v1, s4 :: v_dual_mov_b32 v2, s5
	flat_load_b64 v[11:12], v[1:2] offset:8
.LBB451_2:
	s_and_b32 s4, s0, exec_lo
	s_cselect_b32 s1, s1, s9
	v_cndmask_b32_e64 v0, s8, v0, s0
	v_mov_b32_e32 v1, s1
	v_dual_mov_b32 v7, s10 :: v_dual_mov_b32 v8, s11
	s_and_not1_b32 vcc_lo, exec_lo, s6
	flat_load_b64 v[5:6], v[0:1]
	s_cbranch_vccnz .LBB451_4
; %bb.3:
	v_dual_mov_b32 v0, s8 :: v_dual_mov_b32 v1, s9
	flat_load_b64 v[7:8], v[0:1] offset:8
.LBB451_4:
	s_waitcnt vmcnt(1) lgkmcnt(1)
	v_cmp_eq_f64_e32 vcc_lo, 0, v[9:10]
	v_cmp_eq_f64_e64 s0, 0, v[11:12]
	s_delay_alu instid0(VALU_DEP_1)
	s_and_b32 s4, vcc_lo, s0
	s_mov_b32 s0, -1
	s_and_saveexec_b32 s1, s4
	s_cbranch_execz .LBB451_6
; %bb.5:
	s_waitcnt vmcnt(0) lgkmcnt(0)
	v_cmp_neq_f64_e32 vcc_lo, 1.0, v[5:6]
	v_cmp_neq_f64_e64 s0, 0, v[7:8]
	s_delay_alu instid0(VALU_DEP_1) | instskip(NEXT) | instid1(SALU_CYCLE_1)
	s_or_b32 s0, vcc_lo, s0
	s_or_not1_b32 s0, s0, exec_lo
.LBB451_6:
	s_or_b32 exec_lo, exec_lo, s1
	s_and_saveexec_b32 s1, s0
	s_cbranch_execz .LBB451_43
; %bb.7:
	s_clause 0x1
	s_load_b128 s[4:7], s[2:3], 0x20
	s_load_b64 s[8:9], s[2:3], 0x30
	s_waitcnt lgkmcnt(0)
	s_cmp_eq_u64 s[4:5], 0
	s_cbranch_scc1 .LBB451_9
; %bb.8:
	s_ashr_i32 s13, s12, 31
	s_delay_alu instid0(SALU_CYCLE_1) | instskip(NEXT) | instid1(SALU_CYCLE_1)
	s_lshl_b64 s[0:1], s[12:13], 2
	s_add_u32 s0, s4, s0
	s_addc_u32 s1, s5, s1
	s_load_b32 s0, s[0:1], 0x0
	s_waitcnt lgkmcnt(0)
	s_sub_i32 s12, s0, s14
.LBB451_9:
	s_load_b32 s1, s[2:3], 0x4
	v_mul_u32_u24_e32 v0, 0xccd, v4
	v_mov_b32_e32 v2, 0
	v_mov_b32_e32 v3, 0
	s_delay_alu instid0(VALU_DEP_3) | instskip(NEXT) | instid1(VALU_DEP_1)
	v_lshrrev_b32_e32 v13, 16, v0
	v_mul_lo_u16 v0, v13, 20
	s_delay_alu instid0(VALU_DEP_1) | instskip(NEXT) | instid1(VALU_DEP_4)
	v_sub_nc_u16 v18, v4, v0
	v_dual_mov_b32 v0, v2 :: v_dual_mov_b32 v1, v3
	s_waitcnt lgkmcnt(0)
	s_cmp_eq_u32 s1, 1
	s_cselect_b32 s0, -1, 0
	s_cmp_lg_u32 s1, 1
	s_cselect_b32 s1, -1, 0
	s_ashr_i32 s13, s12, 31
	s_delay_alu instid0(SALU_CYCLE_1) | instskip(NEXT) | instid1(SALU_CYCLE_1)
	s_lshl_b64 s[4:5], s[12:13], 3
	s_add_u32 s6, s6, s4
	s_addc_u32 s7, s7, s5
	s_add_u32 s10, s6, 8
	s_addc_u32 s11, s7, 0
	;; [unrolled: 2-line block ×3, first 2 shown]
	s_cmp_eq_u64 s[8:9], 0
	s_load_b64 s[8:9], s[2:3], 0x60
	s_cselect_b32 s5, s11, s5
	s_cselect_b32 s4, s10, s4
	s_load_b64 s[18:19], s[6:7], 0x0
	s_load_b64 s[16:17], s[4:5], 0x0
	s_waitcnt lgkmcnt(0)
	v_cmp_ge_i64_e64 s4, s[18:19], s[16:17]
	s_delay_alu instid0(VALU_DEP_1)
	s_and_b32 vcc_lo, exec_lo, s4
	s_cbranch_vccnz .LBB451_14
; %bb.10:
	v_mul_lo_u16 v0, v13, 13
	v_and_b32_e32 v1, 0xffff, v4
	s_clause 0x1
	s_load_b64 s[10:11], s[2:3], 0x48
	s_load_b128 s[4:7], s[2:3], 0x38
	s_sub_u32 s2, s16, s14
	s_subb_u32 s3, s17, 0
	v_lshrrev_b16 v0, 8, v0
	v_mul_u32_u24_e32 v1, 0xa4, v1
	v_and_b32_e32 v2, 0xffff, v18
	s_sub_u32 s16, s18, s14
	s_subb_u32 s17, s19, 0
	v_mul_lo_u16 v0, v0, 20
	v_lshrrev_b32_e32 v19, 16, v1
	s_mul_hi_u32 s13, s16, 0xc80
	s_mul_i32 s20, s17, 0xc80
	s_mul_i32 s15, s16, 0xc80
	v_sub_nc_u16 v0, v13, v0
	v_add_co_u32 v1, s18, s18, v19
	s_delay_alu instid0(VALU_DEP_1) | instskip(NEXT) | instid1(VALU_DEP_3)
	v_add_co_ci_u32_e64 v3, null, s19, 0, s18
	v_and_b32_e32 v0, 0xff, v0
	s_add_i32 s13, s13, s20
	s_delay_alu instid0(VALU_DEP_1) | instskip(SKIP_4) | instid1(VALU_DEP_3)
	v_cndmask_b32_e64 v13, v2, v0, s0
	v_sub_co_u32 v0, vcc_lo, v1, s14
	v_subrev_co_ci_u32_e32 v1, vcc_lo, 0, v3, vcc_lo
	v_mov_b32_e32 v2, 0
	v_dual_mov_b32 v3, 0 :: v_dual_lshlrev_b32 v14, 3, v4
	v_lshlrev_b64 v[0:1], 2, v[0:1]
	s_waitcnt lgkmcnt(0)
	s_add_u32 s0, s6, s15
	s_addc_u32 s6, s7, s13
	s_delay_alu instid0(VALU_DEP_1) | instskip(NEXT) | instid1(VALU_DEP_2)
	v_add_co_u32 v16, vcc_lo, s4, v0
	v_add_co_ci_u32_e32 v17, vcc_lo, s5, v1, vcc_lo
	v_dual_mov_b32 v0, v2 :: v_dual_mov_b32 v1, v3
	v_add_co_u32 v14, s0, s0, v14
	s_delay_alu instid0(VALU_DEP_1)
	v_add_co_ci_u32_e64 v15, null, s6, 0, s0
	s_set_inst_prefetch_distance 0x1
	s_branch .LBB451_12
	.p2align	6
.LBB451_11:                             ;   in Loop: Header=BB451_12 Depth=1
	s_or_b32 exec_lo, exec_lo, s0
	s_add_u32 s16, s16, 1
	s_addc_u32 s17, s17, 0
	v_add_co_u32 v16, vcc_lo, v16, 4
	v_cmp_lt_i64_e64 s0, s[16:17], s[2:3]
	v_add_co_ci_u32_e32 v17, vcc_lo, 0, v17, vcc_lo
	s_delay_alu instid0(VALU_DEP_2)
	s_and_b32 vcc_lo, exec_lo, s0
	s_cbranch_vccz .LBB451_14
.LBB451_12:                             ; =>This Inner Loop Header: Depth=1
	v_add_co_u32 v20, s0, v19, s16
	s_delay_alu instid0(VALU_DEP_1) | instskip(SKIP_1) | instid1(VALU_DEP_1)
	v_add_co_ci_u32_e64 v21, null, 0, s17, s0
	s_mov_b32 s0, exec_lo
	v_cmpx_gt_i64_e64 s[2:3], v[20:21]
	s_cbranch_execz .LBB451_11
; %bb.13:                               ;   in Loop: Header=BB451_12 Depth=1
	global_load_b32 v20, v[16:17], off
	s_waitcnt vmcnt(0)
	v_subrev_nc_u32_e32 v22, s14, v20
	s_delay_alu instid0(VALU_DEP_1) | instskip(NEXT) | instid1(VALU_DEP_1)
	v_mad_u64_u32 v[20:21], null, v22, 20, v[13:14]
	v_ashrrev_i32_e32 v21, 31, v20
	s_delay_alu instid0(VALU_DEP_1) | instskip(NEXT) | instid1(VALU_DEP_1)
	v_lshlrev_b64 v[20:21], 4, v[20:21]
	v_add_co_u32 v20, vcc_lo, s10, v20
	s_delay_alu instid0(VALU_DEP_2)
	v_add_co_ci_u32_e32 v21, vcc_lo, s11, v21, vcc_lo
	global_load_b64 v[24:25], v[14:15], off
	global_load_b128 v[20:23], v[20:21], off
	v_add_co_u32 v14, vcc_lo, 0xc80, v14
	v_add_co_ci_u32_e32 v15, vcc_lo, 0, v15, vcc_lo
	s_waitcnt vmcnt(0)
	v_fma_f64 v[0:1], v[24:25], v[20:21], v[0:1]
	v_fma_f64 v[2:3], v[20:21], 0, v[2:3]
	s_delay_alu instid0(VALU_DEP_2) | instskip(NEXT) | instid1(VALU_DEP_2)
	v_fma_f64 v[0:1], 0x80000000, v[22:23], v[0:1]
	v_fma_f64 v[2:3], v[24:25], v[22:23], v[2:3]
	s_branch .LBB451_11
.LBB451_14:
	s_set_inst_prefetch_distance 0x2
	v_lshlrev_b32_e32 v17, 4, v4
	s_and_b32 vcc_lo, exec_lo, s1
	ds_store_b128 v17, v[0:3]
	s_waitcnt vmcnt(0) lgkmcnt(0)
	s_barrier
	buffer_gl0_inv
	s_cbranch_vccz .LBB451_26
; %bb.15:
	v_cmp_gt_u16_e32 vcc_lo, 4, v18
	s_and_saveexec_b32 s0, vcc_lo
	s_cbranch_execz .LBB451_17
; %bb.16:
	ds_load_b128 v[13:16], v17 offset:256
	ds_load_b128 v[19:22], v17
	s_waitcnt lgkmcnt(0)
	v_add_f64 v[13:14], v[13:14], v[19:20]
	v_add_f64 v[15:16], v[15:16], v[21:22]
	ds_store_b128 v17, v[13:16]
.LBB451_17:
	s_or_b32 exec_lo, exec_lo, s0
	s_delay_alu instid0(SALU_CYCLE_1)
	s_mov_b32 s1, exec_lo
	s_waitcnt lgkmcnt(0)
	s_barrier
	buffer_gl0_inv
	v_cmpx_gt_u16_e32 8, v18
	s_cbranch_execz .LBB451_19
; %bb.18:
	ds_load_b128 v[13:16], v17 offset:128
	ds_load_b128 v[19:22], v17
	s_waitcnt lgkmcnt(0)
	v_add_f64 v[13:14], v[13:14], v[19:20]
	v_add_f64 v[15:16], v[15:16], v[21:22]
	ds_store_b128 v17, v[13:16]
.LBB451_19:
	s_or_b32 exec_lo, exec_lo, s1
	s_waitcnt lgkmcnt(0)
	s_barrier
	buffer_gl0_inv
	s_and_saveexec_b32 s0, vcc_lo
	s_cbranch_execz .LBB451_21
; %bb.20:
	ds_load_b128 v[13:16], v17 offset:64
	ds_load_b128 v[19:22], v17
	s_waitcnt lgkmcnt(0)
	v_add_f64 v[13:14], v[13:14], v[19:20]
	v_add_f64 v[15:16], v[15:16], v[21:22]
	ds_store_b128 v17, v[13:16]
.LBB451_21:
	s_or_b32 exec_lo, exec_lo, s0
	s_delay_alu instid0(SALU_CYCLE_1)
	s_mov_b32 s0, exec_lo
	s_waitcnt lgkmcnt(0)
	s_barrier
	buffer_gl0_inv
	v_cmpx_gt_u16_e32 2, v18
	s_cbranch_execz .LBB451_23
; %bb.22:
	ds_load_b128 v[13:16], v17
	ds_load_b128 v[18:21], v17 offset:32
	s_waitcnt lgkmcnt(0)
	v_add_f64 v[13:14], v[18:19], v[13:14]
	v_add_f64 v[15:16], v[20:21], v[15:16]
	ds_store_b128 v17, v[13:16]
.LBB451_23:
	s_or_b32 exec_lo, exec_lo, s0
	v_dual_mov_b32 v16, v3 :: v_dual_mov_b32 v15, v2
	v_dual_mov_b32 v14, v1 :: v_dual_mov_b32 v13, v0
	s_mov_b32 s0, exec_lo
	s_waitcnt lgkmcnt(0)
	s_barrier
	buffer_gl0_inv
	v_cmpx_gt_u32_e32 20, v4
	s_cbranch_execz .LBB451_25
; %bb.24:
	v_mul_u32_u24_e32 v13, 20, v4
	s_delay_alu instid0(VALU_DEP_1)
	v_lshlrev_b32_e32 v18, 4, v13
	ds_load_b128 v[13:16], v18
	ds_load_b128 v[18:21], v18 offset:16
	s_waitcnt lgkmcnt(0)
	v_add_f64 v[13:14], v[18:19], v[13:14]
	v_add_f64 v[15:16], v[20:21], v[15:16]
.LBB451_25:
	s_or_b32 exec_lo, exec_lo, s0
	s_branch .LBB451_38
.LBB451_26:
                                        ; implicit-def: $vgpr15_vgpr16
                                        ; implicit-def: $vgpr13_vgpr14
	s_cbranch_execz .LBB451_38
; %bb.27:
	v_cmp_gt_u32_e32 vcc_lo, 0x50, v4
	s_and_saveexec_b32 s0, vcc_lo
	s_cbranch_execz .LBB451_29
; %bb.28:
	ds_load_b128 v[13:16], v17 offset:5120
	ds_load_b128 v[18:21], v17
	s_waitcnt lgkmcnt(0)
	v_add_f64 v[13:14], v[13:14], v[18:19]
	v_add_f64 v[15:16], v[15:16], v[20:21]
	ds_store_b128 v17, v[13:16]
.LBB451_29:
	s_or_b32 exec_lo, exec_lo, s0
	s_delay_alu instid0(SALU_CYCLE_1)
	s_mov_b32 s1, exec_lo
	s_waitcnt lgkmcnt(0)
	s_barrier
	buffer_gl0_inv
	v_cmpx_gt_u32_e32 0xa0, v4
	s_cbranch_execz .LBB451_31
; %bb.30:
	ds_load_b128 v[13:16], v17 offset:2560
	ds_load_b128 v[18:21], v17
	s_waitcnt lgkmcnt(0)
	v_add_f64 v[13:14], v[13:14], v[18:19]
	v_add_f64 v[15:16], v[15:16], v[20:21]
	ds_store_b128 v17, v[13:16]
.LBB451_31:
	s_or_b32 exec_lo, exec_lo, s1
	s_waitcnt lgkmcnt(0)
	s_barrier
	buffer_gl0_inv
	s_and_saveexec_b32 s0, vcc_lo
	s_cbranch_execz .LBB451_33
; %bb.32:
	ds_load_b128 v[13:16], v17 offset:1280
	ds_load_b128 v[18:21], v17
	s_waitcnt lgkmcnt(0)
	v_add_f64 v[13:14], v[13:14], v[18:19]
	v_add_f64 v[15:16], v[15:16], v[20:21]
	ds_store_b128 v17, v[13:16]
.LBB451_33:
	s_or_b32 exec_lo, exec_lo, s0
	s_delay_alu instid0(SALU_CYCLE_1)
	s_mov_b32 s0, exec_lo
	s_waitcnt lgkmcnt(0)
	s_barrier
	buffer_gl0_inv
	v_cmpx_gt_u32_e32 40, v4
	s_cbranch_execz .LBB451_35
; %bb.34:
	ds_load_b128 v[13:16], v17 offset:640
	ds_load_b128 v[18:21], v17
	s_waitcnt lgkmcnt(0)
	v_add_f64 v[13:14], v[13:14], v[18:19]
	v_add_f64 v[15:16], v[15:16], v[20:21]
	ds_store_b128 v17, v[13:16]
.LBB451_35:
	s_or_b32 exec_lo, exec_lo, s0
	s_delay_alu instid0(SALU_CYCLE_1)
	s_mov_b32 s0, exec_lo
	s_waitcnt lgkmcnt(0)
	buffer_gl0_inv
	v_cmpx_gt_u32_e32 20, v4
	s_cbranch_execz .LBB451_37
; %bb.36:
	ds_load_b128 v[0:3], v17 offset:320
	ds_load_b128 v[13:16], v17
	s_waitcnt lgkmcnt(0)
	v_add_f64 v[0:1], v[0:1], v[13:14]
	v_add_f64 v[2:3], v[2:3], v[15:16]
.LBB451_37:
	s_or_b32 exec_lo, exec_lo, s0
	s_delay_alu instid0(VALU_DEP_1) | instskip(NEXT) | instid1(VALU_DEP_3)
	v_dual_mov_b32 v16, v3 :: v_dual_mov_b32 v15, v2
	v_dual_mov_b32 v14, v1 :: v_dual_mov_b32 v13, v0
.LBB451_38:
	v_cmp_gt_u32_e32 vcc_lo, 20, v4
	s_and_b32 exec_lo, exec_lo, vcc_lo
	s_cbranch_execz .LBB451_43
; %bb.39:
	s_delay_alu instid0(VALU_DEP_2) | instskip(SKIP_3) | instid1(VALU_DEP_4)
	v_mul_f64 v[0:1], v[15:16], -v[11:12]
	v_mul_f64 v[2:3], v[9:10], v[15:16]
	v_cmp_eq_f64_e32 vcc_lo, 0, v[5:6]
	v_cmp_eq_f64_e64 s0, 0, v[7:8]
	v_fma_f64 v[0:1], v[9:10], v[13:14], v[0:1]
	s_delay_alu instid0(VALU_DEP_4) | instskip(NEXT) | instid1(VALU_DEP_3)
	v_fma_f64 v[2:3], v[11:12], v[13:14], v[2:3]
	s_and_b32 s0, vcc_lo, s0
	s_delay_alu instid0(SALU_CYCLE_1) | instskip(NEXT) | instid1(SALU_CYCLE_1)
	s_and_saveexec_b32 s1, s0
	s_xor_b32 s0, exec_lo, s1
	s_cbranch_execz .LBB451_41
; %bb.40:
	v_mad_u64_u32 v[5:6], null, s12, 20, v[4:5]
	v_mov_b32_e32 v6, 0
                                        ; implicit-def: $vgpr7_vgpr8
	s_delay_alu instid0(VALU_DEP_1) | instskip(NEXT) | instid1(VALU_DEP_1)
	v_lshlrev_b64 v[4:5], 4, v[5:6]
	v_add_co_u32 v4, vcc_lo, s8, v4
	s_delay_alu instid0(VALU_DEP_2)
	v_add_co_ci_u32_e32 v5, vcc_lo, s9, v5, vcc_lo
	global_store_b128 v[4:5], v[0:3], off
                                        ; implicit-def: $vgpr4
                                        ; implicit-def: $vgpr5_vgpr6
                                        ; implicit-def: $vgpr0_vgpr1
.LBB451_41:
	s_and_not1_saveexec_b32 s0, s0
	s_cbranch_execz .LBB451_43
; %bb.42:
	v_mad_u64_u32 v[9:10], null, s12, 20, v[4:5]
	v_mov_b32_e32 v10, 0
	s_delay_alu instid0(VALU_DEP_1) | instskip(NEXT) | instid1(VALU_DEP_1)
	v_lshlrev_b64 v[9:10], 4, v[9:10]
	v_add_co_u32 v13, vcc_lo, s8, v9
	s_delay_alu instid0(VALU_DEP_2) | instskip(SKIP_4) | instid1(VALU_DEP_2)
	v_add_co_ci_u32_e32 v14, vcc_lo, s9, v10, vcc_lo
	global_load_b128 v[9:12], v[13:14], off
	s_waitcnt vmcnt(0)
	v_fma_f64 v[0:1], v[5:6], v[9:10], v[0:1]
	v_fma_f64 v[2:3], v[7:8], v[9:10], v[2:3]
	v_fma_f64 v[0:1], -v[7:8], v[11:12], v[0:1]
	s_delay_alu instid0(VALU_DEP_2)
	v_fma_f64 v[2:3], v[5:6], v[11:12], v[2:3]
	global_store_b128 v[13:14], v[0:3], off
.LBB451_43:
	s_nop 0
	s_sendmsg sendmsg(MSG_DEALLOC_VGPRS)
	s_endpgm
	.section	.rodata,"a",@progbits
	.p2align	6, 0x0
	.amdhsa_kernel _ZN9rocsparseL20bsrxmvn_17_32_kernelILj20E21rocsparse_complex_numIdElidS2_S2_EEvT2_20rocsparse_direction_NS_24const_host_device_scalarIT0_EES3_PKS3_PKT1_SC_S9_PKT3_PKT4_S7_PT5_21rocsparse_index_base_b
		.amdhsa_group_segment_fixed_size 12800
		.amdhsa_private_segment_fixed_size 0
		.amdhsa_kernarg_size 112
		.amdhsa_user_sgpr_count 15
		.amdhsa_user_sgpr_dispatch_ptr 1
		.amdhsa_user_sgpr_queue_ptr 0
		.amdhsa_user_sgpr_kernarg_segment_ptr 1
		.amdhsa_user_sgpr_dispatch_id 0
		.amdhsa_user_sgpr_private_segment_size 0
		.amdhsa_wavefront_size32 1
		.amdhsa_uses_dynamic_stack 0
		.amdhsa_enable_private_segment 0
		.amdhsa_system_sgpr_workgroup_id_x 1
		.amdhsa_system_sgpr_workgroup_id_y 0
		.amdhsa_system_sgpr_workgroup_id_z 0
		.amdhsa_system_sgpr_workgroup_info 0
		.amdhsa_system_vgpr_workitem_id 2
		.amdhsa_next_free_vgpr 26
		.amdhsa_next_free_sgpr 21
		.amdhsa_reserve_vcc 1
		.amdhsa_float_round_mode_32 0
		.amdhsa_float_round_mode_16_64 0
		.amdhsa_float_denorm_mode_32 3
		.amdhsa_float_denorm_mode_16_64 3
		.amdhsa_dx10_clamp 1
		.amdhsa_ieee_mode 1
		.amdhsa_fp16_overflow 0
		.amdhsa_workgroup_processor_mode 1
		.amdhsa_memory_ordered 1
		.amdhsa_forward_progress 0
		.amdhsa_shared_vgpr_count 0
		.amdhsa_exception_fp_ieee_invalid_op 0
		.amdhsa_exception_fp_denorm_src 0
		.amdhsa_exception_fp_ieee_div_zero 0
		.amdhsa_exception_fp_ieee_overflow 0
		.amdhsa_exception_fp_ieee_underflow 0
		.amdhsa_exception_fp_ieee_inexact 0
		.amdhsa_exception_int_div_zero 0
	.end_amdhsa_kernel
	.section	.text._ZN9rocsparseL20bsrxmvn_17_32_kernelILj20E21rocsparse_complex_numIdElidS2_S2_EEvT2_20rocsparse_direction_NS_24const_host_device_scalarIT0_EES3_PKS3_PKT1_SC_S9_PKT3_PKT4_S7_PT5_21rocsparse_index_base_b,"axG",@progbits,_ZN9rocsparseL20bsrxmvn_17_32_kernelILj20E21rocsparse_complex_numIdElidS2_S2_EEvT2_20rocsparse_direction_NS_24const_host_device_scalarIT0_EES3_PKS3_PKT1_SC_S9_PKT3_PKT4_S7_PT5_21rocsparse_index_base_b,comdat
.Lfunc_end451:
	.size	_ZN9rocsparseL20bsrxmvn_17_32_kernelILj20E21rocsparse_complex_numIdElidS2_S2_EEvT2_20rocsparse_direction_NS_24const_host_device_scalarIT0_EES3_PKS3_PKT1_SC_S9_PKT3_PKT4_S7_PT5_21rocsparse_index_base_b, .Lfunc_end451-_ZN9rocsparseL20bsrxmvn_17_32_kernelILj20E21rocsparse_complex_numIdElidS2_S2_EEvT2_20rocsparse_direction_NS_24const_host_device_scalarIT0_EES3_PKS3_PKT1_SC_S9_PKT3_PKT4_S7_PT5_21rocsparse_index_base_b
                                        ; -- End function
	.section	.AMDGPU.csdata,"",@progbits
; Kernel info:
; codeLenInByte = 2160
; NumSgprs: 23
; NumVgprs: 26
; ScratchSize: 0
; MemoryBound: 0
; FloatMode: 240
; IeeeMode: 1
; LDSByteSize: 12800 bytes/workgroup (compile time only)
; SGPRBlocks: 2
; VGPRBlocks: 3
; NumSGPRsForWavesPerEU: 23
; NumVGPRsForWavesPerEU: 26
; Occupancy: 13
; WaveLimiterHint : 1
; COMPUTE_PGM_RSRC2:SCRATCH_EN: 0
; COMPUTE_PGM_RSRC2:USER_SGPR: 15
; COMPUTE_PGM_RSRC2:TRAP_HANDLER: 0
; COMPUTE_PGM_RSRC2:TGID_X_EN: 1
; COMPUTE_PGM_RSRC2:TGID_Y_EN: 0
; COMPUTE_PGM_RSRC2:TGID_Z_EN: 0
; COMPUTE_PGM_RSRC2:TIDIG_COMP_CNT: 2
	.section	.text._ZN9rocsparseL20bsrxmvn_17_32_kernelILj21E21rocsparse_complex_numIdElidS2_S2_EEvT2_20rocsparse_direction_NS_24const_host_device_scalarIT0_EES3_PKS3_PKT1_SC_S9_PKT3_PKT4_S7_PT5_21rocsparse_index_base_b,"axG",@progbits,_ZN9rocsparseL20bsrxmvn_17_32_kernelILj21E21rocsparse_complex_numIdElidS2_S2_EEvT2_20rocsparse_direction_NS_24const_host_device_scalarIT0_EES3_PKS3_PKT1_SC_S9_PKT3_PKT4_S7_PT5_21rocsparse_index_base_b,comdat
	.globl	_ZN9rocsparseL20bsrxmvn_17_32_kernelILj21E21rocsparse_complex_numIdElidS2_S2_EEvT2_20rocsparse_direction_NS_24const_host_device_scalarIT0_EES3_PKS3_PKT1_SC_S9_PKT3_PKT4_S7_PT5_21rocsparse_index_base_b ; -- Begin function _ZN9rocsparseL20bsrxmvn_17_32_kernelILj21E21rocsparse_complex_numIdElidS2_S2_EEvT2_20rocsparse_direction_NS_24const_host_device_scalarIT0_EES3_PKS3_PKT1_SC_S9_PKT3_PKT4_S7_PT5_21rocsparse_index_base_b
	.p2align	8
	.type	_ZN9rocsparseL20bsrxmvn_17_32_kernelILj21E21rocsparse_complex_numIdElidS2_S2_EEvT2_20rocsparse_direction_NS_24const_host_device_scalarIT0_EES3_PKS3_PKT1_SC_S9_PKT3_PKT4_S7_PT5_21rocsparse_index_base_b,@function
_ZN9rocsparseL20bsrxmvn_17_32_kernelILj21E21rocsparse_complex_numIdElidS2_S2_EEvT2_20rocsparse_direction_NS_24const_host_device_scalarIT0_EES3_PKS3_PKT1_SC_S9_PKT3_PKT4_S7_PT5_21rocsparse_index_base_b: ; @_ZN9rocsparseL20bsrxmvn_17_32_kernelILj21E21rocsparse_complex_numIdElidS2_S2_EEvT2_20rocsparse_direction_NS_24const_host_device_scalarIT0_EES3_PKS3_PKT1_SC_S9_PKT3_PKT4_S7_PT5_21rocsparse_index_base_b
; %bb.0:
	s_mov_b32 s12, s15
	s_clause 0x1
	s_load_b64 s[14:15], s[2:3], 0x68
	s_load_b128 s[4:7], s[2:3], 0x8
	s_load_b64 s[16:17], s[0:1], 0x4
	s_mov_b64 s[0:1], src_shared_base
	v_and_b32_e32 v4, 0x3ff, v0
	s_load_b128 s[8:11], s[2:3], 0x50
	v_bfe_u32 v2, v0, 10, 10
	v_bfe_u32 v0, v0, 20, 10
	s_waitcnt lgkmcnt(0)
	s_bitcmp1_b32 s15, 0
	v_mov_b32_e32 v12, s7
	s_cselect_b32 s0, -1, 0
	v_mov_b32_e32 v11, s6
	s_and_b32 vcc_lo, s0, exec_lo
	s_cselect_b32 s13, s1, s5
	s_lshr_b32 s15, s16, 16
	v_mov_b32_e32 v6, s13
	s_mul_i32 s15, s15, s17
	s_xor_b32 s6, s0, -1
	v_mul_lo_u32 v1, s15, v4
	s_delay_alu instid0(VALU_DEP_1) | instskip(SKIP_1) | instid1(VALU_DEP_2)
	v_mad_u32_u24 v1, v2, s17, v1
	v_dual_mov_b32 v2, s8 :: v_dual_mov_b32 v3, s9
	v_add_lshl_u32 v7, v1, v0, 3
	v_dual_mov_b32 v0, s4 :: v_dual_mov_b32 v1, s5
	ds_store_b64 v7, v[0:1] offset:10584
	ds_store_b64 v7, v[2:3] offset:7056
	v_add_nc_u32_e32 v5, 0x2958, v7
	v_add_nc_u32_e32 v0, 0x1b90, v7
	s_delay_alu instid0(VALU_DEP_2)
	v_cndmask_b32_e64 v5, s4, v5, s0
	flat_load_b64 v[9:10], v[5:6]
	s_cbranch_vccnz .LBB452_2
; %bb.1:
	v_dual_mov_b32 v1, s4 :: v_dual_mov_b32 v2, s5
	flat_load_b64 v[11:12], v[1:2] offset:8
.LBB452_2:
	s_and_b32 s4, s0, exec_lo
	s_cselect_b32 s1, s1, s9
	v_cndmask_b32_e64 v0, s8, v0, s0
	v_mov_b32_e32 v1, s1
	v_dual_mov_b32 v7, s10 :: v_dual_mov_b32 v8, s11
	s_and_not1_b32 vcc_lo, exec_lo, s6
	flat_load_b64 v[5:6], v[0:1]
	s_cbranch_vccnz .LBB452_4
; %bb.3:
	v_dual_mov_b32 v0, s8 :: v_dual_mov_b32 v1, s9
	flat_load_b64 v[7:8], v[0:1] offset:8
.LBB452_4:
	s_waitcnt vmcnt(1) lgkmcnt(1)
	v_cmp_eq_f64_e32 vcc_lo, 0, v[9:10]
	v_cmp_eq_f64_e64 s0, 0, v[11:12]
	s_delay_alu instid0(VALU_DEP_1)
	s_and_b32 s4, vcc_lo, s0
	s_mov_b32 s0, -1
	s_and_saveexec_b32 s1, s4
	s_cbranch_execz .LBB452_6
; %bb.5:
	s_waitcnt vmcnt(0) lgkmcnt(0)
	v_cmp_neq_f64_e32 vcc_lo, 1.0, v[5:6]
	v_cmp_neq_f64_e64 s0, 0, v[7:8]
	s_delay_alu instid0(VALU_DEP_1) | instskip(NEXT) | instid1(SALU_CYCLE_1)
	s_or_b32 s0, vcc_lo, s0
	s_or_not1_b32 s0, s0, exec_lo
.LBB452_6:
	s_or_b32 exec_lo, exec_lo, s1
	s_and_saveexec_b32 s1, s0
	s_cbranch_execz .LBB452_43
; %bb.7:
	s_clause 0x1
	s_load_b128 s[4:7], s[2:3], 0x20
	s_load_b64 s[8:9], s[2:3], 0x30
	s_waitcnt lgkmcnt(0)
	s_cmp_eq_u64 s[4:5], 0
	s_cbranch_scc1 .LBB452_9
; %bb.8:
	s_ashr_i32 s13, s12, 31
	s_delay_alu instid0(SALU_CYCLE_1) | instskip(NEXT) | instid1(SALU_CYCLE_1)
	s_lshl_b64 s[0:1], s[12:13], 2
	s_add_u32 s0, s4, s0
	s_addc_u32 s1, s5, s1
	s_load_b32 s0, s[0:1], 0x0
	s_waitcnt lgkmcnt(0)
	s_sub_i32 s12, s0, s14
.LBB452_9:
	s_load_b32 s1, s[2:3], 0x4
	v_mul_u32_u24_e32 v0, 0xc31, v4
	v_mov_b32_e32 v2, 0
	v_mov_b32_e32 v3, 0
	s_delay_alu instid0(VALU_DEP_3) | instskip(NEXT) | instid1(VALU_DEP_1)
	v_lshrrev_b32_e32 v13, 16, v0
	v_mul_lo_u16 v0, v13, 21
	s_delay_alu instid0(VALU_DEP_1) | instskip(NEXT) | instid1(VALU_DEP_4)
	v_sub_nc_u16 v18, v4, v0
	v_dual_mov_b32 v0, v2 :: v_dual_mov_b32 v1, v3
	s_waitcnt lgkmcnt(0)
	s_cmp_eq_u32 s1, 1
	s_cselect_b32 s0, -1, 0
	s_cmp_lg_u32 s1, 1
	s_cselect_b32 s1, -1, 0
	s_ashr_i32 s13, s12, 31
	s_delay_alu instid0(SALU_CYCLE_1) | instskip(NEXT) | instid1(SALU_CYCLE_1)
	s_lshl_b64 s[4:5], s[12:13], 3
	s_add_u32 s6, s6, s4
	s_addc_u32 s7, s7, s5
	s_add_u32 s10, s6, 8
	s_addc_u32 s11, s7, 0
	;; [unrolled: 2-line block ×3, first 2 shown]
	s_cmp_eq_u64 s[8:9], 0
	s_load_b64 s[8:9], s[2:3], 0x60
	s_cselect_b32 s5, s11, s5
	s_cselect_b32 s4, s10, s4
	s_load_b64 s[18:19], s[6:7], 0x0
	s_load_b64 s[16:17], s[4:5], 0x0
	s_waitcnt lgkmcnt(0)
	v_cmp_ge_i64_e64 s4, s[18:19], s[16:17]
	s_delay_alu instid0(VALU_DEP_1)
	s_and_b32 vcc_lo, exec_lo, s4
	s_cbranch_vccnz .LBB452_14
; %bb.10:
	v_mul_lo_u16 v0, v13, 25
	v_and_b32_e32 v1, 0xffff, v4
	s_clause 0x1
	s_load_b64 s[10:11], s[2:3], 0x48
	s_load_b128 s[4:7], s[2:3], 0x38
	s_sub_u32 s2, s16, s14
	s_subb_u32 s3, s17, 0
	v_lshrrev_b16 v0, 9, v0
	v_mul_u32_u24_e32 v1, 0x253, v1
	v_and_b32_e32 v2, 0xffff, v18
	s_sub_u32 s16, s18, s14
	s_subb_u32 s17, s19, 0
	v_mul_lo_u16 v0, v0, 21
	v_lshrrev_b32_e32 v19, 18, v1
	s_mul_hi_u32 s13, s16, 0xdc8
	s_mul_i32 s20, s17, 0xdc8
	s_mul_i32 s15, s16, 0xdc8
	v_sub_nc_u16 v0, v13, v0
	v_add_co_u32 v1, s18, s18, v19
	s_delay_alu instid0(VALU_DEP_1) | instskip(NEXT) | instid1(VALU_DEP_3)
	v_add_co_ci_u32_e64 v3, null, s19, 0, s18
	v_and_b32_e32 v0, 0xff, v0
	s_add_i32 s13, s13, s20
	s_delay_alu instid0(VALU_DEP_1) | instskip(SKIP_4) | instid1(VALU_DEP_3)
	v_cndmask_b32_e64 v13, v2, v0, s0
	v_sub_co_u32 v0, vcc_lo, v1, s14
	v_subrev_co_ci_u32_e32 v1, vcc_lo, 0, v3, vcc_lo
	v_mov_b32_e32 v2, 0
	v_dual_mov_b32 v3, 0 :: v_dual_lshlrev_b32 v14, 3, v4
	v_lshlrev_b64 v[0:1], 2, v[0:1]
	s_waitcnt lgkmcnt(0)
	s_add_u32 s0, s6, s15
	s_addc_u32 s6, s7, s13
	s_delay_alu instid0(VALU_DEP_1) | instskip(NEXT) | instid1(VALU_DEP_2)
	v_add_co_u32 v16, vcc_lo, s4, v0
	v_add_co_ci_u32_e32 v17, vcc_lo, s5, v1, vcc_lo
	v_dual_mov_b32 v0, v2 :: v_dual_mov_b32 v1, v3
	v_add_co_u32 v14, s0, s0, v14
	s_delay_alu instid0(VALU_DEP_1)
	v_add_co_ci_u32_e64 v15, null, s6, 0, s0
	s_set_inst_prefetch_distance 0x1
	s_branch .LBB452_12
	.p2align	6
.LBB452_11:                             ;   in Loop: Header=BB452_12 Depth=1
	s_or_b32 exec_lo, exec_lo, s0
	s_add_u32 s16, s16, 1
	s_addc_u32 s17, s17, 0
	v_add_co_u32 v16, vcc_lo, v16, 4
	v_cmp_lt_i64_e64 s0, s[16:17], s[2:3]
	v_add_co_ci_u32_e32 v17, vcc_lo, 0, v17, vcc_lo
	s_delay_alu instid0(VALU_DEP_2)
	s_and_b32 vcc_lo, exec_lo, s0
	s_cbranch_vccz .LBB452_14
.LBB452_12:                             ; =>This Inner Loop Header: Depth=1
	v_add_co_u32 v20, s0, v19, s16
	s_delay_alu instid0(VALU_DEP_1) | instskip(SKIP_1) | instid1(VALU_DEP_1)
	v_add_co_ci_u32_e64 v21, null, 0, s17, s0
	s_mov_b32 s0, exec_lo
	v_cmpx_gt_i64_e64 s[2:3], v[20:21]
	s_cbranch_execz .LBB452_11
; %bb.13:                               ;   in Loop: Header=BB452_12 Depth=1
	global_load_b32 v20, v[16:17], off
	s_waitcnt vmcnt(0)
	v_subrev_nc_u32_e32 v22, s14, v20
	s_delay_alu instid0(VALU_DEP_1) | instskip(NEXT) | instid1(VALU_DEP_1)
	v_mad_u64_u32 v[20:21], null, v22, 21, v[13:14]
	v_ashrrev_i32_e32 v21, 31, v20
	s_delay_alu instid0(VALU_DEP_1) | instskip(NEXT) | instid1(VALU_DEP_1)
	v_lshlrev_b64 v[20:21], 4, v[20:21]
	v_add_co_u32 v20, vcc_lo, s10, v20
	s_delay_alu instid0(VALU_DEP_2)
	v_add_co_ci_u32_e32 v21, vcc_lo, s11, v21, vcc_lo
	global_load_b64 v[24:25], v[14:15], off
	global_load_b128 v[20:23], v[20:21], off
	v_add_co_u32 v14, vcc_lo, 0xdc8, v14
	v_add_co_ci_u32_e32 v15, vcc_lo, 0, v15, vcc_lo
	s_waitcnt vmcnt(0)
	v_fma_f64 v[0:1], v[24:25], v[20:21], v[0:1]
	v_fma_f64 v[2:3], v[20:21], 0, v[2:3]
	s_delay_alu instid0(VALU_DEP_2) | instskip(NEXT) | instid1(VALU_DEP_2)
	v_fma_f64 v[0:1], 0x80000000, v[22:23], v[0:1]
	v_fma_f64 v[2:3], v[24:25], v[22:23], v[2:3]
	s_branch .LBB452_11
.LBB452_14:
	s_set_inst_prefetch_distance 0x2
	v_lshlrev_b32_e32 v17, 4, v4
	s_and_b32 vcc_lo, exec_lo, s1
	ds_store_b128 v17, v[0:3]
	s_waitcnt vmcnt(0) lgkmcnt(0)
	s_barrier
	buffer_gl0_inv
	s_cbranch_vccz .LBB452_26
; %bb.15:
	s_mov_b32 s0, exec_lo
	v_cmpx_gt_u16_e32 5, v18
	s_cbranch_execz .LBB452_17
; %bb.16:
	ds_load_b128 v[13:16], v17 offset:256
	ds_load_b128 v[19:22], v17
	s_waitcnt lgkmcnt(0)
	v_add_f64 v[13:14], v[13:14], v[19:20]
	v_add_f64 v[15:16], v[15:16], v[21:22]
	ds_store_b128 v17, v[13:16]
.LBB452_17:
	s_or_b32 exec_lo, exec_lo, s0
	s_delay_alu instid0(SALU_CYCLE_1)
	s_mov_b32 s0, exec_lo
	s_waitcnt lgkmcnt(0)
	s_barrier
	buffer_gl0_inv
	v_cmpx_gt_u16_e32 8, v18
	s_cbranch_execz .LBB452_19
; %bb.18:
	ds_load_b128 v[13:16], v17 offset:128
	ds_load_b128 v[19:22], v17
	s_waitcnt lgkmcnt(0)
	v_add_f64 v[13:14], v[13:14], v[19:20]
	v_add_f64 v[15:16], v[15:16], v[21:22]
	ds_store_b128 v17, v[13:16]
.LBB452_19:
	s_or_b32 exec_lo, exec_lo, s0
	s_delay_alu instid0(SALU_CYCLE_1)
	s_mov_b32 s0, exec_lo
	s_waitcnt lgkmcnt(0)
	s_barrier
	buffer_gl0_inv
	;; [unrolled: 16-line block ×3, first 2 shown]
	v_cmpx_gt_u16_e32 2, v18
	s_cbranch_execz .LBB452_23
; %bb.22:
	ds_load_b128 v[13:16], v17
	ds_load_b128 v[18:21], v17 offset:32
	s_waitcnt lgkmcnt(0)
	v_add_f64 v[13:14], v[18:19], v[13:14]
	v_add_f64 v[15:16], v[20:21], v[15:16]
	ds_store_b128 v17, v[13:16]
.LBB452_23:
	s_or_b32 exec_lo, exec_lo, s0
	v_dual_mov_b32 v16, v3 :: v_dual_mov_b32 v15, v2
	v_dual_mov_b32 v14, v1 :: v_dual_mov_b32 v13, v0
	s_mov_b32 s0, exec_lo
	s_waitcnt lgkmcnt(0)
	s_barrier
	buffer_gl0_inv
	v_cmpx_gt_u32_e32 21, v4
	s_cbranch_execz .LBB452_25
; %bb.24:
	v_mul_u32_u24_e32 v13, 21, v4
	s_delay_alu instid0(VALU_DEP_1)
	v_lshlrev_b32_e32 v18, 4, v13
	ds_load_b128 v[13:16], v18
	ds_load_b128 v[18:21], v18 offset:16
	s_waitcnt lgkmcnt(0)
	v_add_f64 v[13:14], v[18:19], v[13:14]
	v_add_f64 v[15:16], v[20:21], v[15:16]
.LBB452_25:
	s_or_b32 exec_lo, exec_lo, s0
	s_branch .LBB452_38
.LBB452_26:
                                        ; implicit-def: $vgpr15_vgpr16
                                        ; implicit-def: $vgpr13_vgpr14
	s_cbranch_execz .LBB452_38
; %bb.27:
	s_mov_b32 s0, exec_lo
	v_cmpx_gt_u32_e32 0x69, v4
	s_cbranch_execz .LBB452_29
; %bb.28:
	ds_load_b128 v[13:16], v17 offset:5376
	ds_load_b128 v[18:21], v17
	s_waitcnt lgkmcnt(0)
	v_add_f64 v[13:14], v[13:14], v[18:19]
	v_add_f64 v[15:16], v[15:16], v[20:21]
	ds_store_b128 v17, v[13:16]
.LBB452_29:
	s_or_b32 exec_lo, exec_lo, s0
	s_delay_alu instid0(SALU_CYCLE_1)
	s_mov_b32 s0, exec_lo
	s_waitcnt lgkmcnt(0)
	s_barrier
	buffer_gl0_inv
	v_cmpx_gt_u32_e32 0xa8, v4
	s_cbranch_execz .LBB452_31
; %bb.30:
	ds_load_b128 v[13:16], v17 offset:2688
	ds_load_b128 v[18:21], v17
	s_waitcnt lgkmcnt(0)
	v_add_f64 v[13:14], v[13:14], v[18:19]
	v_add_f64 v[15:16], v[15:16], v[20:21]
	ds_store_b128 v17, v[13:16]
.LBB452_31:
	s_or_b32 exec_lo, exec_lo, s0
	s_delay_alu instid0(SALU_CYCLE_1)
	s_mov_b32 s0, exec_lo
	s_waitcnt lgkmcnt(0)
	s_barrier
	buffer_gl0_inv
	;; [unrolled: 16-line block ×3, first 2 shown]
	v_cmpx_gt_u32_e32 42, v4
	s_cbranch_execz .LBB452_35
; %bb.34:
	ds_load_b128 v[13:16], v17 offset:672
	ds_load_b128 v[18:21], v17
	s_waitcnt lgkmcnt(0)
	v_add_f64 v[13:14], v[13:14], v[18:19]
	v_add_f64 v[15:16], v[15:16], v[20:21]
	ds_store_b128 v17, v[13:16]
.LBB452_35:
	s_or_b32 exec_lo, exec_lo, s0
	s_delay_alu instid0(SALU_CYCLE_1)
	s_mov_b32 s0, exec_lo
	s_waitcnt lgkmcnt(0)
	buffer_gl0_inv
	v_cmpx_gt_u32_e32 21, v4
	s_cbranch_execz .LBB452_37
; %bb.36:
	ds_load_b128 v[0:3], v17 offset:336
	ds_load_b128 v[13:16], v17
	s_waitcnt lgkmcnt(0)
	v_add_f64 v[0:1], v[0:1], v[13:14]
	v_add_f64 v[2:3], v[2:3], v[15:16]
.LBB452_37:
	s_or_b32 exec_lo, exec_lo, s0
	s_delay_alu instid0(VALU_DEP_1) | instskip(NEXT) | instid1(VALU_DEP_3)
	v_dual_mov_b32 v16, v3 :: v_dual_mov_b32 v15, v2
	v_dual_mov_b32 v14, v1 :: v_dual_mov_b32 v13, v0
.LBB452_38:
	v_cmp_gt_u32_e32 vcc_lo, 21, v4
	s_and_b32 exec_lo, exec_lo, vcc_lo
	s_cbranch_execz .LBB452_43
; %bb.39:
	s_delay_alu instid0(VALU_DEP_2) | instskip(SKIP_3) | instid1(VALU_DEP_4)
	v_mul_f64 v[0:1], v[15:16], -v[11:12]
	v_mul_f64 v[2:3], v[9:10], v[15:16]
	v_cmp_eq_f64_e32 vcc_lo, 0, v[5:6]
	v_cmp_eq_f64_e64 s0, 0, v[7:8]
	v_fma_f64 v[0:1], v[9:10], v[13:14], v[0:1]
	s_delay_alu instid0(VALU_DEP_4) | instskip(NEXT) | instid1(VALU_DEP_3)
	v_fma_f64 v[2:3], v[11:12], v[13:14], v[2:3]
	s_and_b32 s0, vcc_lo, s0
	s_delay_alu instid0(SALU_CYCLE_1) | instskip(NEXT) | instid1(SALU_CYCLE_1)
	s_and_saveexec_b32 s1, s0
	s_xor_b32 s0, exec_lo, s1
	s_cbranch_execz .LBB452_41
; %bb.40:
	v_mad_u64_u32 v[5:6], null, s12, 21, v[4:5]
	v_mov_b32_e32 v6, 0
                                        ; implicit-def: $vgpr7_vgpr8
	s_delay_alu instid0(VALU_DEP_1) | instskip(NEXT) | instid1(VALU_DEP_1)
	v_lshlrev_b64 v[4:5], 4, v[5:6]
	v_add_co_u32 v4, vcc_lo, s8, v4
	s_delay_alu instid0(VALU_DEP_2)
	v_add_co_ci_u32_e32 v5, vcc_lo, s9, v5, vcc_lo
	global_store_b128 v[4:5], v[0:3], off
                                        ; implicit-def: $vgpr4
                                        ; implicit-def: $vgpr5_vgpr6
                                        ; implicit-def: $vgpr0_vgpr1
.LBB452_41:
	s_and_not1_saveexec_b32 s0, s0
	s_cbranch_execz .LBB452_43
; %bb.42:
	v_mad_u64_u32 v[9:10], null, s12, 21, v[4:5]
	v_mov_b32_e32 v10, 0
	s_delay_alu instid0(VALU_DEP_1) | instskip(NEXT) | instid1(VALU_DEP_1)
	v_lshlrev_b64 v[9:10], 4, v[9:10]
	v_add_co_u32 v13, vcc_lo, s8, v9
	s_delay_alu instid0(VALU_DEP_2) | instskip(SKIP_4) | instid1(VALU_DEP_2)
	v_add_co_ci_u32_e32 v14, vcc_lo, s9, v10, vcc_lo
	global_load_b128 v[9:12], v[13:14], off
	s_waitcnt vmcnt(0)
	v_fma_f64 v[0:1], v[5:6], v[9:10], v[0:1]
	v_fma_f64 v[2:3], v[7:8], v[9:10], v[2:3]
	v_fma_f64 v[0:1], -v[7:8], v[11:12], v[0:1]
	s_delay_alu instid0(VALU_DEP_2)
	v_fma_f64 v[2:3], v[5:6], v[11:12], v[2:3]
	global_store_b128 v[13:14], v[0:3], off
.LBB452_43:
	s_nop 0
	s_sendmsg sendmsg(MSG_DEALLOC_VGPRS)
	s_endpgm
	.section	.rodata,"a",@progbits
	.p2align	6, 0x0
	.amdhsa_kernel _ZN9rocsparseL20bsrxmvn_17_32_kernelILj21E21rocsparse_complex_numIdElidS2_S2_EEvT2_20rocsparse_direction_NS_24const_host_device_scalarIT0_EES3_PKS3_PKT1_SC_S9_PKT3_PKT4_S7_PT5_21rocsparse_index_base_b
		.amdhsa_group_segment_fixed_size 14112
		.amdhsa_private_segment_fixed_size 0
		.amdhsa_kernarg_size 112
		.amdhsa_user_sgpr_count 15
		.amdhsa_user_sgpr_dispatch_ptr 1
		.amdhsa_user_sgpr_queue_ptr 0
		.amdhsa_user_sgpr_kernarg_segment_ptr 1
		.amdhsa_user_sgpr_dispatch_id 0
		.amdhsa_user_sgpr_private_segment_size 0
		.amdhsa_wavefront_size32 1
		.amdhsa_uses_dynamic_stack 0
		.amdhsa_enable_private_segment 0
		.amdhsa_system_sgpr_workgroup_id_x 1
		.amdhsa_system_sgpr_workgroup_id_y 0
		.amdhsa_system_sgpr_workgroup_id_z 0
		.amdhsa_system_sgpr_workgroup_info 0
		.amdhsa_system_vgpr_workitem_id 2
		.amdhsa_next_free_vgpr 26
		.amdhsa_next_free_sgpr 21
		.amdhsa_reserve_vcc 1
		.amdhsa_float_round_mode_32 0
		.amdhsa_float_round_mode_16_64 0
		.amdhsa_float_denorm_mode_32 3
		.amdhsa_float_denorm_mode_16_64 3
		.amdhsa_dx10_clamp 1
		.amdhsa_ieee_mode 1
		.amdhsa_fp16_overflow 0
		.amdhsa_workgroup_processor_mode 1
		.amdhsa_memory_ordered 1
		.amdhsa_forward_progress 0
		.amdhsa_shared_vgpr_count 0
		.amdhsa_exception_fp_ieee_invalid_op 0
		.amdhsa_exception_fp_denorm_src 0
		.amdhsa_exception_fp_ieee_div_zero 0
		.amdhsa_exception_fp_ieee_overflow 0
		.amdhsa_exception_fp_ieee_underflow 0
		.amdhsa_exception_fp_ieee_inexact 0
		.amdhsa_exception_int_div_zero 0
	.end_amdhsa_kernel
	.section	.text._ZN9rocsparseL20bsrxmvn_17_32_kernelILj21E21rocsparse_complex_numIdElidS2_S2_EEvT2_20rocsparse_direction_NS_24const_host_device_scalarIT0_EES3_PKS3_PKT1_SC_S9_PKT3_PKT4_S7_PT5_21rocsparse_index_base_b,"axG",@progbits,_ZN9rocsparseL20bsrxmvn_17_32_kernelILj21E21rocsparse_complex_numIdElidS2_S2_EEvT2_20rocsparse_direction_NS_24const_host_device_scalarIT0_EES3_PKS3_PKT1_SC_S9_PKT3_PKT4_S7_PT5_21rocsparse_index_base_b,comdat
.Lfunc_end452:
	.size	_ZN9rocsparseL20bsrxmvn_17_32_kernelILj21E21rocsparse_complex_numIdElidS2_S2_EEvT2_20rocsparse_direction_NS_24const_host_device_scalarIT0_EES3_PKS3_PKT1_SC_S9_PKT3_PKT4_S7_PT5_21rocsparse_index_base_b, .Lfunc_end452-_ZN9rocsparseL20bsrxmvn_17_32_kernelILj21E21rocsparse_complex_numIdElidS2_S2_EEvT2_20rocsparse_direction_NS_24const_host_device_scalarIT0_EES3_PKS3_PKT1_SC_S9_PKT3_PKT4_S7_PT5_21rocsparse_index_base_b
                                        ; -- End function
	.section	.AMDGPU.csdata,"",@progbits
; Kernel info:
; codeLenInByte = 2180
; NumSgprs: 23
; NumVgprs: 26
; ScratchSize: 0
; MemoryBound: 0
; FloatMode: 240
; IeeeMode: 1
; LDSByteSize: 14112 bytes/workgroup (compile time only)
; SGPRBlocks: 2
; VGPRBlocks: 3
; NumSGPRsForWavesPerEU: 23
; NumVGPRsForWavesPerEU: 26
; Occupancy: 14
; WaveLimiterHint : 1
; COMPUTE_PGM_RSRC2:SCRATCH_EN: 0
; COMPUTE_PGM_RSRC2:USER_SGPR: 15
; COMPUTE_PGM_RSRC2:TRAP_HANDLER: 0
; COMPUTE_PGM_RSRC2:TGID_X_EN: 1
; COMPUTE_PGM_RSRC2:TGID_Y_EN: 0
; COMPUTE_PGM_RSRC2:TGID_Z_EN: 0
; COMPUTE_PGM_RSRC2:TIDIG_COMP_CNT: 2
	.section	.text._ZN9rocsparseL20bsrxmvn_17_32_kernelILj22E21rocsparse_complex_numIdElidS2_S2_EEvT2_20rocsparse_direction_NS_24const_host_device_scalarIT0_EES3_PKS3_PKT1_SC_S9_PKT3_PKT4_S7_PT5_21rocsparse_index_base_b,"axG",@progbits,_ZN9rocsparseL20bsrxmvn_17_32_kernelILj22E21rocsparse_complex_numIdElidS2_S2_EEvT2_20rocsparse_direction_NS_24const_host_device_scalarIT0_EES3_PKS3_PKT1_SC_S9_PKT3_PKT4_S7_PT5_21rocsparse_index_base_b,comdat
	.globl	_ZN9rocsparseL20bsrxmvn_17_32_kernelILj22E21rocsparse_complex_numIdElidS2_S2_EEvT2_20rocsparse_direction_NS_24const_host_device_scalarIT0_EES3_PKS3_PKT1_SC_S9_PKT3_PKT4_S7_PT5_21rocsparse_index_base_b ; -- Begin function _ZN9rocsparseL20bsrxmvn_17_32_kernelILj22E21rocsparse_complex_numIdElidS2_S2_EEvT2_20rocsparse_direction_NS_24const_host_device_scalarIT0_EES3_PKS3_PKT1_SC_S9_PKT3_PKT4_S7_PT5_21rocsparse_index_base_b
	.p2align	8
	.type	_ZN9rocsparseL20bsrxmvn_17_32_kernelILj22E21rocsparse_complex_numIdElidS2_S2_EEvT2_20rocsparse_direction_NS_24const_host_device_scalarIT0_EES3_PKS3_PKT1_SC_S9_PKT3_PKT4_S7_PT5_21rocsparse_index_base_b,@function
_ZN9rocsparseL20bsrxmvn_17_32_kernelILj22E21rocsparse_complex_numIdElidS2_S2_EEvT2_20rocsparse_direction_NS_24const_host_device_scalarIT0_EES3_PKS3_PKT1_SC_S9_PKT3_PKT4_S7_PT5_21rocsparse_index_base_b: ; @_ZN9rocsparseL20bsrxmvn_17_32_kernelILj22E21rocsparse_complex_numIdElidS2_S2_EEvT2_20rocsparse_direction_NS_24const_host_device_scalarIT0_EES3_PKS3_PKT1_SC_S9_PKT3_PKT4_S7_PT5_21rocsparse_index_base_b
; %bb.0:
	s_mov_b32 s12, s15
	s_clause 0x1
	s_load_b64 s[14:15], s[2:3], 0x68
	s_load_b128 s[4:7], s[2:3], 0x8
	s_load_b64 s[16:17], s[0:1], 0x4
	s_mov_b64 s[0:1], src_shared_base
	v_and_b32_e32 v4, 0x3ff, v0
	s_load_b128 s[8:11], s[2:3], 0x50
	v_bfe_u32 v2, v0, 10, 10
	v_bfe_u32 v0, v0, 20, 10
	s_waitcnt lgkmcnt(0)
	s_bitcmp1_b32 s15, 0
	v_mov_b32_e32 v12, s7
	s_cselect_b32 s0, -1, 0
	v_mov_b32_e32 v11, s6
	s_and_b32 vcc_lo, s0, exec_lo
	s_cselect_b32 s13, s1, s5
	s_lshr_b32 s15, s16, 16
	v_mov_b32_e32 v6, s13
	s_mul_i32 s15, s15, s17
	s_xor_b32 s6, s0, -1
	v_mul_lo_u32 v1, s15, v4
	s_delay_alu instid0(VALU_DEP_1) | instskip(SKIP_1) | instid1(VALU_DEP_2)
	v_mad_u32_u24 v1, v2, s17, v1
	v_dual_mov_b32 v2, s8 :: v_dual_mov_b32 v3, s9
	v_add_lshl_u32 v7, v1, v0, 3
	v_dual_mov_b32 v0, s4 :: v_dual_mov_b32 v1, s5
	ds_store_b64 v7, v[0:1] offset:11616
	ds_store_b64 v7, v[2:3] offset:7744
	v_add_nc_u32_e32 v5, 0x2d60, v7
	v_add_nc_u32_e32 v0, 0x1e40, v7
	s_delay_alu instid0(VALU_DEP_2)
	v_cndmask_b32_e64 v5, s4, v5, s0
	flat_load_b64 v[9:10], v[5:6]
	s_cbranch_vccnz .LBB453_2
; %bb.1:
	v_dual_mov_b32 v1, s4 :: v_dual_mov_b32 v2, s5
	flat_load_b64 v[11:12], v[1:2] offset:8
.LBB453_2:
	s_and_b32 s4, s0, exec_lo
	s_cselect_b32 s1, s1, s9
	v_cndmask_b32_e64 v0, s8, v0, s0
	v_mov_b32_e32 v1, s1
	v_dual_mov_b32 v7, s10 :: v_dual_mov_b32 v8, s11
	s_and_not1_b32 vcc_lo, exec_lo, s6
	flat_load_b64 v[5:6], v[0:1]
	s_cbranch_vccnz .LBB453_4
; %bb.3:
	v_dual_mov_b32 v0, s8 :: v_dual_mov_b32 v1, s9
	flat_load_b64 v[7:8], v[0:1] offset:8
.LBB453_4:
	s_waitcnt vmcnt(1) lgkmcnt(1)
	v_cmp_eq_f64_e32 vcc_lo, 0, v[9:10]
	v_cmp_eq_f64_e64 s0, 0, v[11:12]
	s_delay_alu instid0(VALU_DEP_1)
	s_and_b32 s4, vcc_lo, s0
	s_mov_b32 s0, -1
	s_and_saveexec_b32 s1, s4
	s_cbranch_execz .LBB453_6
; %bb.5:
	s_waitcnt vmcnt(0) lgkmcnt(0)
	v_cmp_neq_f64_e32 vcc_lo, 1.0, v[5:6]
	v_cmp_neq_f64_e64 s0, 0, v[7:8]
	s_delay_alu instid0(VALU_DEP_1) | instskip(NEXT) | instid1(SALU_CYCLE_1)
	s_or_b32 s0, vcc_lo, s0
	s_or_not1_b32 s0, s0, exec_lo
.LBB453_6:
	s_or_b32 exec_lo, exec_lo, s1
	s_and_saveexec_b32 s1, s0
	s_cbranch_execz .LBB453_43
; %bb.7:
	s_clause 0x1
	s_load_b128 s[4:7], s[2:3], 0x20
	s_load_b64 s[8:9], s[2:3], 0x30
	s_waitcnt lgkmcnt(0)
	s_cmp_eq_u64 s[4:5], 0
	s_cbranch_scc1 .LBB453_9
; %bb.8:
	s_ashr_i32 s13, s12, 31
	s_delay_alu instid0(SALU_CYCLE_1) | instskip(NEXT) | instid1(SALU_CYCLE_1)
	s_lshl_b64 s[0:1], s[12:13], 2
	s_add_u32 s0, s4, s0
	s_addc_u32 s1, s5, s1
	s_load_b32 s0, s[0:1], 0x0
	s_waitcnt lgkmcnt(0)
	s_sub_i32 s12, s0, s14
.LBB453_9:
	s_load_b32 s1, s[2:3], 0x4
	v_mul_u32_u24_e32 v0, 0xba3, v4
	v_mov_b32_e32 v2, 0
	v_mov_b32_e32 v3, 0
	s_delay_alu instid0(VALU_DEP_3) | instskip(NEXT) | instid1(VALU_DEP_1)
	v_lshrrev_b32_e32 v13, 16, v0
	v_mul_lo_u16 v0, v13, 22
	s_delay_alu instid0(VALU_DEP_1) | instskip(NEXT) | instid1(VALU_DEP_4)
	v_sub_nc_u16 v18, v4, v0
	v_dual_mov_b32 v0, v2 :: v_dual_mov_b32 v1, v3
	s_waitcnt lgkmcnt(0)
	s_cmp_eq_u32 s1, 1
	s_cselect_b32 s0, -1, 0
	s_cmp_lg_u32 s1, 1
	s_cselect_b32 s1, -1, 0
	s_ashr_i32 s13, s12, 31
	s_delay_alu instid0(SALU_CYCLE_1) | instskip(NEXT) | instid1(SALU_CYCLE_1)
	s_lshl_b64 s[4:5], s[12:13], 3
	s_add_u32 s6, s6, s4
	s_addc_u32 s7, s7, s5
	s_add_u32 s10, s6, 8
	s_addc_u32 s11, s7, 0
	;; [unrolled: 2-line block ×3, first 2 shown]
	s_cmp_eq_u64 s[8:9], 0
	s_load_b64 s[8:9], s[2:3], 0x60
	s_cselect_b32 s5, s11, s5
	s_cselect_b32 s4, s10, s4
	s_load_b64 s[18:19], s[6:7], 0x0
	s_load_b64 s[16:17], s[4:5], 0x0
	s_waitcnt lgkmcnt(0)
	v_cmp_ge_i64_e64 s4, s[18:19], s[16:17]
	s_delay_alu instid0(VALU_DEP_1)
	s_and_b32 vcc_lo, exec_lo, s4
	s_cbranch_vccnz .LBB453_14
; %bb.10:
	v_mul_lo_u16 v0, v13, 12
	v_and_b32_e32 v1, 0xffff, v4
	s_clause 0x1
	s_load_b64 s[10:11], s[2:3], 0x48
	s_load_b128 s[4:7], s[2:3], 0x38
	s_sub_u32 s2, s16, s14
	s_subb_u32 s3, s17, 0
	v_lshrrev_b16 v0, 8, v0
	v_mul_u32_u24_e32 v1, 0x10f, v1
	v_and_b32_e32 v2, 0xffff, v18
	s_sub_u32 s16, s18, s14
	s_subb_u32 s17, s19, 0
	v_mul_lo_u16 v0, v0, 22
	v_lshrrev_b32_e32 v19, 17, v1
	s_mul_hi_u32 s13, s16, 0xf20
	s_mul_i32 s20, s17, 0xf20
	s_mul_i32 s15, s16, 0xf20
	v_sub_nc_u16 v0, v13, v0
	v_add_co_u32 v1, s18, s18, v19
	s_delay_alu instid0(VALU_DEP_1) | instskip(NEXT) | instid1(VALU_DEP_3)
	v_add_co_ci_u32_e64 v3, null, s19, 0, s18
	v_and_b32_e32 v0, 0xff, v0
	s_add_i32 s13, s13, s20
	s_delay_alu instid0(VALU_DEP_1) | instskip(SKIP_4) | instid1(VALU_DEP_3)
	v_cndmask_b32_e64 v13, v2, v0, s0
	v_sub_co_u32 v0, vcc_lo, v1, s14
	v_subrev_co_ci_u32_e32 v1, vcc_lo, 0, v3, vcc_lo
	v_mov_b32_e32 v2, 0
	v_dual_mov_b32 v3, 0 :: v_dual_lshlrev_b32 v14, 3, v4
	v_lshlrev_b64 v[0:1], 2, v[0:1]
	s_waitcnt lgkmcnt(0)
	s_add_u32 s0, s6, s15
	s_addc_u32 s6, s7, s13
	s_delay_alu instid0(VALU_DEP_1) | instskip(NEXT) | instid1(VALU_DEP_2)
	v_add_co_u32 v16, vcc_lo, s4, v0
	v_add_co_ci_u32_e32 v17, vcc_lo, s5, v1, vcc_lo
	v_dual_mov_b32 v0, v2 :: v_dual_mov_b32 v1, v3
	v_add_co_u32 v14, s0, s0, v14
	s_delay_alu instid0(VALU_DEP_1)
	v_add_co_ci_u32_e64 v15, null, s6, 0, s0
	s_set_inst_prefetch_distance 0x1
	s_branch .LBB453_12
	.p2align	6
.LBB453_11:                             ;   in Loop: Header=BB453_12 Depth=1
	s_or_b32 exec_lo, exec_lo, s0
	s_add_u32 s16, s16, 1
	s_addc_u32 s17, s17, 0
	v_add_co_u32 v16, vcc_lo, v16, 4
	v_cmp_lt_i64_e64 s0, s[16:17], s[2:3]
	v_add_co_ci_u32_e32 v17, vcc_lo, 0, v17, vcc_lo
	s_delay_alu instid0(VALU_DEP_2)
	s_and_b32 vcc_lo, exec_lo, s0
	s_cbranch_vccz .LBB453_14
.LBB453_12:                             ; =>This Inner Loop Header: Depth=1
	v_add_co_u32 v20, s0, v19, s16
	s_delay_alu instid0(VALU_DEP_1) | instskip(SKIP_1) | instid1(VALU_DEP_1)
	v_add_co_ci_u32_e64 v21, null, 0, s17, s0
	s_mov_b32 s0, exec_lo
	v_cmpx_gt_i64_e64 s[2:3], v[20:21]
	s_cbranch_execz .LBB453_11
; %bb.13:                               ;   in Loop: Header=BB453_12 Depth=1
	global_load_b32 v20, v[16:17], off
	s_waitcnt vmcnt(0)
	v_subrev_nc_u32_e32 v22, s14, v20
	s_delay_alu instid0(VALU_DEP_1) | instskip(NEXT) | instid1(VALU_DEP_1)
	v_mad_u64_u32 v[20:21], null, v22, 22, v[13:14]
	v_ashrrev_i32_e32 v21, 31, v20
	s_delay_alu instid0(VALU_DEP_1) | instskip(NEXT) | instid1(VALU_DEP_1)
	v_lshlrev_b64 v[20:21], 4, v[20:21]
	v_add_co_u32 v20, vcc_lo, s10, v20
	s_delay_alu instid0(VALU_DEP_2)
	v_add_co_ci_u32_e32 v21, vcc_lo, s11, v21, vcc_lo
	global_load_b64 v[24:25], v[14:15], off
	global_load_b128 v[20:23], v[20:21], off
	v_add_co_u32 v14, vcc_lo, 0xf20, v14
	v_add_co_ci_u32_e32 v15, vcc_lo, 0, v15, vcc_lo
	s_waitcnt vmcnt(0)
	v_fma_f64 v[0:1], v[24:25], v[20:21], v[0:1]
	v_fma_f64 v[2:3], v[20:21], 0, v[2:3]
	s_delay_alu instid0(VALU_DEP_2) | instskip(NEXT) | instid1(VALU_DEP_2)
	v_fma_f64 v[0:1], 0x80000000, v[22:23], v[0:1]
	v_fma_f64 v[2:3], v[24:25], v[22:23], v[2:3]
	s_branch .LBB453_11
.LBB453_14:
	s_set_inst_prefetch_distance 0x2
	v_lshlrev_b32_e32 v17, 4, v4
	s_and_b32 vcc_lo, exec_lo, s1
	ds_store_b128 v17, v[0:3]
	s_waitcnt vmcnt(0) lgkmcnt(0)
	s_barrier
	buffer_gl0_inv
	s_cbranch_vccz .LBB453_26
; %bb.15:
	s_mov_b32 s0, exec_lo
	v_cmpx_gt_u16_e32 6, v18
	s_cbranch_execz .LBB453_17
; %bb.16:
	ds_load_b128 v[13:16], v17 offset:256
	ds_load_b128 v[19:22], v17
	s_waitcnt lgkmcnt(0)
	v_add_f64 v[13:14], v[13:14], v[19:20]
	v_add_f64 v[15:16], v[15:16], v[21:22]
	ds_store_b128 v17, v[13:16]
.LBB453_17:
	s_or_b32 exec_lo, exec_lo, s0
	s_delay_alu instid0(SALU_CYCLE_1)
	s_mov_b32 s0, exec_lo
	s_waitcnt lgkmcnt(0)
	s_barrier
	buffer_gl0_inv
	v_cmpx_gt_u16_e32 8, v18
	s_cbranch_execz .LBB453_19
; %bb.18:
	ds_load_b128 v[13:16], v17 offset:128
	ds_load_b128 v[19:22], v17
	s_waitcnt lgkmcnt(0)
	v_add_f64 v[13:14], v[13:14], v[19:20]
	v_add_f64 v[15:16], v[15:16], v[21:22]
	ds_store_b128 v17, v[13:16]
.LBB453_19:
	s_or_b32 exec_lo, exec_lo, s0
	s_delay_alu instid0(SALU_CYCLE_1)
	s_mov_b32 s0, exec_lo
	s_waitcnt lgkmcnt(0)
	s_barrier
	buffer_gl0_inv
	;; [unrolled: 16-line block ×3, first 2 shown]
	v_cmpx_gt_u16_e32 2, v18
	s_cbranch_execz .LBB453_23
; %bb.22:
	ds_load_b128 v[13:16], v17
	ds_load_b128 v[18:21], v17 offset:32
	s_waitcnt lgkmcnt(0)
	v_add_f64 v[13:14], v[18:19], v[13:14]
	v_add_f64 v[15:16], v[20:21], v[15:16]
	ds_store_b128 v17, v[13:16]
.LBB453_23:
	s_or_b32 exec_lo, exec_lo, s0
	v_dual_mov_b32 v16, v3 :: v_dual_mov_b32 v15, v2
	v_dual_mov_b32 v14, v1 :: v_dual_mov_b32 v13, v0
	s_mov_b32 s0, exec_lo
	s_waitcnt lgkmcnt(0)
	s_barrier
	buffer_gl0_inv
	v_cmpx_gt_u32_e32 22, v4
	s_cbranch_execz .LBB453_25
; %bb.24:
	v_mul_u32_u24_e32 v13, 22, v4
	s_delay_alu instid0(VALU_DEP_1)
	v_lshlrev_b32_e32 v18, 4, v13
	ds_load_b128 v[13:16], v18
	ds_load_b128 v[18:21], v18 offset:16
	s_waitcnt lgkmcnt(0)
	v_add_f64 v[13:14], v[18:19], v[13:14]
	v_add_f64 v[15:16], v[20:21], v[15:16]
.LBB453_25:
	s_or_b32 exec_lo, exec_lo, s0
	s_branch .LBB453_38
.LBB453_26:
                                        ; implicit-def: $vgpr15_vgpr16
                                        ; implicit-def: $vgpr13_vgpr14
	s_cbranch_execz .LBB453_38
; %bb.27:
	s_mov_b32 s0, exec_lo
	v_cmpx_gt_u32_e32 0x84, v4
	s_cbranch_execz .LBB453_29
; %bb.28:
	ds_load_b128 v[13:16], v17 offset:5632
	ds_load_b128 v[18:21], v17
	s_waitcnt lgkmcnt(0)
	v_add_f64 v[13:14], v[13:14], v[18:19]
	v_add_f64 v[15:16], v[15:16], v[20:21]
	ds_store_b128 v17, v[13:16]
.LBB453_29:
	s_or_b32 exec_lo, exec_lo, s0
	s_delay_alu instid0(SALU_CYCLE_1)
	s_mov_b32 s0, exec_lo
	s_waitcnt lgkmcnt(0)
	s_barrier
	buffer_gl0_inv
	v_cmpx_gt_u32_e32 0xb0, v4
	s_cbranch_execz .LBB453_31
; %bb.30:
	ds_load_b128 v[13:16], v17 offset:2816
	ds_load_b128 v[18:21], v17
	s_waitcnt lgkmcnt(0)
	v_add_f64 v[13:14], v[13:14], v[18:19]
	v_add_f64 v[15:16], v[15:16], v[20:21]
	ds_store_b128 v17, v[13:16]
.LBB453_31:
	s_or_b32 exec_lo, exec_lo, s0
	s_delay_alu instid0(SALU_CYCLE_1)
	s_mov_b32 s0, exec_lo
	s_waitcnt lgkmcnt(0)
	s_barrier
	buffer_gl0_inv
	;; [unrolled: 16-line block ×3, first 2 shown]
	v_cmpx_gt_u32_e32 44, v4
	s_cbranch_execz .LBB453_35
; %bb.34:
	ds_load_b128 v[13:16], v17 offset:704
	ds_load_b128 v[18:21], v17
	s_waitcnt lgkmcnt(0)
	v_add_f64 v[13:14], v[13:14], v[18:19]
	v_add_f64 v[15:16], v[15:16], v[20:21]
	ds_store_b128 v17, v[13:16]
.LBB453_35:
	s_or_b32 exec_lo, exec_lo, s0
	s_delay_alu instid0(SALU_CYCLE_1)
	s_mov_b32 s0, exec_lo
	s_waitcnt lgkmcnt(0)
	buffer_gl0_inv
	v_cmpx_gt_u32_e32 22, v4
	s_cbranch_execz .LBB453_37
; %bb.36:
	ds_load_b128 v[0:3], v17 offset:352
	ds_load_b128 v[13:16], v17
	s_waitcnt lgkmcnt(0)
	v_add_f64 v[0:1], v[0:1], v[13:14]
	v_add_f64 v[2:3], v[2:3], v[15:16]
.LBB453_37:
	s_or_b32 exec_lo, exec_lo, s0
	s_delay_alu instid0(VALU_DEP_1) | instskip(NEXT) | instid1(VALU_DEP_3)
	v_dual_mov_b32 v16, v3 :: v_dual_mov_b32 v15, v2
	v_dual_mov_b32 v14, v1 :: v_dual_mov_b32 v13, v0
.LBB453_38:
	v_cmp_gt_u32_e32 vcc_lo, 22, v4
	s_and_b32 exec_lo, exec_lo, vcc_lo
	s_cbranch_execz .LBB453_43
; %bb.39:
	s_delay_alu instid0(VALU_DEP_2) | instskip(SKIP_3) | instid1(VALU_DEP_4)
	v_mul_f64 v[0:1], v[15:16], -v[11:12]
	v_mul_f64 v[2:3], v[9:10], v[15:16]
	v_cmp_eq_f64_e32 vcc_lo, 0, v[5:6]
	v_cmp_eq_f64_e64 s0, 0, v[7:8]
	v_fma_f64 v[0:1], v[9:10], v[13:14], v[0:1]
	s_delay_alu instid0(VALU_DEP_4) | instskip(NEXT) | instid1(VALU_DEP_3)
	v_fma_f64 v[2:3], v[11:12], v[13:14], v[2:3]
	s_and_b32 s0, vcc_lo, s0
	s_delay_alu instid0(SALU_CYCLE_1) | instskip(NEXT) | instid1(SALU_CYCLE_1)
	s_and_saveexec_b32 s1, s0
	s_xor_b32 s0, exec_lo, s1
	s_cbranch_execz .LBB453_41
; %bb.40:
	v_mad_u64_u32 v[5:6], null, s12, 22, v[4:5]
	v_mov_b32_e32 v6, 0
                                        ; implicit-def: $vgpr7_vgpr8
	s_delay_alu instid0(VALU_DEP_1) | instskip(NEXT) | instid1(VALU_DEP_1)
	v_lshlrev_b64 v[4:5], 4, v[5:6]
	v_add_co_u32 v4, vcc_lo, s8, v4
	s_delay_alu instid0(VALU_DEP_2)
	v_add_co_ci_u32_e32 v5, vcc_lo, s9, v5, vcc_lo
	global_store_b128 v[4:5], v[0:3], off
                                        ; implicit-def: $vgpr4
                                        ; implicit-def: $vgpr5_vgpr6
                                        ; implicit-def: $vgpr0_vgpr1
.LBB453_41:
	s_and_not1_saveexec_b32 s0, s0
	s_cbranch_execz .LBB453_43
; %bb.42:
	v_mad_u64_u32 v[9:10], null, s12, 22, v[4:5]
	v_mov_b32_e32 v10, 0
	s_delay_alu instid0(VALU_DEP_1) | instskip(NEXT) | instid1(VALU_DEP_1)
	v_lshlrev_b64 v[9:10], 4, v[9:10]
	v_add_co_u32 v13, vcc_lo, s8, v9
	s_delay_alu instid0(VALU_DEP_2) | instskip(SKIP_4) | instid1(VALU_DEP_2)
	v_add_co_ci_u32_e32 v14, vcc_lo, s9, v10, vcc_lo
	global_load_b128 v[9:12], v[13:14], off
	s_waitcnt vmcnt(0)
	v_fma_f64 v[0:1], v[5:6], v[9:10], v[0:1]
	v_fma_f64 v[2:3], v[7:8], v[9:10], v[2:3]
	v_fma_f64 v[0:1], -v[7:8], v[11:12], v[0:1]
	s_delay_alu instid0(VALU_DEP_2)
	v_fma_f64 v[2:3], v[5:6], v[11:12], v[2:3]
	global_store_b128 v[13:14], v[0:3], off
.LBB453_43:
	s_nop 0
	s_sendmsg sendmsg(MSG_DEALLOC_VGPRS)
	s_endpgm
	.section	.rodata,"a",@progbits
	.p2align	6, 0x0
	.amdhsa_kernel _ZN9rocsparseL20bsrxmvn_17_32_kernelILj22E21rocsparse_complex_numIdElidS2_S2_EEvT2_20rocsparse_direction_NS_24const_host_device_scalarIT0_EES3_PKS3_PKT1_SC_S9_PKT3_PKT4_S7_PT5_21rocsparse_index_base_b
		.amdhsa_group_segment_fixed_size 15488
		.amdhsa_private_segment_fixed_size 0
		.amdhsa_kernarg_size 112
		.amdhsa_user_sgpr_count 15
		.amdhsa_user_sgpr_dispatch_ptr 1
		.amdhsa_user_sgpr_queue_ptr 0
		.amdhsa_user_sgpr_kernarg_segment_ptr 1
		.amdhsa_user_sgpr_dispatch_id 0
		.amdhsa_user_sgpr_private_segment_size 0
		.amdhsa_wavefront_size32 1
		.amdhsa_uses_dynamic_stack 0
		.amdhsa_enable_private_segment 0
		.amdhsa_system_sgpr_workgroup_id_x 1
		.amdhsa_system_sgpr_workgroup_id_y 0
		.amdhsa_system_sgpr_workgroup_id_z 0
		.amdhsa_system_sgpr_workgroup_info 0
		.amdhsa_system_vgpr_workitem_id 2
		.amdhsa_next_free_vgpr 26
		.amdhsa_next_free_sgpr 21
		.amdhsa_reserve_vcc 1
		.amdhsa_float_round_mode_32 0
		.amdhsa_float_round_mode_16_64 0
		.amdhsa_float_denorm_mode_32 3
		.amdhsa_float_denorm_mode_16_64 3
		.amdhsa_dx10_clamp 1
		.amdhsa_ieee_mode 1
		.amdhsa_fp16_overflow 0
		.amdhsa_workgroup_processor_mode 1
		.amdhsa_memory_ordered 1
		.amdhsa_forward_progress 0
		.amdhsa_shared_vgpr_count 0
		.amdhsa_exception_fp_ieee_invalid_op 0
		.amdhsa_exception_fp_denorm_src 0
		.amdhsa_exception_fp_ieee_div_zero 0
		.amdhsa_exception_fp_ieee_overflow 0
		.amdhsa_exception_fp_ieee_underflow 0
		.amdhsa_exception_fp_ieee_inexact 0
		.amdhsa_exception_int_div_zero 0
	.end_amdhsa_kernel
	.section	.text._ZN9rocsparseL20bsrxmvn_17_32_kernelILj22E21rocsparse_complex_numIdElidS2_S2_EEvT2_20rocsparse_direction_NS_24const_host_device_scalarIT0_EES3_PKS3_PKT1_SC_S9_PKT3_PKT4_S7_PT5_21rocsparse_index_base_b,"axG",@progbits,_ZN9rocsparseL20bsrxmvn_17_32_kernelILj22E21rocsparse_complex_numIdElidS2_S2_EEvT2_20rocsparse_direction_NS_24const_host_device_scalarIT0_EES3_PKS3_PKT1_SC_S9_PKT3_PKT4_S7_PT5_21rocsparse_index_base_b,comdat
.Lfunc_end453:
	.size	_ZN9rocsparseL20bsrxmvn_17_32_kernelILj22E21rocsparse_complex_numIdElidS2_S2_EEvT2_20rocsparse_direction_NS_24const_host_device_scalarIT0_EES3_PKS3_PKT1_SC_S9_PKT3_PKT4_S7_PT5_21rocsparse_index_base_b, .Lfunc_end453-_ZN9rocsparseL20bsrxmvn_17_32_kernelILj22E21rocsparse_complex_numIdElidS2_S2_EEvT2_20rocsparse_direction_NS_24const_host_device_scalarIT0_EES3_PKS3_PKT1_SC_S9_PKT3_PKT4_S7_PT5_21rocsparse_index_base_b
                                        ; -- End function
	.section	.AMDGPU.csdata,"",@progbits
; Kernel info:
; codeLenInByte = 2180
; NumSgprs: 23
; NumVgprs: 26
; ScratchSize: 0
; MemoryBound: 0
; FloatMode: 240
; IeeeMode: 1
; LDSByteSize: 15488 bytes/workgroup (compile time only)
; SGPRBlocks: 2
; VGPRBlocks: 3
; NumSGPRsForWavesPerEU: 23
; NumVGPRsForWavesPerEU: 26
; Occupancy: 16
; WaveLimiterHint : 1
; COMPUTE_PGM_RSRC2:SCRATCH_EN: 0
; COMPUTE_PGM_RSRC2:USER_SGPR: 15
; COMPUTE_PGM_RSRC2:TRAP_HANDLER: 0
; COMPUTE_PGM_RSRC2:TGID_X_EN: 1
; COMPUTE_PGM_RSRC2:TGID_Y_EN: 0
; COMPUTE_PGM_RSRC2:TGID_Z_EN: 0
; COMPUTE_PGM_RSRC2:TIDIG_COMP_CNT: 2
	.section	.text._ZN9rocsparseL20bsrxmvn_17_32_kernelILj23E21rocsparse_complex_numIdElidS2_S2_EEvT2_20rocsparse_direction_NS_24const_host_device_scalarIT0_EES3_PKS3_PKT1_SC_S9_PKT3_PKT4_S7_PT5_21rocsparse_index_base_b,"axG",@progbits,_ZN9rocsparseL20bsrxmvn_17_32_kernelILj23E21rocsparse_complex_numIdElidS2_S2_EEvT2_20rocsparse_direction_NS_24const_host_device_scalarIT0_EES3_PKS3_PKT1_SC_S9_PKT3_PKT4_S7_PT5_21rocsparse_index_base_b,comdat
	.globl	_ZN9rocsparseL20bsrxmvn_17_32_kernelILj23E21rocsparse_complex_numIdElidS2_S2_EEvT2_20rocsparse_direction_NS_24const_host_device_scalarIT0_EES3_PKS3_PKT1_SC_S9_PKT3_PKT4_S7_PT5_21rocsparse_index_base_b ; -- Begin function _ZN9rocsparseL20bsrxmvn_17_32_kernelILj23E21rocsparse_complex_numIdElidS2_S2_EEvT2_20rocsparse_direction_NS_24const_host_device_scalarIT0_EES3_PKS3_PKT1_SC_S9_PKT3_PKT4_S7_PT5_21rocsparse_index_base_b
	.p2align	8
	.type	_ZN9rocsparseL20bsrxmvn_17_32_kernelILj23E21rocsparse_complex_numIdElidS2_S2_EEvT2_20rocsparse_direction_NS_24const_host_device_scalarIT0_EES3_PKS3_PKT1_SC_S9_PKT3_PKT4_S7_PT5_21rocsparse_index_base_b,@function
_ZN9rocsparseL20bsrxmvn_17_32_kernelILj23E21rocsparse_complex_numIdElidS2_S2_EEvT2_20rocsparse_direction_NS_24const_host_device_scalarIT0_EES3_PKS3_PKT1_SC_S9_PKT3_PKT4_S7_PT5_21rocsparse_index_base_b: ; @_ZN9rocsparseL20bsrxmvn_17_32_kernelILj23E21rocsparse_complex_numIdElidS2_S2_EEvT2_20rocsparse_direction_NS_24const_host_device_scalarIT0_EES3_PKS3_PKT1_SC_S9_PKT3_PKT4_S7_PT5_21rocsparse_index_base_b
; %bb.0:
	s_mov_b32 s12, s15
	s_clause 0x1
	s_load_b64 s[14:15], s[2:3], 0x68
	s_load_b128 s[4:7], s[2:3], 0x8
	s_load_b64 s[16:17], s[0:1], 0x4
	s_mov_b64 s[0:1], src_shared_base
	v_and_b32_e32 v4, 0x3ff, v0
	s_load_b128 s[8:11], s[2:3], 0x50
	v_bfe_u32 v2, v0, 10, 10
	v_bfe_u32 v0, v0, 20, 10
	s_waitcnt lgkmcnt(0)
	s_bitcmp1_b32 s15, 0
	v_mov_b32_e32 v12, s7
	s_cselect_b32 s0, -1, 0
	v_mov_b32_e32 v11, s6
	s_and_b32 vcc_lo, s0, exec_lo
	s_cselect_b32 s13, s1, s5
	s_lshr_b32 s15, s16, 16
	v_mov_b32_e32 v6, s13
	s_mul_i32 s15, s15, s17
	s_xor_b32 s6, s0, -1
	v_mul_lo_u32 v1, s15, v4
	s_delay_alu instid0(VALU_DEP_1) | instskip(SKIP_1) | instid1(VALU_DEP_2)
	v_mad_u32_u24 v1, v2, s17, v1
	v_dual_mov_b32 v2, s8 :: v_dual_mov_b32 v3, s9
	v_add_lshl_u32 v7, v1, v0, 3
	v_dual_mov_b32 v0, s4 :: v_dual_mov_b32 v1, s5
	ds_store_b64 v7, v[0:1] offset:12696
	ds_store_b64 v7, v[2:3] offset:8464
	v_add_nc_u32_e32 v5, 0x3198, v7
	v_add_nc_u32_e32 v0, 0x2110, v7
	s_delay_alu instid0(VALU_DEP_2)
	v_cndmask_b32_e64 v5, s4, v5, s0
	flat_load_b64 v[9:10], v[5:6]
	s_cbranch_vccnz .LBB454_2
; %bb.1:
	v_dual_mov_b32 v1, s4 :: v_dual_mov_b32 v2, s5
	flat_load_b64 v[11:12], v[1:2] offset:8
.LBB454_2:
	s_and_b32 s4, s0, exec_lo
	s_cselect_b32 s1, s1, s9
	v_cndmask_b32_e64 v0, s8, v0, s0
	v_mov_b32_e32 v1, s1
	v_dual_mov_b32 v7, s10 :: v_dual_mov_b32 v8, s11
	s_and_not1_b32 vcc_lo, exec_lo, s6
	flat_load_b64 v[5:6], v[0:1]
	s_cbranch_vccnz .LBB454_4
; %bb.3:
	v_dual_mov_b32 v0, s8 :: v_dual_mov_b32 v1, s9
	flat_load_b64 v[7:8], v[0:1] offset:8
.LBB454_4:
	s_waitcnt vmcnt(1) lgkmcnt(1)
	v_cmp_eq_f64_e32 vcc_lo, 0, v[9:10]
	v_cmp_eq_f64_e64 s0, 0, v[11:12]
	s_delay_alu instid0(VALU_DEP_1)
	s_and_b32 s4, vcc_lo, s0
	s_mov_b32 s0, -1
	s_and_saveexec_b32 s1, s4
	s_cbranch_execz .LBB454_6
; %bb.5:
	s_waitcnt vmcnt(0) lgkmcnt(0)
	v_cmp_neq_f64_e32 vcc_lo, 1.0, v[5:6]
	v_cmp_neq_f64_e64 s0, 0, v[7:8]
	s_delay_alu instid0(VALU_DEP_1) | instskip(NEXT) | instid1(SALU_CYCLE_1)
	s_or_b32 s0, vcc_lo, s0
	s_or_not1_b32 s0, s0, exec_lo
.LBB454_6:
	s_or_b32 exec_lo, exec_lo, s1
	s_and_saveexec_b32 s1, s0
	s_cbranch_execz .LBB454_43
; %bb.7:
	s_clause 0x1
	s_load_b128 s[4:7], s[2:3], 0x20
	s_load_b64 s[8:9], s[2:3], 0x30
	s_waitcnt lgkmcnt(0)
	s_cmp_eq_u64 s[4:5], 0
	s_cbranch_scc1 .LBB454_9
; %bb.8:
	s_ashr_i32 s13, s12, 31
	s_delay_alu instid0(SALU_CYCLE_1) | instskip(NEXT) | instid1(SALU_CYCLE_1)
	s_lshl_b64 s[0:1], s[12:13], 2
	s_add_u32 s0, s4, s0
	s_addc_u32 s1, s5, s1
	s_load_b32 s0, s[0:1], 0x0
	s_waitcnt lgkmcnt(0)
	s_sub_i32 s12, s0, s14
.LBB454_9:
	s_load_b32 s1, s[2:3], 0x4
	v_mul_u32_u24_e32 v0, 0xb22, v4
	v_mov_b32_e32 v2, 0
	v_mov_b32_e32 v3, 0
	s_delay_alu instid0(VALU_DEP_3) | instskip(NEXT) | instid1(VALU_DEP_1)
	v_lshrrev_b32_e32 v13, 16, v0
	v_mul_lo_u16 v0, v13, 23
	s_delay_alu instid0(VALU_DEP_1) | instskip(NEXT) | instid1(VALU_DEP_4)
	v_sub_nc_u16 v16, v4, v0
	v_dual_mov_b32 v0, v2 :: v_dual_mov_b32 v1, v3
	s_waitcnt lgkmcnt(0)
	s_cmp_eq_u32 s1, 1
	s_cselect_b32 s0, -1, 0
	s_cmp_lg_u32 s1, 1
	s_cselect_b32 s20, -1, 0
	s_ashr_i32 s13, s12, 31
	s_delay_alu instid0(SALU_CYCLE_1) | instskip(NEXT) | instid1(SALU_CYCLE_1)
	s_lshl_b64 s[4:5], s[12:13], 3
	s_add_u32 s6, s6, s4
	s_addc_u32 s7, s7, s5
	s_add_u32 s1, s6, 8
	s_addc_u32 s10, s7, 0
	;; [unrolled: 2-line block ×3, first 2 shown]
	s_cmp_eq_u64 s[8:9], 0
	s_load_b64 s[8:9], s[2:3], 0x60
	s_cselect_b32 s5, s10, s5
	s_cselect_b32 s4, s1, s4
	s_load_b64 s[18:19], s[6:7], 0x0
	s_load_b64 s[10:11], s[4:5], 0x0
	s_waitcnt lgkmcnt(0)
	v_cmp_ge_i64_e64 s1, s[18:19], s[10:11]
	s_delay_alu instid0(VALU_DEP_1)
	s_and_b32 vcc_lo, exec_lo, s1
	s_cbranch_vccnz .LBB454_14
; %bb.10:
	s_clause 0x1
	s_load_b128 s[4:7], s[2:3], 0x38
	s_load_b64 s[2:3], s[2:3], 0x48
	s_sub_u32 s10, s10, s14
	s_subb_u32 s11, s11, 0
	s_sub_u32 s16, s18, s14
	s_subb_u32 s17, s19, 0
	v_and_b32_e32 v0, 0xffff, v16
	v_dual_mov_b32 v2, 0 :: v_dual_and_b32 v1, 0xffff, v13
	v_dual_mov_b32 v3, 0 :: v_dual_lshlrev_b32 v14, 3, v4
	s_mul_hi_u32 s1, s16, 0x1088
	s_mul_i32 s21, s17, 0x1088
	s_mul_i32 s13, s16, 0x1088
	s_add_i32 s1, s1, s21
	s_mov_b32 s15, 0
	v_cndmask_b32_e64 v13, v0, v1, s0
	v_dual_mov_b32 v0, v2 :: v_dual_mov_b32 v1, v3
	s_waitcnt lgkmcnt(0)
	s_add_u32 s13, s6, s13
	s_addc_u32 s21, s7, s1
	s_lshl_b64 s[0:1], s[18:19], 2
	s_lshl_b64 s[6:7], s[14:15], 2
	v_add_co_u32 v14, s13, s13, v14
	s_delay_alu instid0(VALU_DEP_1)
	v_add_co_ci_u32_e64 v15, null, s21, 0, s13
	s_sub_u32 s0, s0, s6
	s_subb_u32 s1, s1, s7
	s_add_u32 s0, s4, s0
	s_addc_u32 s1, s5, s1
	s_set_inst_prefetch_distance 0x1
	s_branch .LBB454_12
	.p2align	6
.LBB454_11:                             ;   in Loop: Header=BB454_12 Depth=1
	s_add_u32 s16, s16, 1
	s_addc_u32 s17, s17, 0
	s_add_u32 s0, s0, 4
	v_cmp_lt_i64_e64 s4, s[16:17], s[10:11]
	s_addc_u32 s1, s1, 0
	s_delay_alu instid0(VALU_DEP_1)
	s_and_b32 vcc_lo, exec_lo, s4
	s_cbranch_vccz .LBB454_14
.LBB454_12:                             ; =>This Inner Loop Header: Depth=1
	v_cmp_ge_i64_e64 s4, s[16:17], s[10:11]
	s_delay_alu instid0(VALU_DEP_1)
	s_and_b32 vcc_lo, exec_lo, s4
	s_cbranch_vccnz .LBB454_11
; %bb.13:                               ;   in Loop: Header=BB454_12 Depth=1
	s_load_b32 s4, s[0:1], 0x0
	s_waitcnt lgkmcnt(0)
	s_sub_i32 s4, s4, s14
	s_delay_alu instid0(SALU_CYCLE_1) | instskip(NEXT) | instid1(VALU_DEP_1)
	v_mad_u64_u32 v[17:18], null, s4, 23, v[13:14]
	v_ashrrev_i32_e32 v18, 31, v17
	s_delay_alu instid0(VALU_DEP_1) | instskip(NEXT) | instid1(VALU_DEP_1)
	v_lshlrev_b64 v[17:18], 4, v[17:18]
	v_add_co_u32 v17, vcc_lo, s2, v17
	s_delay_alu instid0(VALU_DEP_2)
	v_add_co_ci_u32_e32 v18, vcc_lo, s3, v18, vcc_lo
	global_load_b64 v[21:22], v[14:15], off
	global_load_b128 v[17:20], v[17:18], off
	v_add_co_u32 v14, vcc_lo, 0x1088, v14
	v_add_co_ci_u32_e32 v15, vcc_lo, 0, v15, vcc_lo
	s_waitcnt vmcnt(0)
	v_fma_f64 v[0:1], v[21:22], v[17:18], v[0:1]
	v_fma_f64 v[2:3], v[17:18], 0, v[2:3]
	s_delay_alu instid0(VALU_DEP_2) | instskip(NEXT) | instid1(VALU_DEP_2)
	v_fma_f64 v[0:1], 0x80000000, v[19:20], v[0:1]
	v_fma_f64 v[2:3], v[21:22], v[19:20], v[2:3]
	s_branch .LBB454_11
.LBB454_14:
	s_set_inst_prefetch_distance 0x2
	v_lshlrev_b32_e32 v17, 4, v4
	s_and_b32 vcc_lo, exec_lo, s20
	ds_store_b128 v17, v[0:3]
	s_waitcnt vmcnt(0) lgkmcnt(0)
	s_barrier
	buffer_gl0_inv
	s_cbranch_vccz .LBB454_26
; %bb.15:
	s_mov_b32 s0, exec_lo
	v_cmpx_gt_u16_e32 7, v16
	s_cbranch_execz .LBB454_17
; %bb.16:
	ds_load_b128 v[18:21], v17 offset:256
	ds_load_b128 v[22:25], v17
	s_waitcnt lgkmcnt(0)
	v_add_f64 v[18:19], v[18:19], v[22:23]
	v_add_f64 v[20:21], v[20:21], v[24:25]
	ds_store_b128 v17, v[18:21]
.LBB454_17:
	s_or_b32 exec_lo, exec_lo, s0
	s_delay_alu instid0(SALU_CYCLE_1)
	s_mov_b32 s0, exec_lo
	s_waitcnt lgkmcnt(0)
	s_barrier
	buffer_gl0_inv
	v_cmpx_gt_u16_e32 8, v16
	s_cbranch_execz .LBB454_19
; %bb.18:
	ds_load_b128 v[18:21], v17 offset:128
	ds_load_b128 v[22:25], v17
	s_waitcnt lgkmcnt(0)
	v_add_f64 v[18:19], v[18:19], v[22:23]
	v_add_f64 v[20:21], v[20:21], v[24:25]
	ds_store_b128 v17, v[18:21]
.LBB454_19:
	s_or_b32 exec_lo, exec_lo, s0
	s_delay_alu instid0(SALU_CYCLE_1)
	s_mov_b32 s0, exec_lo
	s_waitcnt lgkmcnt(0)
	s_barrier
	buffer_gl0_inv
	;; [unrolled: 16-line block ×3, first 2 shown]
	v_cmpx_gt_u16_e32 2, v16
	s_cbranch_execz .LBB454_23
; %bb.22:
	ds_load_b128 v[13:16], v17
	ds_load_b128 v[18:21], v17 offset:32
	s_waitcnt lgkmcnt(0)
	v_add_f64 v[13:14], v[18:19], v[13:14]
	v_add_f64 v[15:16], v[20:21], v[15:16]
	ds_store_b128 v17, v[13:16]
.LBB454_23:
	s_or_b32 exec_lo, exec_lo, s0
	v_dual_mov_b32 v16, v3 :: v_dual_mov_b32 v15, v2
	v_dual_mov_b32 v14, v1 :: v_dual_mov_b32 v13, v0
	s_mov_b32 s0, exec_lo
	s_waitcnt lgkmcnt(0)
	s_barrier
	buffer_gl0_inv
	v_cmpx_gt_u32_e32 23, v4
	s_cbranch_execz .LBB454_25
; %bb.24:
	v_mul_u32_u24_e32 v13, 23, v4
	s_delay_alu instid0(VALU_DEP_1)
	v_lshlrev_b32_e32 v18, 4, v13
	ds_load_b128 v[13:16], v18
	ds_load_b128 v[18:21], v18 offset:16
	s_waitcnt lgkmcnt(0)
	v_add_f64 v[13:14], v[18:19], v[13:14]
	v_add_f64 v[15:16], v[20:21], v[15:16]
.LBB454_25:
	s_or_b32 exec_lo, exec_lo, s0
	s_branch .LBB454_38
.LBB454_26:
                                        ; implicit-def: $vgpr15_vgpr16
                                        ; implicit-def: $vgpr13_vgpr14
	s_cbranch_execz .LBB454_38
; %bb.27:
	s_mov_b32 s0, exec_lo
	v_cmpx_gt_u32_e32 0xa1, v4
	s_cbranch_execz .LBB454_29
; %bb.28:
	ds_load_b128 v[13:16], v17 offset:5888
	ds_load_b128 v[18:21], v17
	s_waitcnt lgkmcnt(0)
	v_add_f64 v[13:14], v[13:14], v[18:19]
	v_add_f64 v[15:16], v[15:16], v[20:21]
	ds_store_b128 v17, v[13:16]
.LBB454_29:
	s_or_b32 exec_lo, exec_lo, s0
	s_delay_alu instid0(SALU_CYCLE_1)
	s_mov_b32 s0, exec_lo
	s_waitcnt lgkmcnt(0)
	s_barrier
	buffer_gl0_inv
	v_cmpx_gt_u32_e32 0xb8, v4
	s_cbranch_execz .LBB454_31
; %bb.30:
	ds_load_b128 v[13:16], v17 offset:2944
	ds_load_b128 v[18:21], v17
	s_waitcnt lgkmcnt(0)
	v_add_f64 v[13:14], v[13:14], v[18:19]
	v_add_f64 v[15:16], v[15:16], v[20:21]
	ds_store_b128 v17, v[13:16]
.LBB454_31:
	s_or_b32 exec_lo, exec_lo, s0
	s_delay_alu instid0(SALU_CYCLE_1)
	s_mov_b32 s0, exec_lo
	s_waitcnt lgkmcnt(0)
	s_barrier
	buffer_gl0_inv
	;; [unrolled: 16-line block ×3, first 2 shown]
	v_cmpx_gt_u32_e32 46, v4
	s_cbranch_execz .LBB454_35
; %bb.34:
	ds_load_b128 v[13:16], v17 offset:736
	ds_load_b128 v[18:21], v17
	s_waitcnt lgkmcnt(0)
	v_add_f64 v[13:14], v[13:14], v[18:19]
	v_add_f64 v[15:16], v[15:16], v[20:21]
	ds_store_b128 v17, v[13:16]
.LBB454_35:
	s_or_b32 exec_lo, exec_lo, s0
	s_delay_alu instid0(SALU_CYCLE_1)
	s_mov_b32 s0, exec_lo
	s_waitcnt lgkmcnt(0)
	buffer_gl0_inv
	v_cmpx_gt_u32_e32 23, v4
	s_cbranch_execz .LBB454_37
; %bb.36:
	ds_load_b128 v[0:3], v17 offset:368
	ds_load_b128 v[13:16], v17
	s_waitcnt lgkmcnt(0)
	v_add_f64 v[0:1], v[0:1], v[13:14]
	v_add_f64 v[2:3], v[2:3], v[15:16]
.LBB454_37:
	s_or_b32 exec_lo, exec_lo, s0
	s_delay_alu instid0(VALU_DEP_1) | instskip(NEXT) | instid1(VALU_DEP_3)
	v_dual_mov_b32 v16, v3 :: v_dual_mov_b32 v15, v2
	v_dual_mov_b32 v14, v1 :: v_dual_mov_b32 v13, v0
.LBB454_38:
	v_cmp_gt_u32_e32 vcc_lo, 23, v4
	s_and_b32 exec_lo, exec_lo, vcc_lo
	s_cbranch_execz .LBB454_43
; %bb.39:
	s_delay_alu instid0(VALU_DEP_2) | instskip(SKIP_3) | instid1(VALU_DEP_4)
	v_mul_f64 v[0:1], v[15:16], -v[11:12]
	v_mul_f64 v[2:3], v[9:10], v[15:16]
	v_cmp_eq_f64_e32 vcc_lo, 0, v[5:6]
	v_cmp_eq_f64_e64 s0, 0, v[7:8]
	v_fma_f64 v[0:1], v[9:10], v[13:14], v[0:1]
	s_delay_alu instid0(VALU_DEP_4) | instskip(NEXT) | instid1(VALU_DEP_3)
	v_fma_f64 v[2:3], v[11:12], v[13:14], v[2:3]
	s_and_b32 s0, vcc_lo, s0
	s_delay_alu instid0(SALU_CYCLE_1) | instskip(NEXT) | instid1(SALU_CYCLE_1)
	s_and_saveexec_b32 s1, s0
	s_xor_b32 s0, exec_lo, s1
	s_cbranch_execz .LBB454_41
; %bb.40:
	v_mad_u64_u32 v[5:6], null, s12, 23, v[4:5]
	v_mov_b32_e32 v6, 0
                                        ; implicit-def: $vgpr7_vgpr8
	s_delay_alu instid0(VALU_DEP_1) | instskip(NEXT) | instid1(VALU_DEP_1)
	v_lshlrev_b64 v[4:5], 4, v[5:6]
	v_add_co_u32 v4, vcc_lo, s8, v4
	s_delay_alu instid0(VALU_DEP_2)
	v_add_co_ci_u32_e32 v5, vcc_lo, s9, v5, vcc_lo
	global_store_b128 v[4:5], v[0:3], off
                                        ; implicit-def: $vgpr4
                                        ; implicit-def: $vgpr5_vgpr6
                                        ; implicit-def: $vgpr0_vgpr1
.LBB454_41:
	s_and_not1_saveexec_b32 s0, s0
	s_cbranch_execz .LBB454_43
; %bb.42:
	v_mad_u64_u32 v[9:10], null, s12, 23, v[4:5]
	v_mov_b32_e32 v10, 0
	s_delay_alu instid0(VALU_DEP_1) | instskip(NEXT) | instid1(VALU_DEP_1)
	v_lshlrev_b64 v[9:10], 4, v[9:10]
	v_add_co_u32 v13, vcc_lo, s8, v9
	s_delay_alu instid0(VALU_DEP_2) | instskip(SKIP_4) | instid1(VALU_DEP_2)
	v_add_co_ci_u32_e32 v14, vcc_lo, s9, v10, vcc_lo
	global_load_b128 v[9:12], v[13:14], off
	s_waitcnt vmcnt(0)
	v_fma_f64 v[0:1], v[5:6], v[9:10], v[0:1]
	v_fma_f64 v[2:3], v[7:8], v[9:10], v[2:3]
	v_fma_f64 v[0:1], -v[7:8], v[11:12], v[0:1]
	s_delay_alu instid0(VALU_DEP_2)
	v_fma_f64 v[2:3], v[5:6], v[11:12], v[2:3]
	global_store_b128 v[13:14], v[0:3], off
.LBB454_43:
	s_nop 0
	s_sendmsg sendmsg(MSG_DEALLOC_VGPRS)
	s_endpgm
	.section	.rodata,"a",@progbits
	.p2align	6, 0x0
	.amdhsa_kernel _ZN9rocsparseL20bsrxmvn_17_32_kernelILj23E21rocsparse_complex_numIdElidS2_S2_EEvT2_20rocsparse_direction_NS_24const_host_device_scalarIT0_EES3_PKS3_PKT1_SC_S9_PKT3_PKT4_S7_PT5_21rocsparse_index_base_b
		.amdhsa_group_segment_fixed_size 16928
		.amdhsa_private_segment_fixed_size 0
		.amdhsa_kernarg_size 112
		.amdhsa_user_sgpr_count 15
		.amdhsa_user_sgpr_dispatch_ptr 1
		.amdhsa_user_sgpr_queue_ptr 0
		.amdhsa_user_sgpr_kernarg_segment_ptr 1
		.amdhsa_user_sgpr_dispatch_id 0
		.amdhsa_user_sgpr_private_segment_size 0
		.amdhsa_wavefront_size32 1
		.amdhsa_uses_dynamic_stack 0
		.amdhsa_enable_private_segment 0
		.amdhsa_system_sgpr_workgroup_id_x 1
		.amdhsa_system_sgpr_workgroup_id_y 0
		.amdhsa_system_sgpr_workgroup_id_z 0
		.amdhsa_system_sgpr_workgroup_info 0
		.amdhsa_system_vgpr_workitem_id 2
		.amdhsa_next_free_vgpr 26
		.amdhsa_next_free_sgpr 22
		.amdhsa_reserve_vcc 1
		.amdhsa_float_round_mode_32 0
		.amdhsa_float_round_mode_16_64 0
		.amdhsa_float_denorm_mode_32 3
		.amdhsa_float_denorm_mode_16_64 3
		.amdhsa_dx10_clamp 1
		.amdhsa_ieee_mode 1
		.amdhsa_fp16_overflow 0
		.amdhsa_workgroup_processor_mode 1
		.amdhsa_memory_ordered 1
		.amdhsa_forward_progress 0
		.amdhsa_shared_vgpr_count 0
		.amdhsa_exception_fp_ieee_invalid_op 0
		.amdhsa_exception_fp_denorm_src 0
		.amdhsa_exception_fp_ieee_div_zero 0
		.amdhsa_exception_fp_ieee_overflow 0
		.amdhsa_exception_fp_ieee_underflow 0
		.amdhsa_exception_fp_ieee_inexact 0
		.amdhsa_exception_int_div_zero 0
	.end_amdhsa_kernel
	.section	.text._ZN9rocsparseL20bsrxmvn_17_32_kernelILj23E21rocsparse_complex_numIdElidS2_S2_EEvT2_20rocsparse_direction_NS_24const_host_device_scalarIT0_EES3_PKS3_PKT1_SC_S9_PKT3_PKT4_S7_PT5_21rocsparse_index_base_b,"axG",@progbits,_ZN9rocsparseL20bsrxmvn_17_32_kernelILj23E21rocsparse_complex_numIdElidS2_S2_EEvT2_20rocsparse_direction_NS_24const_host_device_scalarIT0_EES3_PKS3_PKT1_SC_S9_PKT3_PKT4_S7_PT5_21rocsparse_index_base_b,comdat
.Lfunc_end454:
	.size	_ZN9rocsparseL20bsrxmvn_17_32_kernelILj23E21rocsparse_complex_numIdElidS2_S2_EEvT2_20rocsparse_direction_NS_24const_host_device_scalarIT0_EES3_PKS3_PKT1_SC_S9_PKT3_PKT4_S7_PT5_21rocsparse_index_base_b, .Lfunc_end454-_ZN9rocsparseL20bsrxmvn_17_32_kernelILj23E21rocsparse_complex_numIdElidS2_S2_EEvT2_20rocsparse_direction_NS_24const_host_device_scalarIT0_EES3_PKS3_PKT1_SC_S9_PKT3_PKT4_S7_PT5_21rocsparse_index_base_b
                                        ; -- End function
	.section	.AMDGPU.csdata,"",@progbits
; Kernel info:
; codeLenInByte = 2072
; NumSgprs: 24
; NumVgprs: 26
; ScratchSize: 0
; MemoryBound: 0
; FloatMode: 240
; IeeeMode: 1
; LDSByteSize: 16928 bytes/workgroup (compile time only)
; SGPRBlocks: 2
; VGPRBlocks: 3
; NumSGPRsForWavesPerEU: 24
; NumVGPRsForWavesPerEU: 26
; Occupancy: 13
; WaveLimiterHint : 1
; COMPUTE_PGM_RSRC2:SCRATCH_EN: 0
; COMPUTE_PGM_RSRC2:USER_SGPR: 15
; COMPUTE_PGM_RSRC2:TRAP_HANDLER: 0
; COMPUTE_PGM_RSRC2:TGID_X_EN: 1
; COMPUTE_PGM_RSRC2:TGID_Y_EN: 0
; COMPUTE_PGM_RSRC2:TGID_Z_EN: 0
; COMPUTE_PGM_RSRC2:TIDIG_COMP_CNT: 2
	.section	.text._ZN9rocsparseL20bsrxmvn_17_32_kernelILj24E21rocsparse_complex_numIdElidS2_S2_EEvT2_20rocsparse_direction_NS_24const_host_device_scalarIT0_EES3_PKS3_PKT1_SC_S9_PKT3_PKT4_S7_PT5_21rocsparse_index_base_b,"axG",@progbits,_ZN9rocsparseL20bsrxmvn_17_32_kernelILj24E21rocsparse_complex_numIdElidS2_S2_EEvT2_20rocsparse_direction_NS_24const_host_device_scalarIT0_EES3_PKS3_PKT1_SC_S9_PKT3_PKT4_S7_PT5_21rocsparse_index_base_b,comdat
	.globl	_ZN9rocsparseL20bsrxmvn_17_32_kernelILj24E21rocsparse_complex_numIdElidS2_S2_EEvT2_20rocsparse_direction_NS_24const_host_device_scalarIT0_EES3_PKS3_PKT1_SC_S9_PKT3_PKT4_S7_PT5_21rocsparse_index_base_b ; -- Begin function _ZN9rocsparseL20bsrxmvn_17_32_kernelILj24E21rocsparse_complex_numIdElidS2_S2_EEvT2_20rocsparse_direction_NS_24const_host_device_scalarIT0_EES3_PKS3_PKT1_SC_S9_PKT3_PKT4_S7_PT5_21rocsparse_index_base_b
	.p2align	8
	.type	_ZN9rocsparseL20bsrxmvn_17_32_kernelILj24E21rocsparse_complex_numIdElidS2_S2_EEvT2_20rocsparse_direction_NS_24const_host_device_scalarIT0_EES3_PKS3_PKT1_SC_S9_PKT3_PKT4_S7_PT5_21rocsparse_index_base_b,@function
_ZN9rocsparseL20bsrxmvn_17_32_kernelILj24E21rocsparse_complex_numIdElidS2_S2_EEvT2_20rocsparse_direction_NS_24const_host_device_scalarIT0_EES3_PKS3_PKT1_SC_S9_PKT3_PKT4_S7_PT5_21rocsparse_index_base_b: ; @_ZN9rocsparseL20bsrxmvn_17_32_kernelILj24E21rocsparse_complex_numIdElidS2_S2_EEvT2_20rocsparse_direction_NS_24const_host_device_scalarIT0_EES3_PKS3_PKT1_SC_S9_PKT3_PKT4_S7_PT5_21rocsparse_index_base_b
; %bb.0:
	s_mov_b32 s12, s15
	s_clause 0x1
	s_load_b64 s[14:15], s[2:3], 0x68
	s_load_b128 s[4:7], s[2:3], 0x8
	s_load_b64 s[16:17], s[0:1], 0x4
	s_mov_b64 s[0:1], src_shared_base
	v_and_b32_e32 v4, 0x3ff, v0
	s_load_b128 s[8:11], s[2:3], 0x50
	v_bfe_u32 v2, v0, 10, 10
	v_bfe_u32 v0, v0, 20, 10
	s_waitcnt lgkmcnt(0)
	s_bitcmp1_b32 s15, 0
	v_mov_b32_e32 v12, s7
	s_cselect_b32 s0, -1, 0
	v_mov_b32_e32 v11, s6
	s_and_b32 vcc_lo, s0, exec_lo
	s_cselect_b32 s13, s1, s5
	s_lshr_b32 s15, s16, 16
	v_mov_b32_e32 v6, s13
	s_mul_i32 s15, s15, s17
	s_xor_b32 s6, s0, -1
	v_mul_lo_u32 v1, s15, v4
	s_delay_alu instid0(VALU_DEP_1) | instskip(SKIP_1) | instid1(VALU_DEP_2)
	v_mad_u32_u24 v1, v2, s17, v1
	v_dual_mov_b32 v2, s8 :: v_dual_mov_b32 v3, s9
	v_add_lshl_u32 v7, v1, v0, 3
	v_dual_mov_b32 v0, s4 :: v_dual_mov_b32 v1, s5
	s_delay_alu instid0(VALU_DEP_2)
	v_add_nc_u32_e32 v5, 0x3600, v7
	ds_store_2addr_stride64_b64 v7, v[2:3], v[0:1] offset0:18 offset1:27
	v_add_nc_u32_e32 v0, 0x2400, v7
	v_cndmask_b32_e64 v5, s4, v5, s0
	flat_load_b64 v[9:10], v[5:6]
	s_cbranch_vccnz .LBB455_2
; %bb.1:
	v_dual_mov_b32 v1, s4 :: v_dual_mov_b32 v2, s5
	flat_load_b64 v[11:12], v[1:2] offset:8
.LBB455_2:
	s_and_b32 s4, s0, exec_lo
	s_cselect_b32 s1, s1, s9
	v_cndmask_b32_e64 v0, s8, v0, s0
	v_mov_b32_e32 v1, s1
	v_dual_mov_b32 v7, s10 :: v_dual_mov_b32 v8, s11
	s_and_not1_b32 vcc_lo, exec_lo, s6
	flat_load_b64 v[5:6], v[0:1]
	s_cbranch_vccnz .LBB455_4
; %bb.3:
	v_dual_mov_b32 v0, s8 :: v_dual_mov_b32 v1, s9
	flat_load_b64 v[7:8], v[0:1] offset:8
.LBB455_4:
	s_waitcnt vmcnt(1) lgkmcnt(1)
	v_cmp_eq_f64_e32 vcc_lo, 0, v[9:10]
	v_cmp_eq_f64_e64 s0, 0, v[11:12]
	s_delay_alu instid0(VALU_DEP_1)
	s_and_b32 s4, vcc_lo, s0
	s_mov_b32 s0, -1
	s_and_saveexec_b32 s1, s4
	s_cbranch_execz .LBB455_6
; %bb.5:
	s_waitcnt vmcnt(0) lgkmcnt(0)
	v_cmp_neq_f64_e32 vcc_lo, 1.0, v[5:6]
	v_cmp_neq_f64_e64 s0, 0, v[7:8]
	s_delay_alu instid0(VALU_DEP_1) | instskip(NEXT) | instid1(SALU_CYCLE_1)
	s_or_b32 s0, vcc_lo, s0
	s_or_not1_b32 s0, s0, exec_lo
.LBB455_6:
	s_or_b32 exec_lo, exec_lo, s1
	s_and_saveexec_b32 s1, s0
	s_cbranch_execz .LBB455_43
; %bb.7:
	s_clause 0x1
	s_load_b128 s[4:7], s[2:3], 0x20
	s_load_b64 s[8:9], s[2:3], 0x30
	s_waitcnt lgkmcnt(0)
	s_cmp_eq_u64 s[4:5], 0
	s_cbranch_scc1 .LBB455_9
; %bb.8:
	s_ashr_i32 s13, s12, 31
	s_delay_alu instid0(SALU_CYCLE_1) | instskip(NEXT) | instid1(SALU_CYCLE_1)
	s_lshl_b64 s[0:1], s[12:13], 2
	s_add_u32 s0, s4, s0
	s_addc_u32 s1, s5, s1
	s_load_b32 s0, s[0:1], 0x0
	s_waitcnt lgkmcnt(0)
	s_sub_i32 s12, s0, s14
.LBB455_9:
	s_load_b32 s1, s[2:3], 0x4
	v_mul_u32_u24_e32 v0, 0xaab, v4
	v_mov_b32_e32 v2, 0
	v_mov_b32_e32 v3, 0
	s_delay_alu instid0(VALU_DEP_3) | instskip(NEXT) | instid1(VALU_DEP_1)
	v_lshrrev_b32_e32 v13, 16, v0
	v_mul_lo_u16 v0, v13, 24
	s_delay_alu instid0(VALU_DEP_1) | instskip(NEXT) | instid1(VALU_DEP_4)
	v_sub_nc_u16 v16, v4, v0
	v_dual_mov_b32 v0, v2 :: v_dual_mov_b32 v1, v3
	s_waitcnt lgkmcnt(0)
	s_cmp_eq_u32 s1, 1
	s_cselect_b32 s0, -1, 0
	s_cmp_lg_u32 s1, 1
	s_cselect_b32 s20, -1, 0
	s_ashr_i32 s13, s12, 31
	s_delay_alu instid0(SALU_CYCLE_1) | instskip(NEXT) | instid1(SALU_CYCLE_1)
	s_lshl_b64 s[4:5], s[12:13], 3
	s_add_u32 s6, s6, s4
	s_addc_u32 s7, s7, s5
	s_add_u32 s1, s6, 8
	s_addc_u32 s10, s7, 0
	s_add_u32 s4, s8, s4
	s_addc_u32 s5, s9, s5
	s_cmp_eq_u64 s[8:9], 0
	s_load_b64 s[8:9], s[2:3], 0x60
	s_cselect_b32 s5, s10, s5
	s_cselect_b32 s4, s1, s4
	s_load_b64 s[18:19], s[6:7], 0x0
	s_load_b64 s[10:11], s[4:5], 0x0
	s_waitcnt lgkmcnt(0)
	v_cmp_ge_i64_e64 s1, s[18:19], s[10:11]
	s_delay_alu instid0(VALU_DEP_1)
	s_and_b32 vcc_lo, exec_lo, s1
	s_cbranch_vccnz .LBB455_14
; %bb.10:
	s_clause 0x1
	s_load_b128 s[4:7], s[2:3], 0x38
	s_load_b64 s[2:3], s[2:3], 0x48
	s_sub_u32 s10, s10, s14
	s_subb_u32 s11, s11, 0
	s_sub_u32 s16, s18, s14
	s_subb_u32 s17, s19, 0
	v_and_b32_e32 v0, 0xffff, v16
	v_dual_mov_b32 v2, 0 :: v_dual_and_b32 v1, 0xffff, v13
	v_dual_mov_b32 v3, 0 :: v_dual_lshlrev_b32 v14, 3, v4
	s_mul_hi_u32 s1, s16, 0x1200
	s_mul_i32 s21, s17, 0x1200
	s_mul_i32 s13, s16, 0x1200
	s_add_i32 s1, s1, s21
	s_mov_b32 s15, 0
	v_cndmask_b32_e64 v13, v0, v1, s0
	v_dual_mov_b32 v0, v2 :: v_dual_mov_b32 v1, v3
	s_waitcnt lgkmcnt(0)
	s_add_u32 s13, s6, s13
	s_addc_u32 s21, s7, s1
	s_lshl_b64 s[0:1], s[18:19], 2
	s_lshl_b64 s[6:7], s[14:15], 2
	v_add_co_u32 v14, s13, s13, v14
	s_delay_alu instid0(VALU_DEP_1)
	v_add_co_ci_u32_e64 v15, null, s21, 0, s13
	s_sub_u32 s0, s0, s6
	s_subb_u32 s1, s1, s7
	s_add_u32 s0, s4, s0
	s_addc_u32 s1, s5, s1
	s_set_inst_prefetch_distance 0x1
	s_branch .LBB455_12
	.p2align	6
.LBB455_11:                             ;   in Loop: Header=BB455_12 Depth=1
	s_add_u32 s16, s16, 1
	s_addc_u32 s17, s17, 0
	s_add_u32 s0, s0, 4
	v_cmp_lt_i64_e64 s4, s[16:17], s[10:11]
	s_addc_u32 s1, s1, 0
	s_delay_alu instid0(VALU_DEP_1)
	s_and_b32 vcc_lo, exec_lo, s4
	s_cbranch_vccz .LBB455_14
.LBB455_12:                             ; =>This Inner Loop Header: Depth=1
	v_cmp_ge_i64_e64 s4, s[16:17], s[10:11]
	s_delay_alu instid0(VALU_DEP_1)
	s_and_b32 vcc_lo, exec_lo, s4
	s_cbranch_vccnz .LBB455_11
; %bb.13:                               ;   in Loop: Header=BB455_12 Depth=1
	s_load_b32 s4, s[0:1], 0x0
	s_waitcnt lgkmcnt(0)
	s_sub_i32 s4, s4, s14
	s_delay_alu instid0(SALU_CYCLE_1) | instskip(NEXT) | instid1(VALU_DEP_1)
	v_mad_u64_u32 v[17:18], null, s4, 24, v[13:14]
	v_ashrrev_i32_e32 v18, 31, v17
	s_delay_alu instid0(VALU_DEP_1) | instskip(NEXT) | instid1(VALU_DEP_1)
	v_lshlrev_b64 v[17:18], 4, v[17:18]
	v_add_co_u32 v17, vcc_lo, s2, v17
	s_delay_alu instid0(VALU_DEP_2)
	v_add_co_ci_u32_e32 v18, vcc_lo, s3, v18, vcc_lo
	global_load_b64 v[21:22], v[14:15], off
	global_load_b128 v[17:20], v[17:18], off
	v_add_co_u32 v14, vcc_lo, 0x1200, v14
	v_add_co_ci_u32_e32 v15, vcc_lo, 0, v15, vcc_lo
	s_waitcnt vmcnt(0)
	v_fma_f64 v[0:1], v[21:22], v[17:18], v[0:1]
	v_fma_f64 v[2:3], v[17:18], 0, v[2:3]
	s_delay_alu instid0(VALU_DEP_2) | instskip(NEXT) | instid1(VALU_DEP_2)
	v_fma_f64 v[0:1], 0x80000000, v[19:20], v[0:1]
	v_fma_f64 v[2:3], v[21:22], v[19:20], v[2:3]
	s_branch .LBB455_11
.LBB455_14:
	s_set_inst_prefetch_distance 0x2
	v_lshlrev_b32_e32 v17, 4, v4
	s_and_b32 vcc_lo, exec_lo, s20
	ds_store_b128 v17, v[0:3]
	s_waitcnt vmcnt(0) lgkmcnt(0)
	s_barrier
	buffer_gl0_inv
	s_cbranch_vccz .LBB455_26
; %bb.15:
	v_cmp_gt_u16_e32 vcc_lo, 8, v16
	s_and_saveexec_b32 s0, vcc_lo
	s_cbranch_execz .LBB455_17
; %bb.16:
	ds_load_b128 v[18:21], v17 offset:256
	ds_load_b128 v[22:25], v17
	s_waitcnt lgkmcnt(0)
	v_add_f64 v[18:19], v[18:19], v[22:23]
	v_add_f64 v[20:21], v[20:21], v[24:25]
	ds_store_b128 v17, v[18:21]
.LBB455_17:
	s_or_b32 exec_lo, exec_lo, s0
	s_waitcnt lgkmcnt(0)
	s_barrier
	buffer_gl0_inv
	s_and_saveexec_b32 s0, vcc_lo
	s_cbranch_execz .LBB455_19
; %bb.18:
	ds_load_b128 v[18:21], v17 offset:128
	ds_load_b128 v[22:25], v17
	s_waitcnt lgkmcnt(0)
	v_add_f64 v[18:19], v[18:19], v[22:23]
	v_add_f64 v[20:21], v[20:21], v[24:25]
	ds_store_b128 v17, v[18:21]
.LBB455_19:
	s_or_b32 exec_lo, exec_lo, s0
	s_delay_alu instid0(SALU_CYCLE_1)
	s_mov_b32 s0, exec_lo
	s_waitcnt lgkmcnt(0)
	s_barrier
	buffer_gl0_inv
	v_cmpx_gt_u16_e32 4, v16
	s_cbranch_execz .LBB455_21
; %bb.20:
	ds_load_b128 v[18:21], v17 offset:64
	ds_load_b128 v[22:25], v17
	s_waitcnt lgkmcnt(0)
	v_add_f64 v[18:19], v[18:19], v[22:23]
	v_add_f64 v[20:21], v[20:21], v[24:25]
	ds_store_b128 v17, v[18:21]
.LBB455_21:
	s_or_b32 exec_lo, exec_lo, s0
	s_delay_alu instid0(SALU_CYCLE_1)
	s_mov_b32 s0, exec_lo
	s_waitcnt lgkmcnt(0)
	s_barrier
	buffer_gl0_inv
	v_cmpx_gt_u16_e32 2, v16
	s_cbranch_execz .LBB455_23
; %bb.22:
	ds_load_b128 v[13:16], v17
	ds_load_b128 v[18:21], v17 offset:32
	s_waitcnt lgkmcnt(0)
	v_add_f64 v[13:14], v[18:19], v[13:14]
	v_add_f64 v[15:16], v[20:21], v[15:16]
	ds_store_b128 v17, v[13:16]
.LBB455_23:
	s_or_b32 exec_lo, exec_lo, s0
	v_dual_mov_b32 v16, v3 :: v_dual_mov_b32 v15, v2
	v_dual_mov_b32 v14, v1 :: v_dual_mov_b32 v13, v0
	s_mov_b32 s0, exec_lo
	s_waitcnt lgkmcnt(0)
	s_barrier
	buffer_gl0_inv
	v_cmpx_gt_u32_e32 24, v4
	s_cbranch_execz .LBB455_25
; %bb.24:
	v_mul_u32_u24_e32 v13, 24, v4
	s_delay_alu instid0(VALU_DEP_1)
	v_lshlrev_b32_e32 v18, 4, v13
	ds_load_b128 v[13:16], v18
	ds_load_b128 v[18:21], v18 offset:16
	s_waitcnt lgkmcnt(0)
	v_add_f64 v[13:14], v[18:19], v[13:14]
	v_add_f64 v[15:16], v[20:21], v[15:16]
.LBB455_25:
	s_or_b32 exec_lo, exec_lo, s0
	s_branch .LBB455_38
.LBB455_26:
                                        ; implicit-def: $vgpr15_vgpr16
                                        ; implicit-def: $vgpr13_vgpr14
	s_cbranch_execz .LBB455_38
; %bb.27:
	v_cmp_gt_u32_e32 vcc_lo, 0xc0, v4
	s_and_saveexec_b32 s0, vcc_lo
	s_cbranch_execz .LBB455_29
; %bb.28:
	ds_load_b128 v[13:16], v17 offset:6144
	ds_load_b128 v[18:21], v17
	s_waitcnt lgkmcnt(0)
	v_add_f64 v[13:14], v[13:14], v[18:19]
	v_add_f64 v[15:16], v[15:16], v[20:21]
	ds_store_b128 v17, v[13:16]
.LBB455_29:
	s_or_b32 exec_lo, exec_lo, s0
	s_waitcnt lgkmcnt(0)
	s_barrier
	buffer_gl0_inv
	s_and_saveexec_b32 s0, vcc_lo
	s_cbranch_execz .LBB455_31
; %bb.30:
	ds_load_b128 v[13:16], v17 offset:3072
	ds_load_b128 v[18:21], v17
	s_waitcnt lgkmcnt(0)
	v_add_f64 v[13:14], v[13:14], v[18:19]
	v_add_f64 v[15:16], v[15:16], v[20:21]
	ds_store_b128 v17, v[13:16]
.LBB455_31:
	s_or_b32 exec_lo, exec_lo, s0
	s_delay_alu instid0(SALU_CYCLE_1)
	s_mov_b32 s0, exec_lo
	s_waitcnt lgkmcnt(0)
	s_barrier
	buffer_gl0_inv
	v_cmpx_gt_u32_e32 0x60, v4
	s_cbranch_execz .LBB455_33
; %bb.32:
	ds_load_b128 v[13:16], v17 offset:1536
	ds_load_b128 v[18:21], v17
	s_waitcnt lgkmcnt(0)
	v_add_f64 v[13:14], v[13:14], v[18:19]
	v_add_f64 v[15:16], v[15:16], v[20:21]
	ds_store_b128 v17, v[13:16]
.LBB455_33:
	s_or_b32 exec_lo, exec_lo, s0
	s_delay_alu instid0(SALU_CYCLE_1)
	s_mov_b32 s0, exec_lo
	s_waitcnt lgkmcnt(0)
	s_barrier
	buffer_gl0_inv
	v_cmpx_gt_u32_e32 48, v4
	s_cbranch_execz .LBB455_35
; %bb.34:
	ds_load_b128 v[13:16], v17 offset:768
	ds_load_b128 v[18:21], v17
	s_waitcnt lgkmcnt(0)
	v_add_f64 v[13:14], v[13:14], v[18:19]
	v_add_f64 v[15:16], v[15:16], v[20:21]
	ds_store_b128 v17, v[13:16]
.LBB455_35:
	s_or_b32 exec_lo, exec_lo, s0
	s_delay_alu instid0(SALU_CYCLE_1)
	s_mov_b32 s0, exec_lo
	s_waitcnt lgkmcnt(0)
	buffer_gl0_inv
	v_cmpx_gt_u32_e32 24, v4
	s_cbranch_execz .LBB455_37
; %bb.36:
	ds_load_b128 v[0:3], v17 offset:384
	ds_load_b128 v[13:16], v17
	s_waitcnt lgkmcnt(0)
	v_add_f64 v[0:1], v[0:1], v[13:14]
	v_add_f64 v[2:3], v[2:3], v[15:16]
.LBB455_37:
	s_or_b32 exec_lo, exec_lo, s0
	s_delay_alu instid0(VALU_DEP_1) | instskip(NEXT) | instid1(VALU_DEP_3)
	v_dual_mov_b32 v16, v3 :: v_dual_mov_b32 v15, v2
	v_dual_mov_b32 v14, v1 :: v_dual_mov_b32 v13, v0
.LBB455_38:
	v_cmp_gt_u32_e32 vcc_lo, 24, v4
	s_and_b32 exec_lo, exec_lo, vcc_lo
	s_cbranch_execz .LBB455_43
; %bb.39:
	s_delay_alu instid0(VALU_DEP_2) | instskip(SKIP_3) | instid1(VALU_DEP_4)
	v_mul_f64 v[0:1], v[15:16], -v[11:12]
	v_mul_f64 v[2:3], v[9:10], v[15:16]
	v_cmp_eq_f64_e32 vcc_lo, 0, v[5:6]
	v_cmp_eq_f64_e64 s0, 0, v[7:8]
	v_fma_f64 v[0:1], v[9:10], v[13:14], v[0:1]
	s_delay_alu instid0(VALU_DEP_4) | instskip(NEXT) | instid1(VALU_DEP_3)
	v_fma_f64 v[2:3], v[11:12], v[13:14], v[2:3]
	s_and_b32 s0, vcc_lo, s0
	s_delay_alu instid0(SALU_CYCLE_1) | instskip(NEXT) | instid1(SALU_CYCLE_1)
	s_and_saveexec_b32 s1, s0
	s_xor_b32 s0, exec_lo, s1
	s_cbranch_execz .LBB455_41
; %bb.40:
	v_mad_u64_u32 v[5:6], null, s12, 24, v[4:5]
	v_mov_b32_e32 v6, 0
                                        ; implicit-def: $vgpr7_vgpr8
	s_delay_alu instid0(VALU_DEP_1) | instskip(NEXT) | instid1(VALU_DEP_1)
	v_lshlrev_b64 v[4:5], 4, v[5:6]
	v_add_co_u32 v4, vcc_lo, s8, v4
	s_delay_alu instid0(VALU_DEP_2)
	v_add_co_ci_u32_e32 v5, vcc_lo, s9, v5, vcc_lo
	global_store_b128 v[4:5], v[0:3], off
                                        ; implicit-def: $vgpr4
                                        ; implicit-def: $vgpr5_vgpr6
                                        ; implicit-def: $vgpr0_vgpr1
.LBB455_41:
	s_and_not1_saveexec_b32 s0, s0
	s_cbranch_execz .LBB455_43
; %bb.42:
	v_mad_u64_u32 v[9:10], null, s12, 24, v[4:5]
	v_mov_b32_e32 v10, 0
	s_delay_alu instid0(VALU_DEP_1) | instskip(NEXT) | instid1(VALU_DEP_1)
	v_lshlrev_b64 v[9:10], 4, v[9:10]
	v_add_co_u32 v13, vcc_lo, s8, v9
	s_delay_alu instid0(VALU_DEP_2) | instskip(SKIP_4) | instid1(VALU_DEP_2)
	v_add_co_ci_u32_e32 v14, vcc_lo, s9, v10, vcc_lo
	global_load_b128 v[9:12], v[13:14], off
	s_waitcnt vmcnt(0)
	v_fma_f64 v[0:1], v[5:6], v[9:10], v[0:1]
	v_fma_f64 v[2:3], v[7:8], v[9:10], v[2:3]
	v_fma_f64 v[0:1], -v[7:8], v[11:12], v[0:1]
	s_delay_alu instid0(VALU_DEP_2)
	v_fma_f64 v[2:3], v[5:6], v[11:12], v[2:3]
	global_store_b128 v[13:14], v[0:3], off
.LBB455_43:
	s_nop 0
	s_sendmsg sendmsg(MSG_DEALLOC_VGPRS)
	s_endpgm
	.section	.rodata,"a",@progbits
	.p2align	6, 0x0
	.amdhsa_kernel _ZN9rocsparseL20bsrxmvn_17_32_kernelILj24E21rocsparse_complex_numIdElidS2_S2_EEvT2_20rocsparse_direction_NS_24const_host_device_scalarIT0_EES3_PKS3_PKT1_SC_S9_PKT3_PKT4_S7_PT5_21rocsparse_index_base_b
		.amdhsa_group_segment_fixed_size 18432
		.amdhsa_private_segment_fixed_size 0
		.amdhsa_kernarg_size 112
		.amdhsa_user_sgpr_count 15
		.amdhsa_user_sgpr_dispatch_ptr 1
		.amdhsa_user_sgpr_queue_ptr 0
		.amdhsa_user_sgpr_kernarg_segment_ptr 1
		.amdhsa_user_sgpr_dispatch_id 0
		.amdhsa_user_sgpr_private_segment_size 0
		.amdhsa_wavefront_size32 1
		.amdhsa_uses_dynamic_stack 0
		.amdhsa_enable_private_segment 0
		.amdhsa_system_sgpr_workgroup_id_x 1
		.amdhsa_system_sgpr_workgroup_id_y 0
		.amdhsa_system_sgpr_workgroup_id_z 0
		.amdhsa_system_sgpr_workgroup_info 0
		.amdhsa_system_vgpr_workitem_id 2
		.amdhsa_next_free_vgpr 26
		.amdhsa_next_free_sgpr 22
		.amdhsa_reserve_vcc 1
		.amdhsa_float_round_mode_32 0
		.amdhsa_float_round_mode_16_64 0
		.amdhsa_float_denorm_mode_32 3
		.amdhsa_float_denorm_mode_16_64 3
		.amdhsa_dx10_clamp 1
		.amdhsa_ieee_mode 1
		.amdhsa_fp16_overflow 0
		.amdhsa_workgroup_processor_mode 1
		.amdhsa_memory_ordered 1
		.amdhsa_forward_progress 0
		.amdhsa_shared_vgpr_count 0
		.amdhsa_exception_fp_ieee_invalid_op 0
		.amdhsa_exception_fp_denorm_src 0
		.amdhsa_exception_fp_ieee_div_zero 0
		.amdhsa_exception_fp_ieee_overflow 0
		.amdhsa_exception_fp_ieee_underflow 0
		.amdhsa_exception_fp_ieee_inexact 0
		.amdhsa_exception_int_div_zero 0
	.end_amdhsa_kernel
	.section	.text._ZN9rocsparseL20bsrxmvn_17_32_kernelILj24E21rocsparse_complex_numIdElidS2_S2_EEvT2_20rocsparse_direction_NS_24const_host_device_scalarIT0_EES3_PKS3_PKT1_SC_S9_PKT3_PKT4_S7_PT5_21rocsparse_index_base_b,"axG",@progbits,_ZN9rocsparseL20bsrxmvn_17_32_kernelILj24E21rocsparse_complex_numIdElidS2_S2_EEvT2_20rocsparse_direction_NS_24const_host_device_scalarIT0_EES3_PKS3_PKT1_SC_S9_PKT3_PKT4_S7_PT5_21rocsparse_index_base_b,comdat
.Lfunc_end455:
	.size	_ZN9rocsparseL20bsrxmvn_17_32_kernelILj24E21rocsparse_complex_numIdElidS2_S2_EEvT2_20rocsparse_direction_NS_24const_host_device_scalarIT0_EES3_PKS3_PKT1_SC_S9_PKT3_PKT4_S7_PT5_21rocsparse_index_base_b, .Lfunc_end455-_ZN9rocsparseL20bsrxmvn_17_32_kernelILj24E21rocsparse_complex_numIdElidS2_S2_EEvT2_20rocsparse_direction_NS_24const_host_device_scalarIT0_EES3_PKS3_PKT1_SC_S9_PKT3_PKT4_S7_PT5_21rocsparse_index_base_b
                                        ; -- End function
	.section	.AMDGPU.csdata,"",@progbits
; Kernel info:
; codeLenInByte = 2044
; NumSgprs: 24
; NumVgprs: 26
; ScratchSize: 0
; MemoryBound: 0
; FloatMode: 240
; IeeeMode: 1
; LDSByteSize: 18432 bytes/workgroup (compile time only)
; SGPRBlocks: 2
; VGPRBlocks: 3
; NumSGPRsForWavesPerEU: 24
; NumVGPRsForWavesPerEU: 26
; Occupancy: 14
; WaveLimiterHint : 1
; COMPUTE_PGM_RSRC2:SCRATCH_EN: 0
; COMPUTE_PGM_RSRC2:USER_SGPR: 15
; COMPUTE_PGM_RSRC2:TRAP_HANDLER: 0
; COMPUTE_PGM_RSRC2:TGID_X_EN: 1
; COMPUTE_PGM_RSRC2:TGID_Y_EN: 0
; COMPUTE_PGM_RSRC2:TGID_Z_EN: 0
; COMPUTE_PGM_RSRC2:TIDIG_COMP_CNT: 2
	.section	.text._ZN9rocsparseL20bsrxmvn_17_32_kernelILj25E21rocsparse_complex_numIdElidS2_S2_EEvT2_20rocsparse_direction_NS_24const_host_device_scalarIT0_EES3_PKS3_PKT1_SC_S9_PKT3_PKT4_S7_PT5_21rocsparse_index_base_b,"axG",@progbits,_ZN9rocsparseL20bsrxmvn_17_32_kernelILj25E21rocsparse_complex_numIdElidS2_S2_EEvT2_20rocsparse_direction_NS_24const_host_device_scalarIT0_EES3_PKS3_PKT1_SC_S9_PKT3_PKT4_S7_PT5_21rocsparse_index_base_b,comdat
	.globl	_ZN9rocsparseL20bsrxmvn_17_32_kernelILj25E21rocsparse_complex_numIdElidS2_S2_EEvT2_20rocsparse_direction_NS_24const_host_device_scalarIT0_EES3_PKS3_PKT1_SC_S9_PKT3_PKT4_S7_PT5_21rocsparse_index_base_b ; -- Begin function _ZN9rocsparseL20bsrxmvn_17_32_kernelILj25E21rocsparse_complex_numIdElidS2_S2_EEvT2_20rocsparse_direction_NS_24const_host_device_scalarIT0_EES3_PKS3_PKT1_SC_S9_PKT3_PKT4_S7_PT5_21rocsparse_index_base_b
	.p2align	8
	.type	_ZN9rocsparseL20bsrxmvn_17_32_kernelILj25E21rocsparse_complex_numIdElidS2_S2_EEvT2_20rocsparse_direction_NS_24const_host_device_scalarIT0_EES3_PKS3_PKT1_SC_S9_PKT3_PKT4_S7_PT5_21rocsparse_index_base_b,@function
_ZN9rocsparseL20bsrxmvn_17_32_kernelILj25E21rocsparse_complex_numIdElidS2_S2_EEvT2_20rocsparse_direction_NS_24const_host_device_scalarIT0_EES3_PKS3_PKT1_SC_S9_PKT3_PKT4_S7_PT5_21rocsparse_index_base_b: ; @_ZN9rocsparseL20bsrxmvn_17_32_kernelILj25E21rocsparse_complex_numIdElidS2_S2_EEvT2_20rocsparse_direction_NS_24const_host_device_scalarIT0_EES3_PKS3_PKT1_SC_S9_PKT3_PKT4_S7_PT5_21rocsparse_index_base_b
; %bb.0:
	s_mov_b32 s12, s15
	s_clause 0x1
	s_load_b64 s[14:15], s[2:3], 0x68
	s_load_b128 s[4:7], s[2:3], 0x8
	s_load_b64 s[16:17], s[0:1], 0x4
	s_mov_b64 s[0:1], src_shared_base
	v_and_b32_e32 v4, 0x3ff, v0
	s_load_b128 s[8:11], s[2:3], 0x50
	v_bfe_u32 v2, v0, 10, 10
	v_bfe_u32 v0, v0, 20, 10
	s_waitcnt lgkmcnt(0)
	s_bitcmp1_b32 s15, 0
	v_mov_b32_e32 v12, s7
	s_cselect_b32 s0, -1, 0
	v_mov_b32_e32 v11, s6
	s_and_b32 vcc_lo, s0, exec_lo
	s_cselect_b32 s13, s1, s5
	s_lshr_b32 s15, s16, 16
	v_mov_b32_e32 v6, s13
	s_mul_i32 s15, s15, s17
	s_xor_b32 s6, s0, -1
	v_mul_lo_u32 v1, s15, v4
	s_delay_alu instid0(VALU_DEP_1) | instskip(SKIP_1) | instid1(VALU_DEP_2)
	v_mad_u32_u24 v1, v2, s17, v1
	v_dual_mov_b32 v2, s8 :: v_dual_mov_b32 v3, s9
	v_add_lshl_u32 v7, v1, v0, 3
	v_dual_mov_b32 v0, s4 :: v_dual_mov_b32 v1, s5
	ds_store_b64 v7, v[0:1] offset:15000
	ds_store_b64 v7, v[2:3] offset:10000
	v_add_nc_u32_e32 v5, 0x3a98, v7
	v_add_nc_u32_e32 v0, 0x2710, v7
	s_delay_alu instid0(VALU_DEP_2)
	v_cndmask_b32_e64 v5, s4, v5, s0
	flat_load_b64 v[9:10], v[5:6]
	s_cbranch_vccnz .LBB456_2
; %bb.1:
	v_dual_mov_b32 v1, s4 :: v_dual_mov_b32 v2, s5
	flat_load_b64 v[11:12], v[1:2] offset:8
.LBB456_2:
	s_and_b32 s4, s0, exec_lo
	s_cselect_b32 s1, s1, s9
	v_cndmask_b32_e64 v0, s8, v0, s0
	v_mov_b32_e32 v1, s1
	v_dual_mov_b32 v7, s10 :: v_dual_mov_b32 v8, s11
	s_and_not1_b32 vcc_lo, exec_lo, s6
	flat_load_b64 v[5:6], v[0:1]
	s_cbranch_vccnz .LBB456_4
; %bb.3:
	v_dual_mov_b32 v0, s8 :: v_dual_mov_b32 v1, s9
	flat_load_b64 v[7:8], v[0:1] offset:8
.LBB456_4:
	s_waitcnt vmcnt(1) lgkmcnt(1)
	v_cmp_eq_f64_e32 vcc_lo, 0, v[9:10]
	v_cmp_eq_f64_e64 s0, 0, v[11:12]
	s_delay_alu instid0(VALU_DEP_1)
	s_and_b32 s4, vcc_lo, s0
	s_mov_b32 s0, -1
	s_and_saveexec_b32 s1, s4
	s_cbranch_execz .LBB456_6
; %bb.5:
	s_waitcnt vmcnt(0) lgkmcnt(0)
	v_cmp_neq_f64_e32 vcc_lo, 1.0, v[5:6]
	v_cmp_neq_f64_e64 s0, 0, v[7:8]
	s_delay_alu instid0(VALU_DEP_1) | instskip(NEXT) | instid1(SALU_CYCLE_1)
	s_or_b32 s0, vcc_lo, s0
	s_or_not1_b32 s0, s0, exec_lo
.LBB456_6:
	s_or_b32 exec_lo, exec_lo, s1
	s_and_saveexec_b32 s1, s0
	s_cbranch_execz .LBB456_43
; %bb.7:
	s_clause 0x1
	s_load_b128 s[4:7], s[2:3], 0x20
	s_load_b64 s[8:9], s[2:3], 0x30
	s_waitcnt lgkmcnt(0)
	s_cmp_eq_u64 s[4:5], 0
	s_cbranch_scc1 .LBB456_9
; %bb.8:
	s_ashr_i32 s13, s12, 31
	s_delay_alu instid0(SALU_CYCLE_1) | instskip(NEXT) | instid1(SALU_CYCLE_1)
	s_lshl_b64 s[0:1], s[12:13], 2
	s_add_u32 s0, s4, s0
	s_addc_u32 s1, s5, s1
	s_load_b32 s0, s[0:1], 0x0
	s_waitcnt lgkmcnt(0)
	s_sub_i32 s12, s0, s14
.LBB456_9:
	s_load_b32 s1, s[2:3], 0x4
	v_mul_u32_u24_e32 v0, 0xa3e, v4
	v_mov_b32_e32 v2, 0
	v_mov_b32_e32 v3, 0
	s_delay_alu instid0(VALU_DEP_3) | instskip(NEXT) | instid1(VALU_DEP_1)
	v_lshrrev_b32_e32 v13, 16, v0
	v_mul_lo_u16 v0, v13, 25
	s_delay_alu instid0(VALU_DEP_1) | instskip(NEXT) | instid1(VALU_DEP_4)
	v_sub_nc_u16 v16, v4, v0
	v_dual_mov_b32 v0, v2 :: v_dual_mov_b32 v1, v3
	s_waitcnt lgkmcnt(0)
	s_cmp_eq_u32 s1, 1
	s_cselect_b32 s0, -1, 0
	s_cmp_lg_u32 s1, 1
	s_cselect_b32 s20, -1, 0
	s_ashr_i32 s13, s12, 31
	s_delay_alu instid0(SALU_CYCLE_1) | instskip(NEXT) | instid1(SALU_CYCLE_1)
	s_lshl_b64 s[4:5], s[12:13], 3
	s_add_u32 s6, s6, s4
	s_addc_u32 s7, s7, s5
	s_add_u32 s1, s6, 8
	s_addc_u32 s10, s7, 0
	s_add_u32 s4, s8, s4
	s_addc_u32 s5, s9, s5
	s_cmp_eq_u64 s[8:9], 0
	s_load_b64 s[8:9], s[2:3], 0x60
	s_cselect_b32 s5, s10, s5
	s_cselect_b32 s4, s1, s4
	s_load_b64 s[18:19], s[6:7], 0x0
	s_load_b64 s[10:11], s[4:5], 0x0
	s_waitcnt lgkmcnt(0)
	v_cmp_ge_i64_e64 s1, s[18:19], s[10:11]
	s_delay_alu instid0(VALU_DEP_1)
	s_and_b32 vcc_lo, exec_lo, s1
	s_cbranch_vccnz .LBB456_14
; %bb.10:
	s_clause 0x1
	s_load_b128 s[4:7], s[2:3], 0x38
	s_load_b64 s[2:3], s[2:3], 0x48
	s_sub_u32 s10, s10, s14
	s_subb_u32 s11, s11, 0
	s_sub_u32 s16, s18, s14
	s_subb_u32 s17, s19, 0
	v_and_b32_e32 v0, 0xffff, v16
	v_dual_mov_b32 v2, 0 :: v_dual_and_b32 v1, 0xffff, v13
	v_dual_mov_b32 v3, 0 :: v_dual_lshlrev_b32 v14, 3, v4
	s_mul_hi_u32 s1, s16, 0x1388
	s_mul_i32 s21, s17, 0x1388
	s_mul_i32 s13, s16, 0x1388
	s_add_i32 s1, s1, s21
	s_mov_b32 s15, 0
	v_cndmask_b32_e64 v13, v0, v1, s0
	v_dual_mov_b32 v0, v2 :: v_dual_mov_b32 v1, v3
	s_waitcnt lgkmcnt(0)
	s_add_u32 s13, s6, s13
	s_addc_u32 s21, s7, s1
	s_lshl_b64 s[0:1], s[18:19], 2
	s_lshl_b64 s[6:7], s[14:15], 2
	v_add_co_u32 v14, s13, s13, v14
	s_delay_alu instid0(VALU_DEP_1)
	v_add_co_ci_u32_e64 v15, null, s21, 0, s13
	s_sub_u32 s0, s0, s6
	s_subb_u32 s1, s1, s7
	s_add_u32 s0, s4, s0
	s_addc_u32 s1, s5, s1
	s_set_inst_prefetch_distance 0x1
	s_branch .LBB456_12
	.p2align	6
.LBB456_11:                             ;   in Loop: Header=BB456_12 Depth=1
	s_add_u32 s16, s16, 1
	s_addc_u32 s17, s17, 0
	s_add_u32 s0, s0, 4
	v_cmp_lt_i64_e64 s4, s[16:17], s[10:11]
	s_addc_u32 s1, s1, 0
	s_delay_alu instid0(VALU_DEP_1)
	s_and_b32 vcc_lo, exec_lo, s4
	s_cbranch_vccz .LBB456_14
.LBB456_12:                             ; =>This Inner Loop Header: Depth=1
	v_cmp_ge_i64_e64 s4, s[16:17], s[10:11]
	s_delay_alu instid0(VALU_DEP_1)
	s_and_b32 vcc_lo, exec_lo, s4
	s_cbranch_vccnz .LBB456_11
; %bb.13:                               ;   in Loop: Header=BB456_12 Depth=1
	s_load_b32 s4, s[0:1], 0x0
	s_waitcnt lgkmcnt(0)
	s_sub_i32 s4, s4, s14
	s_delay_alu instid0(SALU_CYCLE_1) | instskip(NEXT) | instid1(VALU_DEP_1)
	v_mad_u64_u32 v[17:18], null, s4, 25, v[13:14]
	v_ashrrev_i32_e32 v18, 31, v17
	s_delay_alu instid0(VALU_DEP_1) | instskip(NEXT) | instid1(VALU_DEP_1)
	v_lshlrev_b64 v[17:18], 4, v[17:18]
	v_add_co_u32 v17, vcc_lo, s2, v17
	s_delay_alu instid0(VALU_DEP_2)
	v_add_co_ci_u32_e32 v18, vcc_lo, s3, v18, vcc_lo
	global_load_b64 v[21:22], v[14:15], off
	global_load_b128 v[17:20], v[17:18], off
	v_add_co_u32 v14, vcc_lo, 0x1388, v14
	v_add_co_ci_u32_e32 v15, vcc_lo, 0, v15, vcc_lo
	s_waitcnt vmcnt(0)
	v_fma_f64 v[0:1], v[21:22], v[17:18], v[0:1]
	v_fma_f64 v[2:3], v[17:18], 0, v[2:3]
	s_delay_alu instid0(VALU_DEP_2) | instskip(NEXT) | instid1(VALU_DEP_2)
	v_fma_f64 v[0:1], 0x80000000, v[19:20], v[0:1]
	v_fma_f64 v[2:3], v[21:22], v[19:20], v[2:3]
	s_branch .LBB456_11
.LBB456_14:
	s_set_inst_prefetch_distance 0x2
	v_lshlrev_b32_e32 v17, 4, v4
	s_and_b32 vcc_lo, exec_lo, s20
	ds_store_b128 v17, v[0:3]
	s_waitcnt vmcnt(0) lgkmcnt(0)
	s_barrier
	buffer_gl0_inv
	s_cbranch_vccz .LBB456_26
; %bb.15:
	s_mov_b32 s0, exec_lo
	v_cmpx_gt_u16_e32 9, v16
	s_cbranch_execz .LBB456_17
; %bb.16:
	ds_load_b128 v[18:21], v17 offset:256
	ds_load_b128 v[22:25], v17
	s_waitcnt lgkmcnt(0)
	v_add_f64 v[18:19], v[18:19], v[22:23]
	v_add_f64 v[20:21], v[20:21], v[24:25]
	ds_store_b128 v17, v[18:21]
.LBB456_17:
	s_or_b32 exec_lo, exec_lo, s0
	s_delay_alu instid0(SALU_CYCLE_1)
	s_mov_b32 s0, exec_lo
	s_waitcnt lgkmcnt(0)
	s_barrier
	buffer_gl0_inv
	v_cmpx_gt_u16_e32 8, v16
	s_cbranch_execz .LBB456_19
; %bb.18:
	ds_load_b128 v[18:21], v17 offset:128
	ds_load_b128 v[22:25], v17
	s_waitcnt lgkmcnt(0)
	v_add_f64 v[18:19], v[18:19], v[22:23]
	v_add_f64 v[20:21], v[20:21], v[24:25]
	ds_store_b128 v17, v[18:21]
.LBB456_19:
	s_or_b32 exec_lo, exec_lo, s0
	s_delay_alu instid0(SALU_CYCLE_1)
	s_mov_b32 s0, exec_lo
	s_waitcnt lgkmcnt(0)
	s_barrier
	buffer_gl0_inv
	;; [unrolled: 16-line block ×3, first 2 shown]
	v_cmpx_gt_u16_e32 2, v16
	s_cbranch_execz .LBB456_23
; %bb.22:
	ds_load_b128 v[13:16], v17
	ds_load_b128 v[18:21], v17 offset:32
	s_waitcnt lgkmcnt(0)
	v_add_f64 v[13:14], v[18:19], v[13:14]
	v_add_f64 v[15:16], v[20:21], v[15:16]
	ds_store_b128 v17, v[13:16]
.LBB456_23:
	s_or_b32 exec_lo, exec_lo, s0
	v_dual_mov_b32 v16, v3 :: v_dual_mov_b32 v15, v2
	v_dual_mov_b32 v14, v1 :: v_dual_mov_b32 v13, v0
	s_mov_b32 s0, exec_lo
	s_waitcnt lgkmcnt(0)
	s_barrier
	buffer_gl0_inv
	v_cmpx_gt_u32_e32 25, v4
	s_cbranch_execz .LBB456_25
; %bb.24:
	v_mul_u32_u24_e32 v13, 25, v4
	s_delay_alu instid0(VALU_DEP_1)
	v_lshlrev_b32_e32 v18, 4, v13
	ds_load_b128 v[13:16], v18
	ds_load_b128 v[18:21], v18 offset:16
	s_waitcnt lgkmcnt(0)
	v_add_f64 v[13:14], v[18:19], v[13:14]
	v_add_f64 v[15:16], v[20:21], v[15:16]
.LBB456_25:
	s_or_b32 exec_lo, exec_lo, s0
	s_branch .LBB456_38
.LBB456_26:
                                        ; implicit-def: $vgpr15_vgpr16
                                        ; implicit-def: $vgpr13_vgpr14
	s_cbranch_execz .LBB456_38
; %bb.27:
	s_mov_b32 s0, exec_lo
	v_cmpx_gt_u32_e32 0xe1, v4
	s_cbranch_execz .LBB456_29
; %bb.28:
	ds_load_b128 v[13:16], v17 offset:6400
	ds_load_b128 v[18:21], v17
	s_waitcnt lgkmcnt(0)
	v_add_f64 v[13:14], v[13:14], v[18:19]
	v_add_f64 v[15:16], v[15:16], v[20:21]
	ds_store_b128 v17, v[13:16]
.LBB456_29:
	s_or_b32 exec_lo, exec_lo, s0
	s_delay_alu instid0(SALU_CYCLE_1)
	s_mov_b32 s0, exec_lo
	s_waitcnt lgkmcnt(0)
	s_barrier
	buffer_gl0_inv
	v_cmpx_gt_u32_e32 0xc8, v4
	s_cbranch_execz .LBB456_31
; %bb.30:
	ds_load_b128 v[13:16], v17 offset:3200
	ds_load_b128 v[18:21], v17
	s_waitcnt lgkmcnt(0)
	v_add_f64 v[13:14], v[13:14], v[18:19]
	v_add_f64 v[15:16], v[15:16], v[20:21]
	ds_store_b128 v17, v[13:16]
.LBB456_31:
	s_or_b32 exec_lo, exec_lo, s0
	s_delay_alu instid0(SALU_CYCLE_1)
	s_mov_b32 s0, exec_lo
	s_waitcnt lgkmcnt(0)
	s_barrier
	buffer_gl0_inv
	;; [unrolled: 16-line block ×3, first 2 shown]
	v_cmpx_gt_u32_e32 50, v4
	s_cbranch_execz .LBB456_35
; %bb.34:
	ds_load_b128 v[13:16], v17 offset:800
	ds_load_b128 v[18:21], v17
	s_waitcnt lgkmcnt(0)
	v_add_f64 v[13:14], v[13:14], v[18:19]
	v_add_f64 v[15:16], v[15:16], v[20:21]
	ds_store_b128 v17, v[13:16]
.LBB456_35:
	s_or_b32 exec_lo, exec_lo, s0
	s_delay_alu instid0(SALU_CYCLE_1)
	s_mov_b32 s0, exec_lo
	s_waitcnt lgkmcnt(0)
	buffer_gl0_inv
	v_cmpx_gt_u32_e32 25, v4
	s_cbranch_execz .LBB456_37
; %bb.36:
	ds_load_b128 v[0:3], v17 offset:400
	ds_load_b128 v[13:16], v17
	s_waitcnt lgkmcnt(0)
	v_add_f64 v[0:1], v[0:1], v[13:14]
	v_add_f64 v[2:3], v[2:3], v[15:16]
.LBB456_37:
	s_or_b32 exec_lo, exec_lo, s0
	s_delay_alu instid0(VALU_DEP_1) | instskip(NEXT) | instid1(VALU_DEP_3)
	v_dual_mov_b32 v16, v3 :: v_dual_mov_b32 v15, v2
	v_dual_mov_b32 v14, v1 :: v_dual_mov_b32 v13, v0
.LBB456_38:
	v_cmp_gt_u32_e32 vcc_lo, 25, v4
	s_and_b32 exec_lo, exec_lo, vcc_lo
	s_cbranch_execz .LBB456_43
; %bb.39:
	s_delay_alu instid0(VALU_DEP_2) | instskip(SKIP_3) | instid1(VALU_DEP_4)
	v_mul_f64 v[0:1], v[15:16], -v[11:12]
	v_mul_f64 v[2:3], v[9:10], v[15:16]
	v_cmp_eq_f64_e32 vcc_lo, 0, v[5:6]
	v_cmp_eq_f64_e64 s0, 0, v[7:8]
	v_fma_f64 v[0:1], v[9:10], v[13:14], v[0:1]
	s_delay_alu instid0(VALU_DEP_4) | instskip(NEXT) | instid1(VALU_DEP_3)
	v_fma_f64 v[2:3], v[11:12], v[13:14], v[2:3]
	s_and_b32 s0, vcc_lo, s0
	s_delay_alu instid0(SALU_CYCLE_1) | instskip(NEXT) | instid1(SALU_CYCLE_1)
	s_and_saveexec_b32 s1, s0
	s_xor_b32 s0, exec_lo, s1
	s_cbranch_execz .LBB456_41
; %bb.40:
	v_mad_u64_u32 v[5:6], null, s12, 25, v[4:5]
	v_mov_b32_e32 v6, 0
                                        ; implicit-def: $vgpr7_vgpr8
	s_delay_alu instid0(VALU_DEP_1) | instskip(NEXT) | instid1(VALU_DEP_1)
	v_lshlrev_b64 v[4:5], 4, v[5:6]
	v_add_co_u32 v4, vcc_lo, s8, v4
	s_delay_alu instid0(VALU_DEP_2)
	v_add_co_ci_u32_e32 v5, vcc_lo, s9, v5, vcc_lo
	global_store_b128 v[4:5], v[0:3], off
                                        ; implicit-def: $vgpr4
                                        ; implicit-def: $vgpr5_vgpr6
                                        ; implicit-def: $vgpr0_vgpr1
.LBB456_41:
	s_and_not1_saveexec_b32 s0, s0
	s_cbranch_execz .LBB456_43
; %bb.42:
	v_mad_u64_u32 v[9:10], null, s12, 25, v[4:5]
	v_mov_b32_e32 v10, 0
	s_delay_alu instid0(VALU_DEP_1) | instskip(NEXT) | instid1(VALU_DEP_1)
	v_lshlrev_b64 v[9:10], 4, v[9:10]
	v_add_co_u32 v13, vcc_lo, s8, v9
	s_delay_alu instid0(VALU_DEP_2) | instskip(SKIP_4) | instid1(VALU_DEP_2)
	v_add_co_ci_u32_e32 v14, vcc_lo, s9, v10, vcc_lo
	global_load_b128 v[9:12], v[13:14], off
	s_waitcnt vmcnt(0)
	v_fma_f64 v[0:1], v[5:6], v[9:10], v[0:1]
	v_fma_f64 v[2:3], v[7:8], v[9:10], v[2:3]
	v_fma_f64 v[0:1], -v[7:8], v[11:12], v[0:1]
	s_delay_alu instid0(VALU_DEP_2)
	v_fma_f64 v[2:3], v[5:6], v[11:12], v[2:3]
	global_store_b128 v[13:14], v[0:3], off
.LBB456_43:
	s_nop 0
	s_sendmsg sendmsg(MSG_DEALLOC_VGPRS)
	s_endpgm
	.section	.rodata,"a",@progbits
	.p2align	6, 0x0
	.amdhsa_kernel _ZN9rocsparseL20bsrxmvn_17_32_kernelILj25E21rocsparse_complex_numIdElidS2_S2_EEvT2_20rocsparse_direction_NS_24const_host_device_scalarIT0_EES3_PKS3_PKT1_SC_S9_PKT3_PKT4_S7_PT5_21rocsparse_index_base_b
		.amdhsa_group_segment_fixed_size 20000
		.amdhsa_private_segment_fixed_size 0
		.amdhsa_kernarg_size 112
		.amdhsa_user_sgpr_count 15
		.amdhsa_user_sgpr_dispatch_ptr 1
		.amdhsa_user_sgpr_queue_ptr 0
		.amdhsa_user_sgpr_kernarg_segment_ptr 1
		.amdhsa_user_sgpr_dispatch_id 0
		.amdhsa_user_sgpr_private_segment_size 0
		.amdhsa_wavefront_size32 1
		.amdhsa_uses_dynamic_stack 0
		.amdhsa_enable_private_segment 0
		.amdhsa_system_sgpr_workgroup_id_x 1
		.amdhsa_system_sgpr_workgroup_id_y 0
		.amdhsa_system_sgpr_workgroup_id_z 0
		.amdhsa_system_sgpr_workgroup_info 0
		.amdhsa_system_vgpr_workitem_id 2
		.amdhsa_next_free_vgpr 26
		.amdhsa_next_free_sgpr 22
		.amdhsa_reserve_vcc 1
		.amdhsa_float_round_mode_32 0
		.amdhsa_float_round_mode_16_64 0
		.amdhsa_float_denorm_mode_32 3
		.amdhsa_float_denorm_mode_16_64 3
		.amdhsa_dx10_clamp 1
		.amdhsa_ieee_mode 1
		.amdhsa_fp16_overflow 0
		.amdhsa_workgroup_processor_mode 1
		.amdhsa_memory_ordered 1
		.amdhsa_forward_progress 0
		.amdhsa_shared_vgpr_count 0
		.amdhsa_exception_fp_ieee_invalid_op 0
		.amdhsa_exception_fp_denorm_src 0
		.amdhsa_exception_fp_ieee_div_zero 0
		.amdhsa_exception_fp_ieee_overflow 0
		.amdhsa_exception_fp_ieee_underflow 0
		.amdhsa_exception_fp_ieee_inexact 0
		.amdhsa_exception_int_div_zero 0
	.end_amdhsa_kernel
	.section	.text._ZN9rocsparseL20bsrxmvn_17_32_kernelILj25E21rocsparse_complex_numIdElidS2_S2_EEvT2_20rocsparse_direction_NS_24const_host_device_scalarIT0_EES3_PKS3_PKT1_SC_S9_PKT3_PKT4_S7_PT5_21rocsparse_index_base_b,"axG",@progbits,_ZN9rocsparseL20bsrxmvn_17_32_kernelILj25E21rocsparse_complex_numIdElidS2_S2_EEvT2_20rocsparse_direction_NS_24const_host_device_scalarIT0_EES3_PKS3_PKT1_SC_S9_PKT3_PKT4_S7_PT5_21rocsparse_index_base_b,comdat
.Lfunc_end456:
	.size	_ZN9rocsparseL20bsrxmvn_17_32_kernelILj25E21rocsparse_complex_numIdElidS2_S2_EEvT2_20rocsparse_direction_NS_24const_host_device_scalarIT0_EES3_PKS3_PKT1_SC_S9_PKT3_PKT4_S7_PT5_21rocsparse_index_base_b, .Lfunc_end456-_ZN9rocsparseL20bsrxmvn_17_32_kernelILj25E21rocsparse_complex_numIdElidS2_S2_EEvT2_20rocsparse_direction_NS_24const_host_device_scalarIT0_EES3_PKS3_PKT1_SC_S9_PKT3_PKT4_S7_PT5_21rocsparse_index_base_b
                                        ; -- End function
	.section	.AMDGPU.csdata,"",@progbits
; Kernel info:
; codeLenInByte = 2072
; NumSgprs: 24
; NumVgprs: 26
; ScratchSize: 0
; MemoryBound: 0
; FloatMode: 240
; IeeeMode: 1
; LDSByteSize: 20000 bytes/workgroup (compile time only)
; SGPRBlocks: 2
; VGPRBlocks: 3
; NumSGPRsForWavesPerEU: 24
; NumVGPRsForWavesPerEU: 26
; Occupancy: 15
; WaveLimiterHint : 1
; COMPUTE_PGM_RSRC2:SCRATCH_EN: 0
; COMPUTE_PGM_RSRC2:USER_SGPR: 15
; COMPUTE_PGM_RSRC2:TRAP_HANDLER: 0
; COMPUTE_PGM_RSRC2:TGID_X_EN: 1
; COMPUTE_PGM_RSRC2:TGID_Y_EN: 0
; COMPUTE_PGM_RSRC2:TGID_Z_EN: 0
; COMPUTE_PGM_RSRC2:TIDIG_COMP_CNT: 2
	.section	.text._ZN9rocsparseL20bsrxmvn_17_32_kernelILj26E21rocsparse_complex_numIdElidS2_S2_EEvT2_20rocsparse_direction_NS_24const_host_device_scalarIT0_EES3_PKS3_PKT1_SC_S9_PKT3_PKT4_S7_PT5_21rocsparse_index_base_b,"axG",@progbits,_ZN9rocsparseL20bsrxmvn_17_32_kernelILj26E21rocsparse_complex_numIdElidS2_S2_EEvT2_20rocsparse_direction_NS_24const_host_device_scalarIT0_EES3_PKS3_PKT1_SC_S9_PKT3_PKT4_S7_PT5_21rocsparse_index_base_b,comdat
	.globl	_ZN9rocsparseL20bsrxmvn_17_32_kernelILj26E21rocsparse_complex_numIdElidS2_S2_EEvT2_20rocsparse_direction_NS_24const_host_device_scalarIT0_EES3_PKS3_PKT1_SC_S9_PKT3_PKT4_S7_PT5_21rocsparse_index_base_b ; -- Begin function _ZN9rocsparseL20bsrxmvn_17_32_kernelILj26E21rocsparse_complex_numIdElidS2_S2_EEvT2_20rocsparse_direction_NS_24const_host_device_scalarIT0_EES3_PKS3_PKT1_SC_S9_PKT3_PKT4_S7_PT5_21rocsparse_index_base_b
	.p2align	8
	.type	_ZN9rocsparseL20bsrxmvn_17_32_kernelILj26E21rocsparse_complex_numIdElidS2_S2_EEvT2_20rocsparse_direction_NS_24const_host_device_scalarIT0_EES3_PKS3_PKT1_SC_S9_PKT3_PKT4_S7_PT5_21rocsparse_index_base_b,@function
_ZN9rocsparseL20bsrxmvn_17_32_kernelILj26E21rocsparse_complex_numIdElidS2_S2_EEvT2_20rocsparse_direction_NS_24const_host_device_scalarIT0_EES3_PKS3_PKT1_SC_S9_PKT3_PKT4_S7_PT5_21rocsparse_index_base_b: ; @_ZN9rocsparseL20bsrxmvn_17_32_kernelILj26E21rocsparse_complex_numIdElidS2_S2_EEvT2_20rocsparse_direction_NS_24const_host_device_scalarIT0_EES3_PKS3_PKT1_SC_S9_PKT3_PKT4_S7_PT5_21rocsparse_index_base_b
; %bb.0:
	s_mov_b32 s12, s15
	s_clause 0x1
	s_load_b64 s[14:15], s[2:3], 0x68
	s_load_b128 s[4:7], s[2:3], 0x8
	s_load_b64 s[16:17], s[0:1], 0x4
	s_mov_b64 s[0:1], src_shared_base
	v_and_b32_e32 v4, 0x3ff, v0
	s_load_b128 s[8:11], s[2:3], 0x50
	v_bfe_u32 v2, v0, 10, 10
	v_bfe_u32 v0, v0, 20, 10
	s_waitcnt lgkmcnt(0)
	s_bitcmp1_b32 s15, 0
	v_mov_b32_e32 v12, s7
	s_cselect_b32 s0, -1, 0
	v_mov_b32_e32 v11, s6
	s_and_b32 vcc_lo, s0, exec_lo
	s_cselect_b32 s13, s1, s5
	s_lshr_b32 s15, s16, 16
	v_mov_b32_e32 v6, s13
	s_mul_i32 s15, s15, s17
	s_xor_b32 s6, s0, -1
	v_mul_lo_u32 v1, s15, v4
	s_delay_alu instid0(VALU_DEP_1) | instskip(SKIP_1) | instid1(VALU_DEP_2)
	v_mad_u32_u24 v1, v2, s17, v1
	v_dual_mov_b32 v2, s8 :: v_dual_mov_b32 v3, s9
	v_add_lshl_u32 v7, v1, v0, 3
	v_dual_mov_b32 v0, s4 :: v_dual_mov_b32 v1, s5
	ds_store_b64 v7, v[0:1] offset:16224
	ds_store_b64 v7, v[2:3] offset:10816
	v_add_nc_u32_e32 v5, 0x3f60, v7
	v_add_nc_u32_e32 v0, 0x2a40, v7
	s_delay_alu instid0(VALU_DEP_2)
	v_cndmask_b32_e64 v5, s4, v5, s0
	flat_load_b64 v[9:10], v[5:6]
	s_cbranch_vccnz .LBB457_2
; %bb.1:
	v_dual_mov_b32 v1, s4 :: v_dual_mov_b32 v2, s5
	flat_load_b64 v[11:12], v[1:2] offset:8
.LBB457_2:
	s_and_b32 s4, s0, exec_lo
	s_cselect_b32 s1, s1, s9
	v_cndmask_b32_e64 v0, s8, v0, s0
	v_mov_b32_e32 v1, s1
	v_dual_mov_b32 v7, s10 :: v_dual_mov_b32 v8, s11
	s_and_not1_b32 vcc_lo, exec_lo, s6
	flat_load_b64 v[5:6], v[0:1]
	s_cbranch_vccnz .LBB457_4
; %bb.3:
	v_dual_mov_b32 v0, s8 :: v_dual_mov_b32 v1, s9
	flat_load_b64 v[7:8], v[0:1] offset:8
.LBB457_4:
	s_waitcnt vmcnt(1) lgkmcnt(1)
	v_cmp_eq_f64_e32 vcc_lo, 0, v[9:10]
	v_cmp_eq_f64_e64 s0, 0, v[11:12]
	s_delay_alu instid0(VALU_DEP_1)
	s_and_b32 s4, vcc_lo, s0
	s_mov_b32 s0, -1
	s_and_saveexec_b32 s1, s4
	s_cbranch_execz .LBB457_6
; %bb.5:
	s_waitcnt vmcnt(0) lgkmcnt(0)
	v_cmp_neq_f64_e32 vcc_lo, 1.0, v[5:6]
	v_cmp_neq_f64_e64 s0, 0, v[7:8]
	s_delay_alu instid0(VALU_DEP_1) | instskip(NEXT) | instid1(SALU_CYCLE_1)
	s_or_b32 s0, vcc_lo, s0
	s_or_not1_b32 s0, s0, exec_lo
.LBB457_6:
	s_or_b32 exec_lo, exec_lo, s1
	s_and_saveexec_b32 s1, s0
	s_cbranch_execz .LBB457_43
; %bb.7:
	s_clause 0x1
	s_load_b128 s[4:7], s[2:3], 0x20
	s_load_b64 s[8:9], s[2:3], 0x30
	s_waitcnt lgkmcnt(0)
	s_cmp_eq_u64 s[4:5], 0
	s_cbranch_scc1 .LBB457_9
; %bb.8:
	s_ashr_i32 s13, s12, 31
	s_delay_alu instid0(SALU_CYCLE_1) | instskip(NEXT) | instid1(SALU_CYCLE_1)
	s_lshl_b64 s[0:1], s[12:13], 2
	s_add_u32 s0, s4, s0
	s_addc_u32 s1, s5, s1
	s_load_b32 s0, s[0:1], 0x0
	s_waitcnt lgkmcnt(0)
	s_sub_i32 s12, s0, s14
.LBB457_9:
	s_load_b32 s1, s[2:3], 0x4
	v_mul_u32_u24_e32 v0, 0x9d9, v4
	v_mov_b32_e32 v2, 0
	v_mov_b32_e32 v3, 0
	s_delay_alu instid0(VALU_DEP_3) | instskip(NEXT) | instid1(VALU_DEP_1)
	v_lshrrev_b32_e32 v13, 16, v0
	v_mul_lo_u16 v0, v13, 26
	s_delay_alu instid0(VALU_DEP_1) | instskip(NEXT) | instid1(VALU_DEP_4)
	v_sub_nc_u16 v16, v4, v0
	v_dual_mov_b32 v0, v2 :: v_dual_mov_b32 v1, v3
	s_waitcnt lgkmcnt(0)
	s_cmp_eq_u32 s1, 1
	s_cselect_b32 s0, -1, 0
	s_cmp_lg_u32 s1, 1
	s_cselect_b32 s20, -1, 0
	s_ashr_i32 s13, s12, 31
	s_delay_alu instid0(SALU_CYCLE_1) | instskip(NEXT) | instid1(SALU_CYCLE_1)
	s_lshl_b64 s[4:5], s[12:13], 3
	s_add_u32 s6, s6, s4
	s_addc_u32 s7, s7, s5
	s_add_u32 s1, s6, 8
	s_addc_u32 s10, s7, 0
	;; [unrolled: 2-line block ×3, first 2 shown]
	s_cmp_eq_u64 s[8:9], 0
	s_load_b64 s[8:9], s[2:3], 0x60
	s_cselect_b32 s5, s10, s5
	s_cselect_b32 s4, s1, s4
	s_load_b64 s[18:19], s[6:7], 0x0
	s_load_b64 s[10:11], s[4:5], 0x0
	s_waitcnt lgkmcnt(0)
	v_cmp_ge_i64_e64 s1, s[18:19], s[10:11]
	s_delay_alu instid0(VALU_DEP_1)
	s_and_b32 vcc_lo, exec_lo, s1
	s_cbranch_vccnz .LBB457_14
; %bb.10:
	s_clause 0x1
	s_load_b128 s[4:7], s[2:3], 0x38
	s_load_b64 s[2:3], s[2:3], 0x48
	s_sub_u32 s10, s10, s14
	s_subb_u32 s11, s11, 0
	s_sub_u32 s16, s18, s14
	s_subb_u32 s17, s19, 0
	v_and_b32_e32 v0, 0xffff, v16
	v_dual_mov_b32 v2, 0 :: v_dual_and_b32 v1, 0xffff, v13
	v_dual_mov_b32 v3, 0 :: v_dual_lshlrev_b32 v14, 3, v4
	s_mul_hi_u32 s1, s16, 0x1520
	s_mul_i32 s21, s17, 0x1520
	s_mul_i32 s13, s16, 0x1520
	s_add_i32 s1, s1, s21
	s_mov_b32 s15, 0
	v_cndmask_b32_e64 v13, v0, v1, s0
	v_dual_mov_b32 v0, v2 :: v_dual_mov_b32 v1, v3
	s_waitcnt lgkmcnt(0)
	s_add_u32 s13, s6, s13
	s_addc_u32 s21, s7, s1
	s_lshl_b64 s[0:1], s[18:19], 2
	s_lshl_b64 s[6:7], s[14:15], 2
	v_add_co_u32 v14, s13, s13, v14
	s_delay_alu instid0(VALU_DEP_1)
	v_add_co_ci_u32_e64 v15, null, s21, 0, s13
	s_sub_u32 s0, s0, s6
	s_subb_u32 s1, s1, s7
	s_add_u32 s0, s4, s0
	s_addc_u32 s1, s5, s1
	s_set_inst_prefetch_distance 0x1
	s_branch .LBB457_12
	.p2align	6
.LBB457_11:                             ;   in Loop: Header=BB457_12 Depth=1
	s_add_u32 s16, s16, 1
	s_addc_u32 s17, s17, 0
	s_add_u32 s0, s0, 4
	v_cmp_lt_i64_e64 s4, s[16:17], s[10:11]
	s_addc_u32 s1, s1, 0
	s_delay_alu instid0(VALU_DEP_1)
	s_and_b32 vcc_lo, exec_lo, s4
	s_cbranch_vccz .LBB457_14
.LBB457_12:                             ; =>This Inner Loop Header: Depth=1
	v_cmp_ge_i64_e64 s4, s[16:17], s[10:11]
	s_delay_alu instid0(VALU_DEP_1)
	s_and_b32 vcc_lo, exec_lo, s4
	s_cbranch_vccnz .LBB457_11
; %bb.13:                               ;   in Loop: Header=BB457_12 Depth=1
	s_load_b32 s4, s[0:1], 0x0
	s_waitcnt lgkmcnt(0)
	s_sub_i32 s4, s4, s14
	s_delay_alu instid0(SALU_CYCLE_1) | instskip(NEXT) | instid1(VALU_DEP_1)
	v_mad_u64_u32 v[17:18], null, s4, 26, v[13:14]
	v_ashrrev_i32_e32 v18, 31, v17
	s_delay_alu instid0(VALU_DEP_1) | instskip(NEXT) | instid1(VALU_DEP_1)
	v_lshlrev_b64 v[17:18], 4, v[17:18]
	v_add_co_u32 v17, vcc_lo, s2, v17
	s_delay_alu instid0(VALU_DEP_2)
	v_add_co_ci_u32_e32 v18, vcc_lo, s3, v18, vcc_lo
	global_load_b64 v[21:22], v[14:15], off
	global_load_b128 v[17:20], v[17:18], off
	v_add_co_u32 v14, vcc_lo, 0x1520, v14
	v_add_co_ci_u32_e32 v15, vcc_lo, 0, v15, vcc_lo
	s_waitcnt vmcnt(0)
	v_fma_f64 v[0:1], v[21:22], v[17:18], v[0:1]
	v_fma_f64 v[2:3], v[17:18], 0, v[2:3]
	s_delay_alu instid0(VALU_DEP_2) | instskip(NEXT) | instid1(VALU_DEP_2)
	v_fma_f64 v[0:1], 0x80000000, v[19:20], v[0:1]
	v_fma_f64 v[2:3], v[21:22], v[19:20], v[2:3]
	s_branch .LBB457_11
.LBB457_14:
	s_set_inst_prefetch_distance 0x2
	v_lshlrev_b32_e32 v17, 4, v4
	s_and_b32 vcc_lo, exec_lo, s20
	ds_store_b128 v17, v[0:3]
	s_waitcnt vmcnt(0) lgkmcnt(0)
	s_barrier
	buffer_gl0_inv
	s_cbranch_vccz .LBB457_26
; %bb.15:
	s_mov_b32 s0, exec_lo
	v_cmpx_gt_u16_e32 10, v16
	s_cbranch_execz .LBB457_17
; %bb.16:
	ds_load_b128 v[18:21], v17 offset:256
	ds_load_b128 v[22:25], v17
	s_waitcnt lgkmcnt(0)
	v_add_f64 v[18:19], v[18:19], v[22:23]
	v_add_f64 v[20:21], v[20:21], v[24:25]
	ds_store_b128 v17, v[18:21]
.LBB457_17:
	s_or_b32 exec_lo, exec_lo, s0
	s_delay_alu instid0(SALU_CYCLE_1)
	s_mov_b32 s0, exec_lo
	s_waitcnt lgkmcnt(0)
	s_barrier
	buffer_gl0_inv
	v_cmpx_gt_u16_e32 8, v16
	s_cbranch_execz .LBB457_19
; %bb.18:
	ds_load_b128 v[18:21], v17 offset:128
	ds_load_b128 v[22:25], v17
	s_waitcnt lgkmcnt(0)
	v_add_f64 v[18:19], v[18:19], v[22:23]
	v_add_f64 v[20:21], v[20:21], v[24:25]
	ds_store_b128 v17, v[18:21]
.LBB457_19:
	s_or_b32 exec_lo, exec_lo, s0
	s_delay_alu instid0(SALU_CYCLE_1)
	s_mov_b32 s0, exec_lo
	s_waitcnt lgkmcnt(0)
	s_barrier
	buffer_gl0_inv
	;; [unrolled: 16-line block ×3, first 2 shown]
	v_cmpx_gt_u16_e32 2, v16
	s_cbranch_execz .LBB457_23
; %bb.22:
	ds_load_b128 v[13:16], v17
	ds_load_b128 v[18:21], v17 offset:32
	s_waitcnt lgkmcnt(0)
	v_add_f64 v[13:14], v[18:19], v[13:14]
	v_add_f64 v[15:16], v[20:21], v[15:16]
	ds_store_b128 v17, v[13:16]
.LBB457_23:
	s_or_b32 exec_lo, exec_lo, s0
	v_dual_mov_b32 v16, v3 :: v_dual_mov_b32 v15, v2
	v_dual_mov_b32 v14, v1 :: v_dual_mov_b32 v13, v0
	s_mov_b32 s0, exec_lo
	s_waitcnt lgkmcnt(0)
	s_barrier
	buffer_gl0_inv
	v_cmpx_gt_u32_e32 26, v4
	s_cbranch_execz .LBB457_25
; %bb.24:
	v_mul_u32_u24_e32 v13, 26, v4
	s_delay_alu instid0(VALU_DEP_1)
	v_lshlrev_b32_e32 v18, 4, v13
	ds_load_b128 v[13:16], v18
	ds_load_b128 v[18:21], v18 offset:16
	s_waitcnt lgkmcnt(0)
	v_add_f64 v[13:14], v[18:19], v[13:14]
	v_add_f64 v[15:16], v[20:21], v[15:16]
.LBB457_25:
	s_or_b32 exec_lo, exec_lo, s0
	s_branch .LBB457_38
.LBB457_26:
                                        ; implicit-def: $vgpr15_vgpr16
                                        ; implicit-def: $vgpr13_vgpr14
	s_cbranch_execz .LBB457_38
; %bb.27:
	s_mov_b32 s0, exec_lo
	v_cmpx_gt_u32_e32 0x104, v4
	s_cbranch_execz .LBB457_29
; %bb.28:
	ds_load_b128 v[13:16], v17 offset:6656
	ds_load_b128 v[18:21], v17
	s_waitcnt lgkmcnt(0)
	v_add_f64 v[13:14], v[13:14], v[18:19]
	v_add_f64 v[15:16], v[15:16], v[20:21]
	ds_store_b128 v17, v[13:16]
.LBB457_29:
	s_or_b32 exec_lo, exec_lo, s0
	s_delay_alu instid0(SALU_CYCLE_1)
	s_mov_b32 s0, exec_lo
	s_waitcnt lgkmcnt(0)
	s_barrier
	buffer_gl0_inv
	v_cmpx_gt_u32_e32 0xd0, v4
	s_cbranch_execz .LBB457_31
; %bb.30:
	ds_load_b128 v[13:16], v17 offset:3328
	ds_load_b128 v[18:21], v17
	s_waitcnt lgkmcnt(0)
	v_add_f64 v[13:14], v[13:14], v[18:19]
	v_add_f64 v[15:16], v[15:16], v[20:21]
	ds_store_b128 v17, v[13:16]
.LBB457_31:
	s_or_b32 exec_lo, exec_lo, s0
	s_delay_alu instid0(SALU_CYCLE_1)
	s_mov_b32 s0, exec_lo
	s_waitcnt lgkmcnt(0)
	s_barrier
	buffer_gl0_inv
	;; [unrolled: 16-line block ×3, first 2 shown]
	v_cmpx_gt_u32_e32 52, v4
	s_cbranch_execz .LBB457_35
; %bb.34:
	ds_load_b128 v[13:16], v17 offset:832
	ds_load_b128 v[18:21], v17
	s_waitcnt lgkmcnt(0)
	v_add_f64 v[13:14], v[13:14], v[18:19]
	v_add_f64 v[15:16], v[15:16], v[20:21]
	ds_store_b128 v17, v[13:16]
.LBB457_35:
	s_or_b32 exec_lo, exec_lo, s0
	s_delay_alu instid0(SALU_CYCLE_1)
	s_mov_b32 s0, exec_lo
	s_waitcnt lgkmcnt(0)
	buffer_gl0_inv
	v_cmpx_gt_u32_e32 26, v4
	s_cbranch_execz .LBB457_37
; %bb.36:
	ds_load_b128 v[0:3], v17 offset:416
	ds_load_b128 v[13:16], v17
	s_waitcnt lgkmcnt(0)
	v_add_f64 v[0:1], v[0:1], v[13:14]
	v_add_f64 v[2:3], v[2:3], v[15:16]
.LBB457_37:
	s_or_b32 exec_lo, exec_lo, s0
	s_delay_alu instid0(VALU_DEP_1) | instskip(NEXT) | instid1(VALU_DEP_3)
	v_dual_mov_b32 v16, v3 :: v_dual_mov_b32 v15, v2
	v_dual_mov_b32 v14, v1 :: v_dual_mov_b32 v13, v0
.LBB457_38:
	v_cmp_gt_u32_e32 vcc_lo, 26, v4
	s_and_b32 exec_lo, exec_lo, vcc_lo
	s_cbranch_execz .LBB457_43
; %bb.39:
	s_delay_alu instid0(VALU_DEP_2) | instskip(SKIP_3) | instid1(VALU_DEP_4)
	v_mul_f64 v[0:1], v[15:16], -v[11:12]
	v_mul_f64 v[2:3], v[9:10], v[15:16]
	v_cmp_eq_f64_e32 vcc_lo, 0, v[5:6]
	v_cmp_eq_f64_e64 s0, 0, v[7:8]
	v_fma_f64 v[0:1], v[9:10], v[13:14], v[0:1]
	s_delay_alu instid0(VALU_DEP_4) | instskip(NEXT) | instid1(VALU_DEP_3)
	v_fma_f64 v[2:3], v[11:12], v[13:14], v[2:3]
	s_and_b32 s0, vcc_lo, s0
	s_delay_alu instid0(SALU_CYCLE_1) | instskip(NEXT) | instid1(SALU_CYCLE_1)
	s_and_saveexec_b32 s1, s0
	s_xor_b32 s0, exec_lo, s1
	s_cbranch_execz .LBB457_41
; %bb.40:
	v_mad_u64_u32 v[5:6], null, s12, 26, v[4:5]
	v_mov_b32_e32 v6, 0
                                        ; implicit-def: $vgpr7_vgpr8
	s_delay_alu instid0(VALU_DEP_1) | instskip(NEXT) | instid1(VALU_DEP_1)
	v_lshlrev_b64 v[4:5], 4, v[5:6]
	v_add_co_u32 v4, vcc_lo, s8, v4
	s_delay_alu instid0(VALU_DEP_2)
	v_add_co_ci_u32_e32 v5, vcc_lo, s9, v5, vcc_lo
	global_store_b128 v[4:5], v[0:3], off
                                        ; implicit-def: $vgpr4
                                        ; implicit-def: $vgpr5_vgpr6
                                        ; implicit-def: $vgpr0_vgpr1
.LBB457_41:
	s_and_not1_saveexec_b32 s0, s0
	s_cbranch_execz .LBB457_43
; %bb.42:
	v_mad_u64_u32 v[9:10], null, s12, 26, v[4:5]
	v_mov_b32_e32 v10, 0
	s_delay_alu instid0(VALU_DEP_1) | instskip(NEXT) | instid1(VALU_DEP_1)
	v_lshlrev_b64 v[9:10], 4, v[9:10]
	v_add_co_u32 v13, vcc_lo, s8, v9
	s_delay_alu instid0(VALU_DEP_2) | instskip(SKIP_4) | instid1(VALU_DEP_2)
	v_add_co_ci_u32_e32 v14, vcc_lo, s9, v10, vcc_lo
	global_load_b128 v[9:12], v[13:14], off
	s_waitcnt vmcnt(0)
	v_fma_f64 v[0:1], v[5:6], v[9:10], v[0:1]
	v_fma_f64 v[2:3], v[7:8], v[9:10], v[2:3]
	v_fma_f64 v[0:1], -v[7:8], v[11:12], v[0:1]
	s_delay_alu instid0(VALU_DEP_2)
	v_fma_f64 v[2:3], v[5:6], v[11:12], v[2:3]
	global_store_b128 v[13:14], v[0:3], off
.LBB457_43:
	s_nop 0
	s_sendmsg sendmsg(MSG_DEALLOC_VGPRS)
	s_endpgm
	.section	.rodata,"a",@progbits
	.p2align	6, 0x0
	.amdhsa_kernel _ZN9rocsparseL20bsrxmvn_17_32_kernelILj26E21rocsparse_complex_numIdElidS2_S2_EEvT2_20rocsparse_direction_NS_24const_host_device_scalarIT0_EES3_PKS3_PKT1_SC_S9_PKT3_PKT4_S7_PT5_21rocsparse_index_base_b
		.amdhsa_group_segment_fixed_size 21632
		.amdhsa_private_segment_fixed_size 0
		.amdhsa_kernarg_size 112
		.amdhsa_user_sgpr_count 15
		.amdhsa_user_sgpr_dispatch_ptr 1
		.amdhsa_user_sgpr_queue_ptr 0
		.amdhsa_user_sgpr_kernarg_segment_ptr 1
		.amdhsa_user_sgpr_dispatch_id 0
		.amdhsa_user_sgpr_private_segment_size 0
		.amdhsa_wavefront_size32 1
		.amdhsa_uses_dynamic_stack 0
		.amdhsa_enable_private_segment 0
		.amdhsa_system_sgpr_workgroup_id_x 1
		.amdhsa_system_sgpr_workgroup_id_y 0
		.amdhsa_system_sgpr_workgroup_id_z 0
		.amdhsa_system_sgpr_workgroup_info 0
		.amdhsa_system_vgpr_workitem_id 2
		.amdhsa_next_free_vgpr 26
		.amdhsa_next_free_sgpr 22
		.amdhsa_reserve_vcc 1
		.amdhsa_float_round_mode_32 0
		.amdhsa_float_round_mode_16_64 0
		.amdhsa_float_denorm_mode_32 3
		.amdhsa_float_denorm_mode_16_64 3
		.amdhsa_dx10_clamp 1
		.amdhsa_ieee_mode 1
		.amdhsa_fp16_overflow 0
		.amdhsa_workgroup_processor_mode 1
		.amdhsa_memory_ordered 1
		.amdhsa_forward_progress 0
		.amdhsa_shared_vgpr_count 0
		.amdhsa_exception_fp_ieee_invalid_op 0
		.amdhsa_exception_fp_denorm_src 0
		.amdhsa_exception_fp_ieee_div_zero 0
		.amdhsa_exception_fp_ieee_overflow 0
		.amdhsa_exception_fp_ieee_underflow 0
		.amdhsa_exception_fp_ieee_inexact 0
		.amdhsa_exception_int_div_zero 0
	.end_amdhsa_kernel
	.section	.text._ZN9rocsparseL20bsrxmvn_17_32_kernelILj26E21rocsparse_complex_numIdElidS2_S2_EEvT2_20rocsparse_direction_NS_24const_host_device_scalarIT0_EES3_PKS3_PKT1_SC_S9_PKT3_PKT4_S7_PT5_21rocsparse_index_base_b,"axG",@progbits,_ZN9rocsparseL20bsrxmvn_17_32_kernelILj26E21rocsparse_complex_numIdElidS2_S2_EEvT2_20rocsparse_direction_NS_24const_host_device_scalarIT0_EES3_PKS3_PKT1_SC_S9_PKT3_PKT4_S7_PT5_21rocsparse_index_base_b,comdat
.Lfunc_end457:
	.size	_ZN9rocsparseL20bsrxmvn_17_32_kernelILj26E21rocsparse_complex_numIdElidS2_S2_EEvT2_20rocsparse_direction_NS_24const_host_device_scalarIT0_EES3_PKS3_PKT1_SC_S9_PKT3_PKT4_S7_PT5_21rocsparse_index_base_b, .Lfunc_end457-_ZN9rocsparseL20bsrxmvn_17_32_kernelILj26E21rocsparse_complex_numIdElidS2_S2_EEvT2_20rocsparse_direction_NS_24const_host_device_scalarIT0_EES3_PKS3_PKT1_SC_S9_PKT3_PKT4_S7_PT5_21rocsparse_index_base_b
                                        ; -- End function
	.section	.AMDGPU.csdata,"",@progbits
; Kernel info:
; codeLenInByte = 2072
; NumSgprs: 24
; NumVgprs: 26
; ScratchSize: 0
; MemoryBound: 0
; FloatMode: 240
; IeeeMode: 1
; LDSByteSize: 21632 bytes/workgroup (compile time only)
; SGPRBlocks: 2
; VGPRBlocks: 3
; NumSGPRsForWavesPerEU: 24
; NumVGPRsForWavesPerEU: 26
; Occupancy: 11
; WaveLimiterHint : 1
; COMPUTE_PGM_RSRC2:SCRATCH_EN: 0
; COMPUTE_PGM_RSRC2:USER_SGPR: 15
; COMPUTE_PGM_RSRC2:TRAP_HANDLER: 0
; COMPUTE_PGM_RSRC2:TGID_X_EN: 1
; COMPUTE_PGM_RSRC2:TGID_Y_EN: 0
; COMPUTE_PGM_RSRC2:TGID_Z_EN: 0
; COMPUTE_PGM_RSRC2:TIDIG_COMP_CNT: 2
	.section	.text._ZN9rocsparseL20bsrxmvn_17_32_kernelILj27E21rocsparse_complex_numIdElidS2_S2_EEvT2_20rocsparse_direction_NS_24const_host_device_scalarIT0_EES3_PKS3_PKT1_SC_S9_PKT3_PKT4_S7_PT5_21rocsparse_index_base_b,"axG",@progbits,_ZN9rocsparseL20bsrxmvn_17_32_kernelILj27E21rocsparse_complex_numIdElidS2_S2_EEvT2_20rocsparse_direction_NS_24const_host_device_scalarIT0_EES3_PKS3_PKT1_SC_S9_PKT3_PKT4_S7_PT5_21rocsparse_index_base_b,comdat
	.globl	_ZN9rocsparseL20bsrxmvn_17_32_kernelILj27E21rocsparse_complex_numIdElidS2_S2_EEvT2_20rocsparse_direction_NS_24const_host_device_scalarIT0_EES3_PKS3_PKT1_SC_S9_PKT3_PKT4_S7_PT5_21rocsparse_index_base_b ; -- Begin function _ZN9rocsparseL20bsrxmvn_17_32_kernelILj27E21rocsparse_complex_numIdElidS2_S2_EEvT2_20rocsparse_direction_NS_24const_host_device_scalarIT0_EES3_PKS3_PKT1_SC_S9_PKT3_PKT4_S7_PT5_21rocsparse_index_base_b
	.p2align	8
	.type	_ZN9rocsparseL20bsrxmvn_17_32_kernelILj27E21rocsparse_complex_numIdElidS2_S2_EEvT2_20rocsparse_direction_NS_24const_host_device_scalarIT0_EES3_PKS3_PKT1_SC_S9_PKT3_PKT4_S7_PT5_21rocsparse_index_base_b,@function
_ZN9rocsparseL20bsrxmvn_17_32_kernelILj27E21rocsparse_complex_numIdElidS2_S2_EEvT2_20rocsparse_direction_NS_24const_host_device_scalarIT0_EES3_PKS3_PKT1_SC_S9_PKT3_PKT4_S7_PT5_21rocsparse_index_base_b: ; @_ZN9rocsparseL20bsrxmvn_17_32_kernelILj27E21rocsparse_complex_numIdElidS2_S2_EEvT2_20rocsparse_direction_NS_24const_host_device_scalarIT0_EES3_PKS3_PKT1_SC_S9_PKT3_PKT4_S7_PT5_21rocsparse_index_base_b
; %bb.0:
	s_mov_b32 s12, s15
	s_clause 0x1
	s_load_b64 s[14:15], s[2:3], 0x68
	s_load_b128 s[4:7], s[2:3], 0x8
	s_load_b64 s[16:17], s[0:1], 0x4
	s_mov_b64 s[0:1], src_shared_base
	v_and_b32_e32 v4, 0x3ff, v0
	s_load_b128 s[8:11], s[2:3], 0x50
	v_bfe_u32 v2, v0, 10, 10
	v_bfe_u32 v0, v0, 20, 10
	s_waitcnt lgkmcnt(0)
	s_bitcmp1_b32 s15, 0
	v_mov_b32_e32 v12, s7
	s_cselect_b32 s0, -1, 0
	v_mov_b32_e32 v11, s6
	s_and_b32 vcc_lo, s0, exec_lo
	s_cselect_b32 s13, s1, s5
	s_lshr_b32 s15, s16, 16
	v_mov_b32_e32 v6, s13
	s_mul_i32 s15, s15, s17
	s_xor_b32 s6, s0, -1
	v_mul_lo_u32 v1, s15, v4
	s_delay_alu instid0(VALU_DEP_1) | instskip(SKIP_1) | instid1(VALU_DEP_2)
	v_mad_u32_u24 v1, v2, s17, v1
	v_dual_mov_b32 v2, s8 :: v_dual_mov_b32 v3, s9
	v_add_lshl_u32 v7, v1, v0, 3
	v_dual_mov_b32 v0, s4 :: v_dual_mov_b32 v1, s5
	ds_store_b64 v7, v[0:1] offset:17496
	ds_store_b64 v7, v[2:3] offset:11664
	v_add_nc_u32_e32 v5, 0x4458, v7
	v_add_nc_u32_e32 v0, 0x2d90, v7
	s_delay_alu instid0(VALU_DEP_2)
	v_cndmask_b32_e64 v5, s4, v5, s0
	flat_load_b64 v[9:10], v[5:6]
	s_cbranch_vccnz .LBB458_2
; %bb.1:
	v_dual_mov_b32 v1, s4 :: v_dual_mov_b32 v2, s5
	flat_load_b64 v[11:12], v[1:2] offset:8
.LBB458_2:
	s_and_b32 s4, s0, exec_lo
	s_cselect_b32 s1, s1, s9
	v_cndmask_b32_e64 v0, s8, v0, s0
	v_mov_b32_e32 v1, s1
	v_dual_mov_b32 v7, s10 :: v_dual_mov_b32 v8, s11
	s_and_not1_b32 vcc_lo, exec_lo, s6
	flat_load_b64 v[5:6], v[0:1]
	s_cbranch_vccnz .LBB458_4
; %bb.3:
	v_dual_mov_b32 v0, s8 :: v_dual_mov_b32 v1, s9
	flat_load_b64 v[7:8], v[0:1] offset:8
.LBB458_4:
	s_waitcnt vmcnt(1) lgkmcnt(1)
	v_cmp_eq_f64_e32 vcc_lo, 0, v[9:10]
	v_cmp_eq_f64_e64 s0, 0, v[11:12]
	s_delay_alu instid0(VALU_DEP_1)
	s_and_b32 s4, vcc_lo, s0
	s_mov_b32 s0, -1
	s_and_saveexec_b32 s1, s4
	s_cbranch_execz .LBB458_6
; %bb.5:
	s_waitcnt vmcnt(0) lgkmcnt(0)
	v_cmp_neq_f64_e32 vcc_lo, 1.0, v[5:6]
	v_cmp_neq_f64_e64 s0, 0, v[7:8]
	s_delay_alu instid0(VALU_DEP_1) | instskip(NEXT) | instid1(SALU_CYCLE_1)
	s_or_b32 s0, vcc_lo, s0
	s_or_not1_b32 s0, s0, exec_lo
.LBB458_6:
	s_or_b32 exec_lo, exec_lo, s1
	s_and_saveexec_b32 s1, s0
	s_cbranch_execz .LBB458_43
; %bb.7:
	s_clause 0x1
	s_load_b128 s[4:7], s[2:3], 0x20
	s_load_b64 s[8:9], s[2:3], 0x30
	s_waitcnt lgkmcnt(0)
	s_cmp_eq_u64 s[4:5], 0
	s_cbranch_scc1 .LBB458_9
; %bb.8:
	s_ashr_i32 s13, s12, 31
	s_delay_alu instid0(SALU_CYCLE_1) | instskip(NEXT) | instid1(SALU_CYCLE_1)
	s_lshl_b64 s[0:1], s[12:13], 2
	s_add_u32 s0, s4, s0
	s_addc_u32 s1, s5, s1
	s_load_b32 s0, s[0:1], 0x0
	s_waitcnt lgkmcnt(0)
	s_sub_i32 s12, s0, s14
.LBB458_9:
	s_load_b32 s1, s[2:3], 0x4
	v_mul_u32_u24_e32 v0, 0x97c, v4
	v_mov_b32_e32 v2, 0
	v_mov_b32_e32 v3, 0
	s_delay_alu instid0(VALU_DEP_3) | instskip(NEXT) | instid1(VALU_DEP_1)
	v_lshrrev_b32_e32 v13, 16, v0
	v_mul_lo_u16 v0, v13, 27
	s_delay_alu instid0(VALU_DEP_1) | instskip(NEXT) | instid1(VALU_DEP_4)
	v_sub_nc_u16 v16, v4, v0
	v_dual_mov_b32 v0, v2 :: v_dual_mov_b32 v1, v3
	s_waitcnt lgkmcnt(0)
	s_cmp_eq_u32 s1, 1
	s_cselect_b32 s0, -1, 0
	s_cmp_lg_u32 s1, 1
	s_cselect_b32 s20, -1, 0
	s_ashr_i32 s13, s12, 31
	s_delay_alu instid0(SALU_CYCLE_1) | instskip(NEXT) | instid1(SALU_CYCLE_1)
	s_lshl_b64 s[4:5], s[12:13], 3
	s_add_u32 s6, s6, s4
	s_addc_u32 s7, s7, s5
	s_add_u32 s1, s6, 8
	s_addc_u32 s10, s7, 0
	;; [unrolled: 2-line block ×3, first 2 shown]
	s_cmp_eq_u64 s[8:9], 0
	s_load_b64 s[8:9], s[2:3], 0x60
	s_cselect_b32 s5, s10, s5
	s_cselect_b32 s4, s1, s4
	s_load_b64 s[18:19], s[6:7], 0x0
	s_load_b64 s[10:11], s[4:5], 0x0
	s_waitcnt lgkmcnt(0)
	v_cmp_ge_i64_e64 s1, s[18:19], s[10:11]
	s_delay_alu instid0(VALU_DEP_1)
	s_and_b32 vcc_lo, exec_lo, s1
	s_cbranch_vccnz .LBB458_14
; %bb.10:
	s_clause 0x1
	s_load_b128 s[4:7], s[2:3], 0x38
	s_load_b64 s[2:3], s[2:3], 0x48
	s_sub_u32 s10, s10, s14
	s_subb_u32 s11, s11, 0
	s_sub_u32 s16, s18, s14
	s_subb_u32 s17, s19, 0
	v_and_b32_e32 v0, 0xffff, v16
	v_dual_mov_b32 v2, 0 :: v_dual_and_b32 v1, 0xffff, v13
	v_dual_mov_b32 v3, 0 :: v_dual_lshlrev_b32 v14, 3, v4
	s_mul_hi_u32 s1, s16, 0x16c8
	s_mul_i32 s21, s17, 0x16c8
	s_mul_i32 s13, s16, 0x16c8
	s_add_i32 s1, s1, s21
	s_mov_b32 s15, 0
	v_cndmask_b32_e64 v13, v0, v1, s0
	v_dual_mov_b32 v0, v2 :: v_dual_mov_b32 v1, v3
	s_waitcnt lgkmcnt(0)
	s_add_u32 s13, s6, s13
	s_addc_u32 s21, s7, s1
	s_lshl_b64 s[0:1], s[18:19], 2
	s_lshl_b64 s[6:7], s[14:15], 2
	v_add_co_u32 v14, s13, s13, v14
	s_delay_alu instid0(VALU_DEP_1)
	v_add_co_ci_u32_e64 v15, null, s21, 0, s13
	s_sub_u32 s0, s0, s6
	s_subb_u32 s1, s1, s7
	s_add_u32 s0, s4, s0
	s_addc_u32 s1, s5, s1
	s_set_inst_prefetch_distance 0x1
	s_branch .LBB458_12
	.p2align	6
.LBB458_11:                             ;   in Loop: Header=BB458_12 Depth=1
	s_add_u32 s16, s16, 1
	s_addc_u32 s17, s17, 0
	s_add_u32 s0, s0, 4
	v_cmp_lt_i64_e64 s4, s[16:17], s[10:11]
	s_addc_u32 s1, s1, 0
	s_delay_alu instid0(VALU_DEP_1)
	s_and_b32 vcc_lo, exec_lo, s4
	s_cbranch_vccz .LBB458_14
.LBB458_12:                             ; =>This Inner Loop Header: Depth=1
	v_cmp_ge_i64_e64 s4, s[16:17], s[10:11]
	s_delay_alu instid0(VALU_DEP_1)
	s_and_b32 vcc_lo, exec_lo, s4
	s_cbranch_vccnz .LBB458_11
; %bb.13:                               ;   in Loop: Header=BB458_12 Depth=1
	s_load_b32 s4, s[0:1], 0x0
	s_waitcnt lgkmcnt(0)
	s_sub_i32 s4, s4, s14
	s_delay_alu instid0(SALU_CYCLE_1) | instskip(NEXT) | instid1(VALU_DEP_1)
	v_mad_u64_u32 v[17:18], null, s4, 27, v[13:14]
	v_ashrrev_i32_e32 v18, 31, v17
	s_delay_alu instid0(VALU_DEP_1) | instskip(NEXT) | instid1(VALU_DEP_1)
	v_lshlrev_b64 v[17:18], 4, v[17:18]
	v_add_co_u32 v17, vcc_lo, s2, v17
	s_delay_alu instid0(VALU_DEP_2)
	v_add_co_ci_u32_e32 v18, vcc_lo, s3, v18, vcc_lo
	global_load_b64 v[21:22], v[14:15], off
	global_load_b128 v[17:20], v[17:18], off
	v_add_co_u32 v14, vcc_lo, 0x16c8, v14
	v_add_co_ci_u32_e32 v15, vcc_lo, 0, v15, vcc_lo
	s_waitcnt vmcnt(0)
	v_fma_f64 v[0:1], v[21:22], v[17:18], v[0:1]
	v_fma_f64 v[2:3], v[17:18], 0, v[2:3]
	s_delay_alu instid0(VALU_DEP_2) | instskip(NEXT) | instid1(VALU_DEP_2)
	v_fma_f64 v[0:1], 0x80000000, v[19:20], v[0:1]
	v_fma_f64 v[2:3], v[21:22], v[19:20], v[2:3]
	s_branch .LBB458_11
.LBB458_14:
	s_set_inst_prefetch_distance 0x2
	v_lshlrev_b32_e32 v17, 4, v4
	s_and_b32 vcc_lo, exec_lo, s20
	ds_store_b128 v17, v[0:3]
	s_waitcnt vmcnt(0) lgkmcnt(0)
	s_barrier
	buffer_gl0_inv
	s_cbranch_vccz .LBB458_26
; %bb.15:
	s_mov_b32 s0, exec_lo
	v_cmpx_gt_u16_e32 11, v16
	s_cbranch_execz .LBB458_17
; %bb.16:
	ds_load_b128 v[18:21], v17 offset:256
	ds_load_b128 v[22:25], v17
	s_waitcnt lgkmcnt(0)
	v_add_f64 v[18:19], v[18:19], v[22:23]
	v_add_f64 v[20:21], v[20:21], v[24:25]
	ds_store_b128 v17, v[18:21]
.LBB458_17:
	s_or_b32 exec_lo, exec_lo, s0
	s_delay_alu instid0(SALU_CYCLE_1)
	s_mov_b32 s0, exec_lo
	s_waitcnt lgkmcnt(0)
	s_barrier
	buffer_gl0_inv
	v_cmpx_gt_u16_e32 8, v16
	s_cbranch_execz .LBB458_19
; %bb.18:
	ds_load_b128 v[18:21], v17 offset:128
	ds_load_b128 v[22:25], v17
	s_waitcnt lgkmcnt(0)
	v_add_f64 v[18:19], v[18:19], v[22:23]
	v_add_f64 v[20:21], v[20:21], v[24:25]
	ds_store_b128 v17, v[18:21]
.LBB458_19:
	s_or_b32 exec_lo, exec_lo, s0
	s_delay_alu instid0(SALU_CYCLE_1)
	s_mov_b32 s0, exec_lo
	s_waitcnt lgkmcnt(0)
	s_barrier
	buffer_gl0_inv
	;; [unrolled: 16-line block ×3, first 2 shown]
	v_cmpx_gt_u16_e32 2, v16
	s_cbranch_execz .LBB458_23
; %bb.22:
	ds_load_b128 v[13:16], v17
	ds_load_b128 v[18:21], v17 offset:32
	s_waitcnt lgkmcnt(0)
	v_add_f64 v[13:14], v[18:19], v[13:14]
	v_add_f64 v[15:16], v[20:21], v[15:16]
	ds_store_b128 v17, v[13:16]
.LBB458_23:
	s_or_b32 exec_lo, exec_lo, s0
	v_dual_mov_b32 v16, v3 :: v_dual_mov_b32 v15, v2
	v_dual_mov_b32 v14, v1 :: v_dual_mov_b32 v13, v0
	s_mov_b32 s0, exec_lo
	s_waitcnt lgkmcnt(0)
	s_barrier
	buffer_gl0_inv
	v_cmpx_gt_u32_e32 27, v4
	s_cbranch_execz .LBB458_25
; %bb.24:
	v_mul_u32_u24_e32 v13, 27, v4
	s_delay_alu instid0(VALU_DEP_1)
	v_lshlrev_b32_e32 v18, 4, v13
	ds_load_b128 v[13:16], v18
	ds_load_b128 v[18:21], v18 offset:16
	s_waitcnt lgkmcnt(0)
	v_add_f64 v[13:14], v[18:19], v[13:14]
	v_add_f64 v[15:16], v[20:21], v[15:16]
.LBB458_25:
	s_or_b32 exec_lo, exec_lo, s0
	s_branch .LBB458_38
.LBB458_26:
                                        ; implicit-def: $vgpr15_vgpr16
                                        ; implicit-def: $vgpr13_vgpr14
	s_cbranch_execz .LBB458_38
; %bb.27:
	s_mov_b32 s0, exec_lo
	v_cmpx_gt_u32_e32 0x129, v4
	s_cbranch_execz .LBB458_29
; %bb.28:
	ds_load_b128 v[13:16], v17 offset:6912
	ds_load_b128 v[18:21], v17
	s_waitcnt lgkmcnt(0)
	v_add_f64 v[13:14], v[13:14], v[18:19]
	v_add_f64 v[15:16], v[15:16], v[20:21]
	ds_store_b128 v17, v[13:16]
.LBB458_29:
	s_or_b32 exec_lo, exec_lo, s0
	s_delay_alu instid0(SALU_CYCLE_1)
	s_mov_b32 s0, exec_lo
	s_waitcnt lgkmcnt(0)
	s_barrier
	buffer_gl0_inv
	v_cmpx_gt_u32_e32 0xd8, v4
	s_cbranch_execz .LBB458_31
; %bb.30:
	ds_load_b128 v[13:16], v17 offset:3456
	ds_load_b128 v[18:21], v17
	s_waitcnt lgkmcnt(0)
	v_add_f64 v[13:14], v[13:14], v[18:19]
	v_add_f64 v[15:16], v[15:16], v[20:21]
	ds_store_b128 v17, v[13:16]
.LBB458_31:
	s_or_b32 exec_lo, exec_lo, s0
	s_delay_alu instid0(SALU_CYCLE_1)
	s_mov_b32 s0, exec_lo
	s_waitcnt lgkmcnt(0)
	s_barrier
	buffer_gl0_inv
	;; [unrolled: 16-line block ×3, first 2 shown]
	v_cmpx_gt_u32_e32 54, v4
	s_cbranch_execz .LBB458_35
; %bb.34:
	ds_load_b128 v[13:16], v17 offset:864
	ds_load_b128 v[18:21], v17
	s_waitcnt lgkmcnt(0)
	v_add_f64 v[13:14], v[13:14], v[18:19]
	v_add_f64 v[15:16], v[15:16], v[20:21]
	ds_store_b128 v17, v[13:16]
.LBB458_35:
	s_or_b32 exec_lo, exec_lo, s0
	s_delay_alu instid0(SALU_CYCLE_1)
	s_mov_b32 s0, exec_lo
	s_waitcnt lgkmcnt(0)
	buffer_gl0_inv
	v_cmpx_gt_u32_e32 27, v4
	s_cbranch_execz .LBB458_37
; %bb.36:
	ds_load_b128 v[0:3], v17 offset:432
	ds_load_b128 v[13:16], v17
	s_waitcnt lgkmcnt(0)
	v_add_f64 v[0:1], v[0:1], v[13:14]
	v_add_f64 v[2:3], v[2:3], v[15:16]
.LBB458_37:
	s_or_b32 exec_lo, exec_lo, s0
	s_delay_alu instid0(VALU_DEP_1) | instskip(NEXT) | instid1(VALU_DEP_3)
	v_dual_mov_b32 v16, v3 :: v_dual_mov_b32 v15, v2
	v_dual_mov_b32 v14, v1 :: v_dual_mov_b32 v13, v0
.LBB458_38:
	v_cmp_gt_u32_e32 vcc_lo, 27, v4
	s_and_b32 exec_lo, exec_lo, vcc_lo
	s_cbranch_execz .LBB458_43
; %bb.39:
	s_delay_alu instid0(VALU_DEP_2) | instskip(SKIP_3) | instid1(VALU_DEP_4)
	v_mul_f64 v[0:1], v[15:16], -v[11:12]
	v_mul_f64 v[2:3], v[9:10], v[15:16]
	v_cmp_eq_f64_e32 vcc_lo, 0, v[5:6]
	v_cmp_eq_f64_e64 s0, 0, v[7:8]
	v_fma_f64 v[0:1], v[9:10], v[13:14], v[0:1]
	s_delay_alu instid0(VALU_DEP_4) | instskip(NEXT) | instid1(VALU_DEP_3)
	v_fma_f64 v[2:3], v[11:12], v[13:14], v[2:3]
	s_and_b32 s0, vcc_lo, s0
	s_delay_alu instid0(SALU_CYCLE_1) | instskip(NEXT) | instid1(SALU_CYCLE_1)
	s_and_saveexec_b32 s1, s0
	s_xor_b32 s0, exec_lo, s1
	s_cbranch_execz .LBB458_41
; %bb.40:
	v_mad_u64_u32 v[5:6], null, s12, 27, v[4:5]
	v_mov_b32_e32 v6, 0
                                        ; implicit-def: $vgpr7_vgpr8
	s_delay_alu instid0(VALU_DEP_1) | instskip(NEXT) | instid1(VALU_DEP_1)
	v_lshlrev_b64 v[4:5], 4, v[5:6]
	v_add_co_u32 v4, vcc_lo, s8, v4
	s_delay_alu instid0(VALU_DEP_2)
	v_add_co_ci_u32_e32 v5, vcc_lo, s9, v5, vcc_lo
	global_store_b128 v[4:5], v[0:3], off
                                        ; implicit-def: $vgpr4
                                        ; implicit-def: $vgpr5_vgpr6
                                        ; implicit-def: $vgpr0_vgpr1
.LBB458_41:
	s_and_not1_saveexec_b32 s0, s0
	s_cbranch_execz .LBB458_43
; %bb.42:
	v_mad_u64_u32 v[9:10], null, s12, 27, v[4:5]
	v_mov_b32_e32 v10, 0
	s_delay_alu instid0(VALU_DEP_1) | instskip(NEXT) | instid1(VALU_DEP_1)
	v_lshlrev_b64 v[9:10], 4, v[9:10]
	v_add_co_u32 v13, vcc_lo, s8, v9
	s_delay_alu instid0(VALU_DEP_2) | instskip(SKIP_4) | instid1(VALU_DEP_2)
	v_add_co_ci_u32_e32 v14, vcc_lo, s9, v10, vcc_lo
	global_load_b128 v[9:12], v[13:14], off
	s_waitcnt vmcnt(0)
	v_fma_f64 v[0:1], v[5:6], v[9:10], v[0:1]
	v_fma_f64 v[2:3], v[7:8], v[9:10], v[2:3]
	v_fma_f64 v[0:1], -v[7:8], v[11:12], v[0:1]
	s_delay_alu instid0(VALU_DEP_2)
	v_fma_f64 v[2:3], v[5:6], v[11:12], v[2:3]
	global_store_b128 v[13:14], v[0:3], off
.LBB458_43:
	s_nop 0
	s_sendmsg sendmsg(MSG_DEALLOC_VGPRS)
	s_endpgm
	.section	.rodata,"a",@progbits
	.p2align	6, 0x0
	.amdhsa_kernel _ZN9rocsparseL20bsrxmvn_17_32_kernelILj27E21rocsparse_complex_numIdElidS2_S2_EEvT2_20rocsparse_direction_NS_24const_host_device_scalarIT0_EES3_PKS3_PKT1_SC_S9_PKT3_PKT4_S7_PT5_21rocsparse_index_base_b
		.amdhsa_group_segment_fixed_size 23328
		.amdhsa_private_segment_fixed_size 0
		.amdhsa_kernarg_size 112
		.amdhsa_user_sgpr_count 15
		.amdhsa_user_sgpr_dispatch_ptr 1
		.amdhsa_user_sgpr_queue_ptr 0
		.amdhsa_user_sgpr_kernarg_segment_ptr 1
		.amdhsa_user_sgpr_dispatch_id 0
		.amdhsa_user_sgpr_private_segment_size 0
		.amdhsa_wavefront_size32 1
		.amdhsa_uses_dynamic_stack 0
		.amdhsa_enable_private_segment 0
		.amdhsa_system_sgpr_workgroup_id_x 1
		.amdhsa_system_sgpr_workgroup_id_y 0
		.amdhsa_system_sgpr_workgroup_id_z 0
		.amdhsa_system_sgpr_workgroup_info 0
		.amdhsa_system_vgpr_workitem_id 2
		.amdhsa_next_free_vgpr 26
		.amdhsa_next_free_sgpr 22
		.amdhsa_reserve_vcc 1
		.amdhsa_float_round_mode_32 0
		.amdhsa_float_round_mode_16_64 0
		.amdhsa_float_denorm_mode_32 3
		.amdhsa_float_denorm_mode_16_64 3
		.amdhsa_dx10_clamp 1
		.amdhsa_ieee_mode 1
		.amdhsa_fp16_overflow 0
		.amdhsa_workgroup_processor_mode 1
		.amdhsa_memory_ordered 1
		.amdhsa_forward_progress 0
		.amdhsa_shared_vgpr_count 0
		.amdhsa_exception_fp_ieee_invalid_op 0
		.amdhsa_exception_fp_denorm_src 0
		.amdhsa_exception_fp_ieee_div_zero 0
		.amdhsa_exception_fp_ieee_overflow 0
		.amdhsa_exception_fp_ieee_underflow 0
		.amdhsa_exception_fp_ieee_inexact 0
		.amdhsa_exception_int_div_zero 0
	.end_amdhsa_kernel
	.section	.text._ZN9rocsparseL20bsrxmvn_17_32_kernelILj27E21rocsparse_complex_numIdElidS2_S2_EEvT2_20rocsparse_direction_NS_24const_host_device_scalarIT0_EES3_PKS3_PKT1_SC_S9_PKT3_PKT4_S7_PT5_21rocsparse_index_base_b,"axG",@progbits,_ZN9rocsparseL20bsrxmvn_17_32_kernelILj27E21rocsparse_complex_numIdElidS2_S2_EEvT2_20rocsparse_direction_NS_24const_host_device_scalarIT0_EES3_PKS3_PKT1_SC_S9_PKT3_PKT4_S7_PT5_21rocsparse_index_base_b,comdat
.Lfunc_end458:
	.size	_ZN9rocsparseL20bsrxmvn_17_32_kernelILj27E21rocsparse_complex_numIdElidS2_S2_EEvT2_20rocsparse_direction_NS_24const_host_device_scalarIT0_EES3_PKS3_PKT1_SC_S9_PKT3_PKT4_S7_PT5_21rocsparse_index_base_b, .Lfunc_end458-_ZN9rocsparseL20bsrxmvn_17_32_kernelILj27E21rocsparse_complex_numIdElidS2_S2_EEvT2_20rocsparse_direction_NS_24const_host_device_scalarIT0_EES3_PKS3_PKT1_SC_S9_PKT3_PKT4_S7_PT5_21rocsparse_index_base_b
                                        ; -- End function
	.section	.AMDGPU.csdata,"",@progbits
; Kernel info:
; codeLenInByte = 2072
; NumSgprs: 24
; NumVgprs: 26
; ScratchSize: 0
; MemoryBound: 0
; FloatMode: 240
; IeeeMode: 1
; LDSByteSize: 23328 bytes/workgroup (compile time only)
; SGPRBlocks: 2
; VGPRBlocks: 3
; NumSGPRsForWavesPerEU: 24
; NumVGPRsForWavesPerEU: 26
; Occupancy: 12
; WaveLimiterHint : 1
; COMPUTE_PGM_RSRC2:SCRATCH_EN: 0
; COMPUTE_PGM_RSRC2:USER_SGPR: 15
; COMPUTE_PGM_RSRC2:TRAP_HANDLER: 0
; COMPUTE_PGM_RSRC2:TGID_X_EN: 1
; COMPUTE_PGM_RSRC2:TGID_Y_EN: 0
; COMPUTE_PGM_RSRC2:TGID_Z_EN: 0
; COMPUTE_PGM_RSRC2:TIDIG_COMP_CNT: 2
	.section	.text._ZN9rocsparseL20bsrxmvn_17_32_kernelILj28E21rocsparse_complex_numIdElidS2_S2_EEvT2_20rocsparse_direction_NS_24const_host_device_scalarIT0_EES3_PKS3_PKT1_SC_S9_PKT3_PKT4_S7_PT5_21rocsparse_index_base_b,"axG",@progbits,_ZN9rocsparseL20bsrxmvn_17_32_kernelILj28E21rocsparse_complex_numIdElidS2_S2_EEvT2_20rocsparse_direction_NS_24const_host_device_scalarIT0_EES3_PKS3_PKT1_SC_S9_PKT3_PKT4_S7_PT5_21rocsparse_index_base_b,comdat
	.globl	_ZN9rocsparseL20bsrxmvn_17_32_kernelILj28E21rocsparse_complex_numIdElidS2_S2_EEvT2_20rocsparse_direction_NS_24const_host_device_scalarIT0_EES3_PKS3_PKT1_SC_S9_PKT3_PKT4_S7_PT5_21rocsparse_index_base_b ; -- Begin function _ZN9rocsparseL20bsrxmvn_17_32_kernelILj28E21rocsparse_complex_numIdElidS2_S2_EEvT2_20rocsparse_direction_NS_24const_host_device_scalarIT0_EES3_PKS3_PKT1_SC_S9_PKT3_PKT4_S7_PT5_21rocsparse_index_base_b
	.p2align	8
	.type	_ZN9rocsparseL20bsrxmvn_17_32_kernelILj28E21rocsparse_complex_numIdElidS2_S2_EEvT2_20rocsparse_direction_NS_24const_host_device_scalarIT0_EES3_PKS3_PKT1_SC_S9_PKT3_PKT4_S7_PT5_21rocsparse_index_base_b,@function
_ZN9rocsparseL20bsrxmvn_17_32_kernelILj28E21rocsparse_complex_numIdElidS2_S2_EEvT2_20rocsparse_direction_NS_24const_host_device_scalarIT0_EES3_PKS3_PKT1_SC_S9_PKT3_PKT4_S7_PT5_21rocsparse_index_base_b: ; @_ZN9rocsparseL20bsrxmvn_17_32_kernelILj28E21rocsparse_complex_numIdElidS2_S2_EEvT2_20rocsparse_direction_NS_24const_host_device_scalarIT0_EES3_PKS3_PKT1_SC_S9_PKT3_PKT4_S7_PT5_21rocsparse_index_base_b
; %bb.0:
	s_mov_b32 s12, s15
	s_clause 0x1
	s_load_b64 s[14:15], s[2:3], 0x68
	s_load_b128 s[4:7], s[2:3], 0x8
	s_load_b64 s[16:17], s[0:1], 0x4
	s_mov_b64 s[0:1], src_shared_base
	v_and_b32_e32 v4, 0x3ff, v0
	s_load_b128 s[8:11], s[2:3], 0x50
	v_bfe_u32 v2, v0, 10, 10
	v_bfe_u32 v0, v0, 20, 10
	s_waitcnt lgkmcnt(0)
	s_bitcmp1_b32 s15, 0
	v_mov_b32_e32 v12, s7
	s_cselect_b32 s0, -1, 0
	v_mov_b32_e32 v11, s6
	s_and_b32 vcc_lo, s0, exec_lo
	s_cselect_b32 s13, s1, s5
	s_lshr_b32 s15, s16, 16
	v_mov_b32_e32 v6, s13
	s_mul_i32 s15, s15, s17
	s_xor_b32 s6, s0, -1
	v_mul_lo_u32 v1, s15, v4
	s_delay_alu instid0(VALU_DEP_1) | instskip(SKIP_1) | instid1(VALU_DEP_2)
	v_mad_u32_u24 v1, v2, s17, v1
	v_dual_mov_b32 v2, s8 :: v_dual_mov_b32 v3, s9
	v_add_lshl_u32 v7, v1, v0, 3
	v_dual_mov_b32 v0, s4 :: v_dual_mov_b32 v1, s5
	ds_store_b64 v7, v[0:1] offset:18816
	ds_store_b64 v7, v[2:3] offset:12544
	v_add_nc_u32_e32 v5, 0x4980, v7
	v_add_nc_u32_e32 v0, 0x3100, v7
	s_delay_alu instid0(VALU_DEP_2)
	v_cndmask_b32_e64 v5, s4, v5, s0
	flat_load_b64 v[9:10], v[5:6]
	s_cbranch_vccnz .LBB459_2
; %bb.1:
	v_dual_mov_b32 v1, s4 :: v_dual_mov_b32 v2, s5
	flat_load_b64 v[11:12], v[1:2] offset:8
.LBB459_2:
	s_and_b32 s4, s0, exec_lo
	s_cselect_b32 s1, s1, s9
	v_cndmask_b32_e64 v0, s8, v0, s0
	v_mov_b32_e32 v1, s1
	v_dual_mov_b32 v7, s10 :: v_dual_mov_b32 v8, s11
	s_and_not1_b32 vcc_lo, exec_lo, s6
	flat_load_b64 v[5:6], v[0:1]
	s_cbranch_vccnz .LBB459_4
; %bb.3:
	v_dual_mov_b32 v0, s8 :: v_dual_mov_b32 v1, s9
	flat_load_b64 v[7:8], v[0:1] offset:8
.LBB459_4:
	s_waitcnt vmcnt(1) lgkmcnt(1)
	v_cmp_eq_f64_e32 vcc_lo, 0, v[9:10]
	v_cmp_eq_f64_e64 s0, 0, v[11:12]
	s_delay_alu instid0(VALU_DEP_1)
	s_and_b32 s4, vcc_lo, s0
	s_mov_b32 s0, -1
	s_and_saveexec_b32 s1, s4
	s_cbranch_execz .LBB459_6
; %bb.5:
	s_waitcnt vmcnt(0) lgkmcnt(0)
	v_cmp_neq_f64_e32 vcc_lo, 1.0, v[5:6]
	v_cmp_neq_f64_e64 s0, 0, v[7:8]
	s_delay_alu instid0(VALU_DEP_1) | instskip(NEXT) | instid1(SALU_CYCLE_1)
	s_or_b32 s0, vcc_lo, s0
	s_or_not1_b32 s0, s0, exec_lo
.LBB459_6:
	s_or_b32 exec_lo, exec_lo, s1
	s_and_saveexec_b32 s1, s0
	s_cbranch_execz .LBB459_43
; %bb.7:
	s_clause 0x1
	s_load_b128 s[4:7], s[2:3], 0x20
	s_load_b64 s[8:9], s[2:3], 0x30
	s_waitcnt lgkmcnt(0)
	s_cmp_eq_u64 s[4:5], 0
	s_cbranch_scc1 .LBB459_9
; %bb.8:
	s_ashr_i32 s13, s12, 31
	s_delay_alu instid0(SALU_CYCLE_1) | instskip(NEXT) | instid1(SALU_CYCLE_1)
	s_lshl_b64 s[0:1], s[12:13], 2
	s_add_u32 s0, s4, s0
	s_addc_u32 s1, s5, s1
	s_load_b32 s0, s[0:1], 0x0
	s_waitcnt lgkmcnt(0)
	s_sub_i32 s12, s0, s14
.LBB459_9:
	s_load_b32 s1, s[2:3], 0x4
	v_mul_u32_u24_e32 v0, 0x925, v4
	v_mov_b32_e32 v2, 0
	v_mov_b32_e32 v3, 0
	s_delay_alu instid0(VALU_DEP_3) | instskip(NEXT) | instid1(VALU_DEP_1)
	v_lshrrev_b32_e32 v13, 16, v0
	v_mul_lo_u16 v0, v13, 28
	s_delay_alu instid0(VALU_DEP_1) | instskip(NEXT) | instid1(VALU_DEP_4)
	v_sub_nc_u16 v16, v4, v0
	v_dual_mov_b32 v0, v2 :: v_dual_mov_b32 v1, v3
	s_waitcnt lgkmcnt(0)
	s_cmp_eq_u32 s1, 1
	s_cselect_b32 s0, -1, 0
	s_cmp_lg_u32 s1, 1
	s_cselect_b32 s20, -1, 0
	s_ashr_i32 s13, s12, 31
	s_delay_alu instid0(SALU_CYCLE_1) | instskip(NEXT) | instid1(SALU_CYCLE_1)
	s_lshl_b64 s[4:5], s[12:13], 3
	s_add_u32 s6, s6, s4
	s_addc_u32 s7, s7, s5
	s_add_u32 s1, s6, 8
	s_addc_u32 s10, s7, 0
	;; [unrolled: 2-line block ×3, first 2 shown]
	s_cmp_eq_u64 s[8:9], 0
	s_load_b64 s[8:9], s[2:3], 0x60
	s_cselect_b32 s5, s10, s5
	s_cselect_b32 s4, s1, s4
	s_load_b64 s[18:19], s[6:7], 0x0
	s_load_b64 s[10:11], s[4:5], 0x0
	s_waitcnt lgkmcnt(0)
	v_cmp_ge_i64_e64 s1, s[18:19], s[10:11]
	s_delay_alu instid0(VALU_DEP_1)
	s_and_b32 vcc_lo, exec_lo, s1
	s_cbranch_vccnz .LBB459_14
; %bb.10:
	s_clause 0x1
	s_load_b128 s[4:7], s[2:3], 0x38
	s_load_b64 s[2:3], s[2:3], 0x48
	s_sub_u32 s10, s10, s14
	s_subb_u32 s11, s11, 0
	s_sub_u32 s16, s18, s14
	s_subb_u32 s17, s19, 0
	v_and_b32_e32 v0, 0xffff, v16
	v_dual_mov_b32 v2, 0 :: v_dual_and_b32 v1, 0xffff, v13
	v_dual_mov_b32 v3, 0 :: v_dual_lshlrev_b32 v14, 3, v4
	s_mul_hi_u32 s1, s16, 0x1880
	s_mul_i32 s21, s17, 0x1880
	s_mul_i32 s13, s16, 0x1880
	s_add_i32 s1, s1, s21
	s_mov_b32 s15, 0
	v_cndmask_b32_e64 v13, v0, v1, s0
	v_dual_mov_b32 v0, v2 :: v_dual_mov_b32 v1, v3
	s_waitcnt lgkmcnt(0)
	s_add_u32 s13, s6, s13
	s_addc_u32 s21, s7, s1
	s_lshl_b64 s[0:1], s[18:19], 2
	s_lshl_b64 s[6:7], s[14:15], 2
	v_add_co_u32 v14, s13, s13, v14
	s_delay_alu instid0(VALU_DEP_1)
	v_add_co_ci_u32_e64 v15, null, s21, 0, s13
	s_sub_u32 s0, s0, s6
	s_subb_u32 s1, s1, s7
	s_add_u32 s0, s4, s0
	s_addc_u32 s1, s5, s1
	s_set_inst_prefetch_distance 0x1
	s_branch .LBB459_12
	.p2align	6
.LBB459_11:                             ;   in Loop: Header=BB459_12 Depth=1
	s_add_u32 s16, s16, 1
	s_addc_u32 s17, s17, 0
	s_add_u32 s0, s0, 4
	v_cmp_lt_i64_e64 s4, s[16:17], s[10:11]
	s_addc_u32 s1, s1, 0
	s_delay_alu instid0(VALU_DEP_1)
	s_and_b32 vcc_lo, exec_lo, s4
	s_cbranch_vccz .LBB459_14
.LBB459_12:                             ; =>This Inner Loop Header: Depth=1
	v_cmp_ge_i64_e64 s4, s[16:17], s[10:11]
	s_delay_alu instid0(VALU_DEP_1)
	s_and_b32 vcc_lo, exec_lo, s4
	s_cbranch_vccnz .LBB459_11
; %bb.13:                               ;   in Loop: Header=BB459_12 Depth=1
	s_load_b32 s4, s[0:1], 0x0
	s_waitcnt lgkmcnt(0)
	s_sub_i32 s4, s4, s14
	s_delay_alu instid0(SALU_CYCLE_1) | instskip(NEXT) | instid1(VALU_DEP_1)
	v_mad_u64_u32 v[17:18], null, s4, 28, v[13:14]
	v_ashrrev_i32_e32 v18, 31, v17
	s_delay_alu instid0(VALU_DEP_1) | instskip(NEXT) | instid1(VALU_DEP_1)
	v_lshlrev_b64 v[17:18], 4, v[17:18]
	v_add_co_u32 v17, vcc_lo, s2, v17
	s_delay_alu instid0(VALU_DEP_2)
	v_add_co_ci_u32_e32 v18, vcc_lo, s3, v18, vcc_lo
	global_load_b64 v[21:22], v[14:15], off
	global_load_b128 v[17:20], v[17:18], off
	v_add_co_u32 v14, vcc_lo, 0x1880, v14
	v_add_co_ci_u32_e32 v15, vcc_lo, 0, v15, vcc_lo
	s_waitcnt vmcnt(0)
	v_fma_f64 v[0:1], v[21:22], v[17:18], v[0:1]
	v_fma_f64 v[2:3], v[17:18], 0, v[2:3]
	s_delay_alu instid0(VALU_DEP_2) | instskip(NEXT) | instid1(VALU_DEP_2)
	v_fma_f64 v[0:1], 0x80000000, v[19:20], v[0:1]
	v_fma_f64 v[2:3], v[21:22], v[19:20], v[2:3]
	s_branch .LBB459_11
.LBB459_14:
	s_set_inst_prefetch_distance 0x2
	v_lshlrev_b32_e32 v17, 4, v4
	s_and_b32 vcc_lo, exec_lo, s20
	ds_store_b128 v17, v[0:3]
	s_waitcnt vmcnt(0) lgkmcnt(0)
	s_barrier
	buffer_gl0_inv
	s_cbranch_vccz .LBB459_26
; %bb.15:
	s_mov_b32 s0, exec_lo
	v_cmpx_gt_u16_e32 12, v16
	s_cbranch_execz .LBB459_17
; %bb.16:
	ds_load_b128 v[18:21], v17 offset:256
	ds_load_b128 v[22:25], v17
	s_waitcnt lgkmcnt(0)
	v_add_f64 v[18:19], v[18:19], v[22:23]
	v_add_f64 v[20:21], v[20:21], v[24:25]
	ds_store_b128 v17, v[18:21]
.LBB459_17:
	s_or_b32 exec_lo, exec_lo, s0
	s_delay_alu instid0(SALU_CYCLE_1)
	s_mov_b32 s0, exec_lo
	s_waitcnt lgkmcnt(0)
	s_barrier
	buffer_gl0_inv
	v_cmpx_gt_u16_e32 8, v16
	s_cbranch_execz .LBB459_19
; %bb.18:
	ds_load_b128 v[18:21], v17 offset:128
	ds_load_b128 v[22:25], v17
	s_waitcnt lgkmcnt(0)
	v_add_f64 v[18:19], v[18:19], v[22:23]
	v_add_f64 v[20:21], v[20:21], v[24:25]
	ds_store_b128 v17, v[18:21]
.LBB459_19:
	s_or_b32 exec_lo, exec_lo, s0
	s_delay_alu instid0(SALU_CYCLE_1)
	s_mov_b32 s0, exec_lo
	s_waitcnt lgkmcnt(0)
	s_barrier
	buffer_gl0_inv
	;; [unrolled: 16-line block ×3, first 2 shown]
	v_cmpx_gt_u16_e32 2, v16
	s_cbranch_execz .LBB459_23
; %bb.22:
	ds_load_b128 v[13:16], v17
	ds_load_b128 v[18:21], v17 offset:32
	s_waitcnt lgkmcnt(0)
	v_add_f64 v[13:14], v[18:19], v[13:14]
	v_add_f64 v[15:16], v[20:21], v[15:16]
	ds_store_b128 v17, v[13:16]
.LBB459_23:
	s_or_b32 exec_lo, exec_lo, s0
	v_dual_mov_b32 v16, v3 :: v_dual_mov_b32 v15, v2
	v_dual_mov_b32 v14, v1 :: v_dual_mov_b32 v13, v0
	s_mov_b32 s0, exec_lo
	s_waitcnt lgkmcnt(0)
	s_barrier
	buffer_gl0_inv
	v_cmpx_gt_u32_e32 28, v4
	s_cbranch_execz .LBB459_25
; %bb.24:
	v_mul_u32_u24_e32 v13, 28, v4
	s_delay_alu instid0(VALU_DEP_1)
	v_lshlrev_b32_e32 v18, 4, v13
	ds_load_b128 v[13:16], v18
	ds_load_b128 v[18:21], v18 offset:16
	s_waitcnt lgkmcnt(0)
	v_add_f64 v[13:14], v[18:19], v[13:14]
	v_add_f64 v[15:16], v[20:21], v[15:16]
.LBB459_25:
	s_or_b32 exec_lo, exec_lo, s0
	s_branch .LBB459_38
.LBB459_26:
                                        ; implicit-def: $vgpr15_vgpr16
                                        ; implicit-def: $vgpr13_vgpr14
	s_cbranch_execz .LBB459_38
; %bb.27:
	s_mov_b32 s0, exec_lo
	v_cmpx_gt_u32_e32 0x150, v4
	s_cbranch_execz .LBB459_29
; %bb.28:
	ds_load_b128 v[13:16], v17 offset:7168
	ds_load_b128 v[18:21], v17
	s_waitcnt lgkmcnt(0)
	v_add_f64 v[13:14], v[13:14], v[18:19]
	v_add_f64 v[15:16], v[15:16], v[20:21]
	ds_store_b128 v17, v[13:16]
.LBB459_29:
	s_or_b32 exec_lo, exec_lo, s0
	s_delay_alu instid0(SALU_CYCLE_1)
	s_mov_b32 s0, exec_lo
	s_waitcnt lgkmcnt(0)
	s_barrier
	buffer_gl0_inv
	v_cmpx_gt_u32_e32 0xe0, v4
	s_cbranch_execz .LBB459_31
; %bb.30:
	ds_load_b128 v[13:16], v17 offset:3584
	ds_load_b128 v[18:21], v17
	s_waitcnt lgkmcnt(0)
	v_add_f64 v[13:14], v[13:14], v[18:19]
	v_add_f64 v[15:16], v[15:16], v[20:21]
	ds_store_b128 v17, v[13:16]
.LBB459_31:
	s_or_b32 exec_lo, exec_lo, s0
	s_delay_alu instid0(SALU_CYCLE_1)
	s_mov_b32 s0, exec_lo
	s_waitcnt lgkmcnt(0)
	s_barrier
	buffer_gl0_inv
	;; [unrolled: 16-line block ×3, first 2 shown]
	v_cmpx_gt_u32_e32 56, v4
	s_cbranch_execz .LBB459_35
; %bb.34:
	ds_load_b128 v[13:16], v17 offset:896
	ds_load_b128 v[18:21], v17
	s_waitcnt lgkmcnt(0)
	v_add_f64 v[13:14], v[13:14], v[18:19]
	v_add_f64 v[15:16], v[15:16], v[20:21]
	ds_store_b128 v17, v[13:16]
.LBB459_35:
	s_or_b32 exec_lo, exec_lo, s0
	s_delay_alu instid0(SALU_CYCLE_1)
	s_mov_b32 s0, exec_lo
	s_waitcnt lgkmcnt(0)
	buffer_gl0_inv
	v_cmpx_gt_u32_e32 28, v4
	s_cbranch_execz .LBB459_37
; %bb.36:
	ds_load_b128 v[0:3], v17 offset:448
	ds_load_b128 v[13:16], v17
	s_waitcnt lgkmcnt(0)
	v_add_f64 v[0:1], v[0:1], v[13:14]
	v_add_f64 v[2:3], v[2:3], v[15:16]
.LBB459_37:
	s_or_b32 exec_lo, exec_lo, s0
	s_delay_alu instid0(VALU_DEP_1) | instskip(NEXT) | instid1(VALU_DEP_3)
	v_dual_mov_b32 v16, v3 :: v_dual_mov_b32 v15, v2
	v_dual_mov_b32 v14, v1 :: v_dual_mov_b32 v13, v0
.LBB459_38:
	v_cmp_gt_u32_e32 vcc_lo, 28, v4
	s_and_b32 exec_lo, exec_lo, vcc_lo
	s_cbranch_execz .LBB459_43
; %bb.39:
	s_delay_alu instid0(VALU_DEP_2) | instskip(SKIP_3) | instid1(VALU_DEP_4)
	v_mul_f64 v[0:1], v[15:16], -v[11:12]
	v_mul_f64 v[2:3], v[9:10], v[15:16]
	v_cmp_eq_f64_e32 vcc_lo, 0, v[5:6]
	v_cmp_eq_f64_e64 s0, 0, v[7:8]
	v_fma_f64 v[0:1], v[9:10], v[13:14], v[0:1]
	s_delay_alu instid0(VALU_DEP_4) | instskip(NEXT) | instid1(VALU_DEP_3)
	v_fma_f64 v[2:3], v[11:12], v[13:14], v[2:3]
	s_and_b32 s0, vcc_lo, s0
	s_delay_alu instid0(SALU_CYCLE_1) | instskip(NEXT) | instid1(SALU_CYCLE_1)
	s_and_saveexec_b32 s1, s0
	s_xor_b32 s0, exec_lo, s1
	s_cbranch_execz .LBB459_41
; %bb.40:
	v_mad_u64_u32 v[5:6], null, s12, 28, v[4:5]
	v_mov_b32_e32 v6, 0
                                        ; implicit-def: $vgpr7_vgpr8
	s_delay_alu instid0(VALU_DEP_1) | instskip(NEXT) | instid1(VALU_DEP_1)
	v_lshlrev_b64 v[4:5], 4, v[5:6]
	v_add_co_u32 v4, vcc_lo, s8, v4
	s_delay_alu instid0(VALU_DEP_2)
	v_add_co_ci_u32_e32 v5, vcc_lo, s9, v5, vcc_lo
	global_store_b128 v[4:5], v[0:3], off
                                        ; implicit-def: $vgpr4
                                        ; implicit-def: $vgpr5_vgpr6
                                        ; implicit-def: $vgpr0_vgpr1
.LBB459_41:
	s_and_not1_saveexec_b32 s0, s0
	s_cbranch_execz .LBB459_43
; %bb.42:
	v_mad_u64_u32 v[9:10], null, s12, 28, v[4:5]
	v_mov_b32_e32 v10, 0
	s_delay_alu instid0(VALU_DEP_1) | instskip(NEXT) | instid1(VALU_DEP_1)
	v_lshlrev_b64 v[9:10], 4, v[9:10]
	v_add_co_u32 v13, vcc_lo, s8, v9
	s_delay_alu instid0(VALU_DEP_2) | instskip(SKIP_4) | instid1(VALU_DEP_2)
	v_add_co_ci_u32_e32 v14, vcc_lo, s9, v10, vcc_lo
	global_load_b128 v[9:12], v[13:14], off
	s_waitcnt vmcnt(0)
	v_fma_f64 v[0:1], v[5:6], v[9:10], v[0:1]
	v_fma_f64 v[2:3], v[7:8], v[9:10], v[2:3]
	v_fma_f64 v[0:1], -v[7:8], v[11:12], v[0:1]
	s_delay_alu instid0(VALU_DEP_2)
	v_fma_f64 v[2:3], v[5:6], v[11:12], v[2:3]
	global_store_b128 v[13:14], v[0:3], off
.LBB459_43:
	s_nop 0
	s_sendmsg sendmsg(MSG_DEALLOC_VGPRS)
	s_endpgm
	.section	.rodata,"a",@progbits
	.p2align	6, 0x0
	.amdhsa_kernel _ZN9rocsparseL20bsrxmvn_17_32_kernelILj28E21rocsparse_complex_numIdElidS2_S2_EEvT2_20rocsparse_direction_NS_24const_host_device_scalarIT0_EES3_PKS3_PKT1_SC_S9_PKT3_PKT4_S7_PT5_21rocsparse_index_base_b
		.amdhsa_group_segment_fixed_size 25088
		.amdhsa_private_segment_fixed_size 0
		.amdhsa_kernarg_size 112
		.amdhsa_user_sgpr_count 15
		.amdhsa_user_sgpr_dispatch_ptr 1
		.amdhsa_user_sgpr_queue_ptr 0
		.amdhsa_user_sgpr_kernarg_segment_ptr 1
		.amdhsa_user_sgpr_dispatch_id 0
		.amdhsa_user_sgpr_private_segment_size 0
		.amdhsa_wavefront_size32 1
		.amdhsa_uses_dynamic_stack 0
		.amdhsa_enable_private_segment 0
		.amdhsa_system_sgpr_workgroup_id_x 1
		.amdhsa_system_sgpr_workgroup_id_y 0
		.amdhsa_system_sgpr_workgroup_id_z 0
		.amdhsa_system_sgpr_workgroup_info 0
		.amdhsa_system_vgpr_workitem_id 2
		.amdhsa_next_free_vgpr 26
		.amdhsa_next_free_sgpr 22
		.amdhsa_reserve_vcc 1
		.amdhsa_float_round_mode_32 0
		.amdhsa_float_round_mode_16_64 0
		.amdhsa_float_denorm_mode_32 3
		.amdhsa_float_denorm_mode_16_64 3
		.amdhsa_dx10_clamp 1
		.amdhsa_ieee_mode 1
		.amdhsa_fp16_overflow 0
		.amdhsa_workgroup_processor_mode 1
		.amdhsa_memory_ordered 1
		.amdhsa_forward_progress 0
		.amdhsa_shared_vgpr_count 0
		.amdhsa_exception_fp_ieee_invalid_op 0
		.amdhsa_exception_fp_denorm_src 0
		.amdhsa_exception_fp_ieee_div_zero 0
		.amdhsa_exception_fp_ieee_overflow 0
		.amdhsa_exception_fp_ieee_underflow 0
		.amdhsa_exception_fp_ieee_inexact 0
		.amdhsa_exception_int_div_zero 0
	.end_amdhsa_kernel
	.section	.text._ZN9rocsparseL20bsrxmvn_17_32_kernelILj28E21rocsparse_complex_numIdElidS2_S2_EEvT2_20rocsparse_direction_NS_24const_host_device_scalarIT0_EES3_PKS3_PKT1_SC_S9_PKT3_PKT4_S7_PT5_21rocsparse_index_base_b,"axG",@progbits,_ZN9rocsparseL20bsrxmvn_17_32_kernelILj28E21rocsparse_complex_numIdElidS2_S2_EEvT2_20rocsparse_direction_NS_24const_host_device_scalarIT0_EES3_PKS3_PKT1_SC_S9_PKT3_PKT4_S7_PT5_21rocsparse_index_base_b,comdat
.Lfunc_end459:
	.size	_ZN9rocsparseL20bsrxmvn_17_32_kernelILj28E21rocsparse_complex_numIdElidS2_S2_EEvT2_20rocsparse_direction_NS_24const_host_device_scalarIT0_EES3_PKS3_PKT1_SC_S9_PKT3_PKT4_S7_PT5_21rocsparse_index_base_b, .Lfunc_end459-_ZN9rocsparseL20bsrxmvn_17_32_kernelILj28E21rocsparse_complex_numIdElidS2_S2_EEvT2_20rocsparse_direction_NS_24const_host_device_scalarIT0_EES3_PKS3_PKT1_SC_S9_PKT3_PKT4_S7_PT5_21rocsparse_index_base_b
                                        ; -- End function
	.section	.AMDGPU.csdata,"",@progbits
; Kernel info:
; codeLenInByte = 2072
; NumSgprs: 24
; NumVgprs: 26
; ScratchSize: 0
; MemoryBound: 0
; FloatMode: 240
; IeeeMode: 1
; LDSByteSize: 25088 bytes/workgroup (compile time only)
; SGPRBlocks: 2
; VGPRBlocks: 3
; NumSGPRsForWavesPerEU: 24
; NumVGPRsForWavesPerEU: 26
; Occupancy: 13
; WaveLimiterHint : 1
; COMPUTE_PGM_RSRC2:SCRATCH_EN: 0
; COMPUTE_PGM_RSRC2:USER_SGPR: 15
; COMPUTE_PGM_RSRC2:TRAP_HANDLER: 0
; COMPUTE_PGM_RSRC2:TGID_X_EN: 1
; COMPUTE_PGM_RSRC2:TGID_Y_EN: 0
; COMPUTE_PGM_RSRC2:TGID_Z_EN: 0
; COMPUTE_PGM_RSRC2:TIDIG_COMP_CNT: 2
	.section	.text._ZN9rocsparseL20bsrxmvn_17_32_kernelILj29E21rocsparse_complex_numIdElidS2_S2_EEvT2_20rocsparse_direction_NS_24const_host_device_scalarIT0_EES3_PKS3_PKT1_SC_S9_PKT3_PKT4_S7_PT5_21rocsparse_index_base_b,"axG",@progbits,_ZN9rocsparseL20bsrxmvn_17_32_kernelILj29E21rocsparse_complex_numIdElidS2_S2_EEvT2_20rocsparse_direction_NS_24const_host_device_scalarIT0_EES3_PKS3_PKT1_SC_S9_PKT3_PKT4_S7_PT5_21rocsparse_index_base_b,comdat
	.globl	_ZN9rocsparseL20bsrxmvn_17_32_kernelILj29E21rocsparse_complex_numIdElidS2_S2_EEvT2_20rocsparse_direction_NS_24const_host_device_scalarIT0_EES3_PKS3_PKT1_SC_S9_PKT3_PKT4_S7_PT5_21rocsparse_index_base_b ; -- Begin function _ZN9rocsparseL20bsrxmvn_17_32_kernelILj29E21rocsparse_complex_numIdElidS2_S2_EEvT2_20rocsparse_direction_NS_24const_host_device_scalarIT0_EES3_PKS3_PKT1_SC_S9_PKT3_PKT4_S7_PT5_21rocsparse_index_base_b
	.p2align	8
	.type	_ZN9rocsparseL20bsrxmvn_17_32_kernelILj29E21rocsparse_complex_numIdElidS2_S2_EEvT2_20rocsparse_direction_NS_24const_host_device_scalarIT0_EES3_PKS3_PKT1_SC_S9_PKT3_PKT4_S7_PT5_21rocsparse_index_base_b,@function
_ZN9rocsparseL20bsrxmvn_17_32_kernelILj29E21rocsparse_complex_numIdElidS2_S2_EEvT2_20rocsparse_direction_NS_24const_host_device_scalarIT0_EES3_PKS3_PKT1_SC_S9_PKT3_PKT4_S7_PT5_21rocsparse_index_base_b: ; @_ZN9rocsparseL20bsrxmvn_17_32_kernelILj29E21rocsparse_complex_numIdElidS2_S2_EEvT2_20rocsparse_direction_NS_24const_host_device_scalarIT0_EES3_PKS3_PKT1_SC_S9_PKT3_PKT4_S7_PT5_21rocsparse_index_base_b
; %bb.0:
	s_mov_b32 s12, s15
	s_clause 0x1
	s_load_b64 s[14:15], s[2:3], 0x68
	s_load_b128 s[4:7], s[2:3], 0x8
	s_load_b64 s[16:17], s[0:1], 0x4
	s_mov_b64 s[0:1], src_shared_base
	v_and_b32_e32 v4, 0x3ff, v0
	s_load_b128 s[8:11], s[2:3], 0x50
	v_bfe_u32 v2, v0, 10, 10
	v_bfe_u32 v0, v0, 20, 10
	s_waitcnt lgkmcnt(0)
	s_bitcmp1_b32 s15, 0
	v_mov_b32_e32 v12, s7
	s_cselect_b32 s0, -1, 0
	v_mov_b32_e32 v11, s6
	s_and_b32 vcc_lo, s0, exec_lo
	s_cselect_b32 s13, s1, s5
	s_lshr_b32 s15, s16, 16
	v_mov_b32_e32 v6, s13
	s_mul_i32 s15, s15, s17
	s_xor_b32 s6, s0, -1
	v_mul_lo_u32 v1, s15, v4
	s_delay_alu instid0(VALU_DEP_1) | instskip(SKIP_1) | instid1(VALU_DEP_2)
	v_mad_u32_u24 v1, v2, s17, v1
	v_dual_mov_b32 v2, s8 :: v_dual_mov_b32 v3, s9
	v_add_lshl_u32 v7, v1, v0, 3
	v_dual_mov_b32 v0, s4 :: v_dual_mov_b32 v1, s5
	ds_store_b64 v7, v[0:1] offset:20184
	ds_store_b64 v7, v[2:3] offset:13456
	v_add_nc_u32_e32 v5, 0x4ed8, v7
	v_add_nc_u32_e32 v0, 0x3490, v7
	s_delay_alu instid0(VALU_DEP_2)
	v_cndmask_b32_e64 v5, s4, v5, s0
	flat_load_b64 v[9:10], v[5:6]
	s_cbranch_vccnz .LBB460_2
; %bb.1:
	v_dual_mov_b32 v1, s4 :: v_dual_mov_b32 v2, s5
	flat_load_b64 v[11:12], v[1:2] offset:8
.LBB460_2:
	s_and_b32 s4, s0, exec_lo
	s_cselect_b32 s1, s1, s9
	v_cndmask_b32_e64 v0, s8, v0, s0
	v_mov_b32_e32 v1, s1
	v_dual_mov_b32 v7, s10 :: v_dual_mov_b32 v8, s11
	s_and_not1_b32 vcc_lo, exec_lo, s6
	flat_load_b64 v[5:6], v[0:1]
	s_cbranch_vccnz .LBB460_4
; %bb.3:
	v_dual_mov_b32 v0, s8 :: v_dual_mov_b32 v1, s9
	flat_load_b64 v[7:8], v[0:1] offset:8
.LBB460_4:
	s_waitcnt vmcnt(1) lgkmcnt(1)
	v_cmp_eq_f64_e32 vcc_lo, 0, v[9:10]
	v_cmp_eq_f64_e64 s0, 0, v[11:12]
	s_delay_alu instid0(VALU_DEP_1)
	s_and_b32 s4, vcc_lo, s0
	s_mov_b32 s0, -1
	s_and_saveexec_b32 s1, s4
	s_cbranch_execz .LBB460_6
; %bb.5:
	s_waitcnt vmcnt(0) lgkmcnt(0)
	v_cmp_neq_f64_e32 vcc_lo, 1.0, v[5:6]
	v_cmp_neq_f64_e64 s0, 0, v[7:8]
	s_delay_alu instid0(VALU_DEP_1) | instskip(NEXT) | instid1(SALU_CYCLE_1)
	s_or_b32 s0, vcc_lo, s0
	s_or_not1_b32 s0, s0, exec_lo
.LBB460_6:
	s_or_b32 exec_lo, exec_lo, s1
	s_and_saveexec_b32 s1, s0
	s_cbranch_execz .LBB460_43
; %bb.7:
	s_clause 0x1
	s_load_b128 s[4:7], s[2:3], 0x20
	s_load_b64 s[8:9], s[2:3], 0x30
	s_waitcnt lgkmcnt(0)
	s_cmp_eq_u64 s[4:5], 0
	s_cbranch_scc1 .LBB460_9
; %bb.8:
	s_ashr_i32 s13, s12, 31
	s_delay_alu instid0(SALU_CYCLE_1) | instskip(NEXT) | instid1(SALU_CYCLE_1)
	s_lshl_b64 s[0:1], s[12:13], 2
	s_add_u32 s0, s4, s0
	s_addc_u32 s1, s5, s1
	s_load_b32 s0, s[0:1], 0x0
	s_waitcnt lgkmcnt(0)
	s_sub_i32 s12, s0, s14
.LBB460_9:
	s_load_b32 s1, s[2:3], 0x4
	v_mul_u32_u24_e32 v0, 0x8d4, v4
	v_mov_b32_e32 v2, 0
	v_mov_b32_e32 v3, 0
	s_delay_alu instid0(VALU_DEP_3) | instskip(NEXT) | instid1(VALU_DEP_1)
	v_lshrrev_b32_e32 v13, 16, v0
	v_mul_lo_u16 v0, v13, 29
	s_delay_alu instid0(VALU_DEP_1) | instskip(NEXT) | instid1(VALU_DEP_4)
	v_sub_nc_u16 v16, v4, v0
	v_dual_mov_b32 v0, v2 :: v_dual_mov_b32 v1, v3
	s_waitcnt lgkmcnt(0)
	s_cmp_eq_u32 s1, 1
	s_cselect_b32 s0, -1, 0
	s_cmp_lg_u32 s1, 1
	s_cselect_b32 s20, -1, 0
	s_ashr_i32 s13, s12, 31
	s_delay_alu instid0(SALU_CYCLE_1) | instskip(NEXT) | instid1(SALU_CYCLE_1)
	s_lshl_b64 s[4:5], s[12:13], 3
	s_add_u32 s6, s6, s4
	s_addc_u32 s7, s7, s5
	s_add_u32 s1, s6, 8
	s_addc_u32 s10, s7, 0
	s_add_u32 s4, s8, s4
	s_addc_u32 s5, s9, s5
	s_cmp_eq_u64 s[8:9], 0
	s_load_b64 s[8:9], s[2:3], 0x60
	s_cselect_b32 s5, s10, s5
	s_cselect_b32 s4, s1, s4
	s_load_b64 s[18:19], s[6:7], 0x0
	s_load_b64 s[10:11], s[4:5], 0x0
	s_waitcnt lgkmcnt(0)
	v_cmp_ge_i64_e64 s1, s[18:19], s[10:11]
	s_delay_alu instid0(VALU_DEP_1)
	s_and_b32 vcc_lo, exec_lo, s1
	s_cbranch_vccnz .LBB460_14
; %bb.10:
	s_clause 0x1
	s_load_b128 s[4:7], s[2:3], 0x38
	s_load_b64 s[2:3], s[2:3], 0x48
	s_sub_u32 s10, s10, s14
	s_subb_u32 s11, s11, 0
	s_sub_u32 s16, s18, s14
	s_subb_u32 s17, s19, 0
	v_and_b32_e32 v0, 0xffff, v16
	v_dual_mov_b32 v2, 0 :: v_dual_and_b32 v1, 0xffff, v13
	v_dual_mov_b32 v3, 0 :: v_dual_lshlrev_b32 v14, 3, v4
	s_mul_hi_u32 s1, s16, 0x1a48
	s_mul_i32 s21, s17, 0x1a48
	s_mul_i32 s13, s16, 0x1a48
	s_add_i32 s1, s1, s21
	s_mov_b32 s15, 0
	v_cndmask_b32_e64 v13, v0, v1, s0
	v_dual_mov_b32 v0, v2 :: v_dual_mov_b32 v1, v3
	s_waitcnt lgkmcnt(0)
	s_add_u32 s13, s6, s13
	s_addc_u32 s21, s7, s1
	s_lshl_b64 s[0:1], s[18:19], 2
	s_lshl_b64 s[6:7], s[14:15], 2
	v_add_co_u32 v14, s13, s13, v14
	s_delay_alu instid0(VALU_DEP_1)
	v_add_co_ci_u32_e64 v15, null, s21, 0, s13
	s_sub_u32 s0, s0, s6
	s_subb_u32 s1, s1, s7
	s_add_u32 s0, s4, s0
	s_addc_u32 s1, s5, s1
	s_set_inst_prefetch_distance 0x1
	s_branch .LBB460_12
	.p2align	6
.LBB460_11:                             ;   in Loop: Header=BB460_12 Depth=1
	s_add_u32 s16, s16, 1
	s_addc_u32 s17, s17, 0
	s_add_u32 s0, s0, 4
	v_cmp_lt_i64_e64 s4, s[16:17], s[10:11]
	s_addc_u32 s1, s1, 0
	s_delay_alu instid0(VALU_DEP_1)
	s_and_b32 vcc_lo, exec_lo, s4
	s_cbranch_vccz .LBB460_14
.LBB460_12:                             ; =>This Inner Loop Header: Depth=1
	v_cmp_ge_i64_e64 s4, s[16:17], s[10:11]
	s_delay_alu instid0(VALU_DEP_1)
	s_and_b32 vcc_lo, exec_lo, s4
	s_cbranch_vccnz .LBB460_11
; %bb.13:                               ;   in Loop: Header=BB460_12 Depth=1
	s_load_b32 s4, s[0:1], 0x0
	s_waitcnt lgkmcnt(0)
	s_sub_i32 s4, s4, s14
	s_delay_alu instid0(SALU_CYCLE_1) | instskip(NEXT) | instid1(VALU_DEP_1)
	v_mad_u64_u32 v[17:18], null, s4, 29, v[13:14]
	v_ashrrev_i32_e32 v18, 31, v17
	s_delay_alu instid0(VALU_DEP_1) | instskip(NEXT) | instid1(VALU_DEP_1)
	v_lshlrev_b64 v[17:18], 4, v[17:18]
	v_add_co_u32 v17, vcc_lo, s2, v17
	s_delay_alu instid0(VALU_DEP_2)
	v_add_co_ci_u32_e32 v18, vcc_lo, s3, v18, vcc_lo
	global_load_b64 v[21:22], v[14:15], off
	global_load_b128 v[17:20], v[17:18], off
	v_add_co_u32 v14, vcc_lo, 0x1a48, v14
	v_add_co_ci_u32_e32 v15, vcc_lo, 0, v15, vcc_lo
	s_waitcnt vmcnt(0)
	v_fma_f64 v[0:1], v[21:22], v[17:18], v[0:1]
	v_fma_f64 v[2:3], v[17:18], 0, v[2:3]
	s_delay_alu instid0(VALU_DEP_2) | instskip(NEXT) | instid1(VALU_DEP_2)
	v_fma_f64 v[0:1], 0x80000000, v[19:20], v[0:1]
	v_fma_f64 v[2:3], v[21:22], v[19:20], v[2:3]
	s_branch .LBB460_11
.LBB460_14:
	s_set_inst_prefetch_distance 0x2
	v_lshlrev_b32_e32 v17, 4, v4
	s_and_b32 vcc_lo, exec_lo, s20
	ds_store_b128 v17, v[0:3]
	s_waitcnt vmcnt(0) lgkmcnt(0)
	s_barrier
	buffer_gl0_inv
	s_cbranch_vccz .LBB460_26
; %bb.15:
	s_mov_b32 s0, exec_lo
	v_cmpx_gt_u16_e32 13, v16
	s_cbranch_execz .LBB460_17
; %bb.16:
	ds_load_b128 v[18:21], v17 offset:256
	ds_load_b128 v[22:25], v17
	s_waitcnt lgkmcnt(0)
	v_add_f64 v[18:19], v[18:19], v[22:23]
	v_add_f64 v[20:21], v[20:21], v[24:25]
	ds_store_b128 v17, v[18:21]
.LBB460_17:
	s_or_b32 exec_lo, exec_lo, s0
	s_delay_alu instid0(SALU_CYCLE_1)
	s_mov_b32 s0, exec_lo
	s_waitcnt lgkmcnt(0)
	s_barrier
	buffer_gl0_inv
	v_cmpx_gt_u16_e32 8, v16
	s_cbranch_execz .LBB460_19
; %bb.18:
	ds_load_b128 v[18:21], v17 offset:128
	ds_load_b128 v[22:25], v17
	s_waitcnt lgkmcnt(0)
	v_add_f64 v[18:19], v[18:19], v[22:23]
	v_add_f64 v[20:21], v[20:21], v[24:25]
	ds_store_b128 v17, v[18:21]
.LBB460_19:
	s_or_b32 exec_lo, exec_lo, s0
	s_delay_alu instid0(SALU_CYCLE_1)
	s_mov_b32 s0, exec_lo
	s_waitcnt lgkmcnt(0)
	s_barrier
	buffer_gl0_inv
	;; [unrolled: 16-line block ×3, first 2 shown]
	v_cmpx_gt_u16_e32 2, v16
	s_cbranch_execz .LBB460_23
; %bb.22:
	ds_load_b128 v[13:16], v17
	ds_load_b128 v[18:21], v17 offset:32
	s_waitcnt lgkmcnt(0)
	v_add_f64 v[13:14], v[18:19], v[13:14]
	v_add_f64 v[15:16], v[20:21], v[15:16]
	ds_store_b128 v17, v[13:16]
.LBB460_23:
	s_or_b32 exec_lo, exec_lo, s0
	v_dual_mov_b32 v16, v3 :: v_dual_mov_b32 v15, v2
	v_dual_mov_b32 v14, v1 :: v_dual_mov_b32 v13, v0
	s_mov_b32 s0, exec_lo
	s_waitcnt lgkmcnt(0)
	s_barrier
	buffer_gl0_inv
	v_cmpx_gt_u32_e32 29, v4
	s_cbranch_execz .LBB460_25
; %bb.24:
	v_mul_u32_u24_e32 v13, 29, v4
	s_delay_alu instid0(VALU_DEP_1)
	v_lshlrev_b32_e32 v18, 4, v13
	ds_load_b128 v[13:16], v18
	ds_load_b128 v[18:21], v18 offset:16
	s_waitcnt lgkmcnt(0)
	v_add_f64 v[13:14], v[18:19], v[13:14]
	v_add_f64 v[15:16], v[20:21], v[15:16]
.LBB460_25:
	s_or_b32 exec_lo, exec_lo, s0
	s_branch .LBB460_38
.LBB460_26:
                                        ; implicit-def: $vgpr15_vgpr16
                                        ; implicit-def: $vgpr13_vgpr14
	s_cbranch_execz .LBB460_38
; %bb.27:
	s_mov_b32 s0, exec_lo
	v_cmpx_gt_u32_e32 0x179, v4
	s_cbranch_execz .LBB460_29
; %bb.28:
	ds_load_b128 v[13:16], v17 offset:7424
	ds_load_b128 v[18:21], v17
	s_waitcnt lgkmcnt(0)
	v_add_f64 v[13:14], v[13:14], v[18:19]
	v_add_f64 v[15:16], v[15:16], v[20:21]
	ds_store_b128 v17, v[13:16]
.LBB460_29:
	s_or_b32 exec_lo, exec_lo, s0
	s_delay_alu instid0(SALU_CYCLE_1)
	s_mov_b32 s0, exec_lo
	s_waitcnt lgkmcnt(0)
	s_barrier
	buffer_gl0_inv
	v_cmpx_gt_u32_e32 0xe8, v4
	s_cbranch_execz .LBB460_31
; %bb.30:
	ds_load_b128 v[13:16], v17 offset:3712
	ds_load_b128 v[18:21], v17
	s_waitcnt lgkmcnt(0)
	v_add_f64 v[13:14], v[13:14], v[18:19]
	v_add_f64 v[15:16], v[15:16], v[20:21]
	ds_store_b128 v17, v[13:16]
.LBB460_31:
	s_or_b32 exec_lo, exec_lo, s0
	s_delay_alu instid0(SALU_CYCLE_1)
	s_mov_b32 s0, exec_lo
	s_waitcnt lgkmcnt(0)
	s_barrier
	buffer_gl0_inv
	;; [unrolled: 16-line block ×3, first 2 shown]
	v_cmpx_gt_u32_e32 58, v4
	s_cbranch_execz .LBB460_35
; %bb.34:
	ds_load_b128 v[13:16], v17 offset:928
	ds_load_b128 v[18:21], v17
	s_waitcnt lgkmcnt(0)
	v_add_f64 v[13:14], v[13:14], v[18:19]
	v_add_f64 v[15:16], v[15:16], v[20:21]
	ds_store_b128 v17, v[13:16]
.LBB460_35:
	s_or_b32 exec_lo, exec_lo, s0
	s_delay_alu instid0(SALU_CYCLE_1)
	s_mov_b32 s0, exec_lo
	s_waitcnt lgkmcnt(0)
	buffer_gl0_inv
	v_cmpx_gt_u32_e32 29, v4
	s_cbranch_execz .LBB460_37
; %bb.36:
	ds_load_b128 v[0:3], v17 offset:464
	ds_load_b128 v[13:16], v17
	s_waitcnt lgkmcnt(0)
	v_add_f64 v[0:1], v[0:1], v[13:14]
	v_add_f64 v[2:3], v[2:3], v[15:16]
.LBB460_37:
	s_or_b32 exec_lo, exec_lo, s0
	s_delay_alu instid0(VALU_DEP_1) | instskip(NEXT) | instid1(VALU_DEP_3)
	v_dual_mov_b32 v16, v3 :: v_dual_mov_b32 v15, v2
	v_dual_mov_b32 v14, v1 :: v_dual_mov_b32 v13, v0
.LBB460_38:
	v_cmp_gt_u32_e32 vcc_lo, 29, v4
	s_and_b32 exec_lo, exec_lo, vcc_lo
	s_cbranch_execz .LBB460_43
; %bb.39:
	s_delay_alu instid0(VALU_DEP_2) | instskip(SKIP_3) | instid1(VALU_DEP_4)
	v_mul_f64 v[0:1], v[15:16], -v[11:12]
	v_mul_f64 v[2:3], v[9:10], v[15:16]
	v_cmp_eq_f64_e32 vcc_lo, 0, v[5:6]
	v_cmp_eq_f64_e64 s0, 0, v[7:8]
	v_fma_f64 v[0:1], v[9:10], v[13:14], v[0:1]
	s_delay_alu instid0(VALU_DEP_4) | instskip(NEXT) | instid1(VALU_DEP_3)
	v_fma_f64 v[2:3], v[11:12], v[13:14], v[2:3]
	s_and_b32 s0, vcc_lo, s0
	s_delay_alu instid0(SALU_CYCLE_1) | instskip(NEXT) | instid1(SALU_CYCLE_1)
	s_and_saveexec_b32 s1, s0
	s_xor_b32 s0, exec_lo, s1
	s_cbranch_execz .LBB460_41
; %bb.40:
	v_mad_u64_u32 v[5:6], null, s12, 29, v[4:5]
	v_mov_b32_e32 v6, 0
                                        ; implicit-def: $vgpr7_vgpr8
	s_delay_alu instid0(VALU_DEP_1) | instskip(NEXT) | instid1(VALU_DEP_1)
	v_lshlrev_b64 v[4:5], 4, v[5:6]
	v_add_co_u32 v4, vcc_lo, s8, v4
	s_delay_alu instid0(VALU_DEP_2)
	v_add_co_ci_u32_e32 v5, vcc_lo, s9, v5, vcc_lo
	global_store_b128 v[4:5], v[0:3], off
                                        ; implicit-def: $vgpr4
                                        ; implicit-def: $vgpr5_vgpr6
                                        ; implicit-def: $vgpr0_vgpr1
.LBB460_41:
	s_and_not1_saveexec_b32 s0, s0
	s_cbranch_execz .LBB460_43
; %bb.42:
	v_mad_u64_u32 v[9:10], null, s12, 29, v[4:5]
	v_mov_b32_e32 v10, 0
	s_delay_alu instid0(VALU_DEP_1) | instskip(NEXT) | instid1(VALU_DEP_1)
	v_lshlrev_b64 v[9:10], 4, v[9:10]
	v_add_co_u32 v13, vcc_lo, s8, v9
	s_delay_alu instid0(VALU_DEP_2) | instskip(SKIP_4) | instid1(VALU_DEP_2)
	v_add_co_ci_u32_e32 v14, vcc_lo, s9, v10, vcc_lo
	global_load_b128 v[9:12], v[13:14], off
	s_waitcnt vmcnt(0)
	v_fma_f64 v[0:1], v[5:6], v[9:10], v[0:1]
	v_fma_f64 v[2:3], v[7:8], v[9:10], v[2:3]
	v_fma_f64 v[0:1], -v[7:8], v[11:12], v[0:1]
	s_delay_alu instid0(VALU_DEP_2)
	v_fma_f64 v[2:3], v[5:6], v[11:12], v[2:3]
	global_store_b128 v[13:14], v[0:3], off
.LBB460_43:
	s_nop 0
	s_sendmsg sendmsg(MSG_DEALLOC_VGPRS)
	s_endpgm
	.section	.rodata,"a",@progbits
	.p2align	6, 0x0
	.amdhsa_kernel _ZN9rocsparseL20bsrxmvn_17_32_kernelILj29E21rocsparse_complex_numIdElidS2_S2_EEvT2_20rocsparse_direction_NS_24const_host_device_scalarIT0_EES3_PKS3_PKT1_SC_S9_PKT3_PKT4_S7_PT5_21rocsparse_index_base_b
		.amdhsa_group_segment_fixed_size 26912
		.amdhsa_private_segment_fixed_size 0
		.amdhsa_kernarg_size 112
		.amdhsa_user_sgpr_count 15
		.amdhsa_user_sgpr_dispatch_ptr 1
		.amdhsa_user_sgpr_queue_ptr 0
		.amdhsa_user_sgpr_kernarg_segment_ptr 1
		.amdhsa_user_sgpr_dispatch_id 0
		.amdhsa_user_sgpr_private_segment_size 0
		.amdhsa_wavefront_size32 1
		.amdhsa_uses_dynamic_stack 0
		.amdhsa_enable_private_segment 0
		.amdhsa_system_sgpr_workgroup_id_x 1
		.amdhsa_system_sgpr_workgroup_id_y 0
		.amdhsa_system_sgpr_workgroup_id_z 0
		.amdhsa_system_sgpr_workgroup_info 0
		.amdhsa_system_vgpr_workitem_id 2
		.amdhsa_next_free_vgpr 26
		.amdhsa_next_free_sgpr 22
		.amdhsa_reserve_vcc 1
		.amdhsa_float_round_mode_32 0
		.amdhsa_float_round_mode_16_64 0
		.amdhsa_float_denorm_mode_32 3
		.amdhsa_float_denorm_mode_16_64 3
		.amdhsa_dx10_clamp 1
		.amdhsa_ieee_mode 1
		.amdhsa_fp16_overflow 0
		.amdhsa_workgroup_processor_mode 1
		.amdhsa_memory_ordered 1
		.amdhsa_forward_progress 0
		.amdhsa_shared_vgpr_count 0
		.amdhsa_exception_fp_ieee_invalid_op 0
		.amdhsa_exception_fp_denorm_src 0
		.amdhsa_exception_fp_ieee_div_zero 0
		.amdhsa_exception_fp_ieee_overflow 0
		.amdhsa_exception_fp_ieee_underflow 0
		.amdhsa_exception_fp_ieee_inexact 0
		.amdhsa_exception_int_div_zero 0
	.end_amdhsa_kernel
	.section	.text._ZN9rocsparseL20bsrxmvn_17_32_kernelILj29E21rocsparse_complex_numIdElidS2_S2_EEvT2_20rocsparse_direction_NS_24const_host_device_scalarIT0_EES3_PKS3_PKT1_SC_S9_PKT3_PKT4_S7_PT5_21rocsparse_index_base_b,"axG",@progbits,_ZN9rocsparseL20bsrxmvn_17_32_kernelILj29E21rocsparse_complex_numIdElidS2_S2_EEvT2_20rocsparse_direction_NS_24const_host_device_scalarIT0_EES3_PKS3_PKT1_SC_S9_PKT3_PKT4_S7_PT5_21rocsparse_index_base_b,comdat
.Lfunc_end460:
	.size	_ZN9rocsparseL20bsrxmvn_17_32_kernelILj29E21rocsparse_complex_numIdElidS2_S2_EEvT2_20rocsparse_direction_NS_24const_host_device_scalarIT0_EES3_PKS3_PKT1_SC_S9_PKT3_PKT4_S7_PT5_21rocsparse_index_base_b, .Lfunc_end460-_ZN9rocsparseL20bsrxmvn_17_32_kernelILj29E21rocsparse_complex_numIdElidS2_S2_EEvT2_20rocsparse_direction_NS_24const_host_device_scalarIT0_EES3_PKS3_PKT1_SC_S9_PKT3_PKT4_S7_PT5_21rocsparse_index_base_b
                                        ; -- End function
	.section	.AMDGPU.csdata,"",@progbits
; Kernel info:
; codeLenInByte = 2072
; NumSgprs: 24
; NumVgprs: 26
; ScratchSize: 0
; MemoryBound: 0
; FloatMode: 240
; IeeeMode: 1
; LDSByteSize: 26912 bytes/workgroup (compile time only)
; SGPRBlocks: 2
; VGPRBlocks: 3
; NumSGPRsForWavesPerEU: 24
; NumVGPRsForWavesPerEU: 26
; Occupancy: 14
; WaveLimiterHint : 1
; COMPUTE_PGM_RSRC2:SCRATCH_EN: 0
; COMPUTE_PGM_RSRC2:USER_SGPR: 15
; COMPUTE_PGM_RSRC2:TRAP_HANDLER: 0
; COMPUTE_PGM_RSRC2:TGID_X_EN: 1
; COMPUTE_PGM_RSRC2:TGID_Y_EN: 0
; COMPUTE_PGM_RSRC2:TGID_Z_EN: 0
; COMPUTE_PGM_RSRC2:TIDIG_COMP_CNT: 2
	.section	.text._ZN9rocsparseL20bsrxmvn_17_32_kernelILj30E21rocsparse_complex_numIdElidS2_S2_EEvT2_20rocsparse_direction_NS_24const_host_device_scalarIT0_EES3_PKS3_PKT1_SC_S9_PKT3_PKT4_S7_PT5_21rocsparse_index_base_b,"axG",@progbits,_ZN9rocsparseL20bsrxmvn_17_32_kernelILj30E21rocsparse_complex_numIdElidS2_S2_EEvT2_20rocsparse_direction_NS_24const_host_device_scalarIT0_EES3_PKS3_PKT1_SC_S9_PKT3_PKT4_S7_PT5_21rocsparse_index_base_b,comdat
	.globl	_ZN9rocsparseL20bsrxmvn_17_32_kernelILj30E21rocsparse_complex_numIdElidS2_S2_EEvT2_20rocsparse_direction_NS_24const_host_device_scalarIT0_EES3_PKS3_PKT1_SC_S9_PKT3_PKT4_S7_PT5_21rocsparse_index_base_b ; -- Begin function _ZN9rocsparseL20bsrxmvn_17_32_kernelILj30E21rocsparse_complex_numIdElidS2_S2_EEvT2_20rocsparse_direction_NS_24const_host_device_scalarIT0_EES3_PKS3_PKT1_SC_S9_PKT3_PKT4_S7_PT5_21rocsparse_index_base_b
	.p2align	8
	.type	_ZN9rocsparseL20bsrxmvn_17_32_kernelILj30E21rocsparse_complex_numIdElidS2_S2_EEvT2_20rocsparse_direction_NS_24const_host_device_scalarIT0_EES3_PKS3_PKT1_SC_S9_PKT3_PKT4_S7_PT5_21rocsparse_index_base_b,@function
_ZN9rocsparseL20bsrxmvn_17_32_kernelILj30E21rocsparse_complex_numIdElidS2_S2_EEvT2_20rocsparse_direction_NS_24const_host_device_scalarIT0_EES3_PKS3_PKT1_SC_S9_PKT3_PKT4_S7_PT5_21rocsparse_index_base_b: ; @_ZN9rocsparseL20bsrxmvn_17_32_kernelILj30E21rocsparse_complex_numIdElidS2_S2_EEvT2_20rocsparse_direction_NS_24const_host_device_scalarIT0_EES3_PKS3_PKT1_SC_S9_PKT3_PKT4_S7_PT5_21rocsparse_index_base_b
; %bb.0:
	s_mov_b32 s12, s15
	s_clause 0x1
	s_load_b64 s[14:15], s[2:3], 0x68
	s_load_b128 s[4:7], s[2:3], 0x8
	s_load_b64 s[16:17], s[0:1], 0x4
	s_mov_b64 s[0:1], src_shared_base
	v_and_b32_e32 v4, 0x3ff, v0
	s_load_b128 s[8:11], s[2:3], 0x50
	v_bfe_u32 v2, v0, 10, 10
	v_bfe_u32 v0, v0, 20, 10
	s_waitcnt lgkmcnt(0)
	s_bitcmp1_b32 s15, 0
	v_mov_b32_e32 v12, s7
	s_cselect_b32 s0, -1, 0
	v_mov_b32_e32 v11, s6
	s_and_b32 vcc_lo, s0, exec_lo
	s_cselect_b32 s13, s1, s5
	s_lshr_b32 s15, s16, 16
	v_mov_b32_e32 v6, s13
	s_mul_i32 s15, s15, s17
	s_xor_b32 s6, s0, -1
	v_mul_lo_u32 v1, s15, v4
	s_delay_alu instid0(VALU_DEP_1) | instskip(SKIP_1) | instid1(VALU_DEP_2)
	v_mad_u32_u24 v1, v2, s17, v1
	v_dual_mov_b32 v2, s8 :: v_dual_mov_b32 v3, s9
	v_add_lshl_u32 v7, v1, v0, 3
	v_dual_mov_b32 v0, s4 :: v_dual_mov_b32 v1, s5
	ds_store_b64 v7, v[0:1] offset:21600
	ds_store_b64 v7, v[2:3] offset:14400
	v_add_nc_u32_e32 v5, 0x5460, v7
	v_add_nc_u32_e32 v0, 0x3840, v7
	s_delay_alu instid0(VALU_DEP_2)
	v_cndmask_b32_e64 v5, s4, v5, s0
	flat_load_b64 v[9:10], v[5:6]
	s_cbranch_vccnz .LBB461_2
; %bb.1:
	v_dual_mov_b32 v1, s4 :: v_dual_mov_b32 v2, s5
	flat_load_b64 v[11:12], v[1:2] offset:8
.LBB461_2:
	s_and_b32 s4, s0, exec_lo
	s_cselect_b32 s1, s1, s9
	v_cndmask_b32_e64 v0, s8, v0, s0
	v_mov_b32_e32 v1, s1
	v_dual_mov_b32 v7, s10 :: v_dual_mov_b32 v8, s11
	s_and_not1_b32 vcc_lo, exec_lo, s6
	flat_load_b64 v[5:6], v[0:1]
	s_cbranch_vccnz .LBB461_4
; %bb.3:
	v_dual_mov_b32 v0, s8 :: v_dual_mov_b32 v1, s9
	flat_load_b64 v[7:8], v[0:1] offset:8
.LBB461_4:
	s_waitcnt vmcnt(1) lgkmcnt(1)
	v_cmp_eq_f64_e32 vcc_lo, 0, v[9:10]
	v_cmp_eq_f64_e64 s0, 0, v[11:12]
	s_delay_alu instid0(VALU_DEP_1)
	s_and_b32 s4, vcc_lo, s0
	s_mov_b32 s0, -1
	s_and_saveexec_b32 s1, s4
	s_cbranch_execz .LBB461_6
; %bb.5:
	s_waitcnt vmcnt(0) lgkmcnt(0)
	v_cmp_neq_f64_e32 vcc_lo, 1.0, v[5:6]
	v_cmp_neq_f64_e64 s0, 0, v[7:8]
	s_delay_alu instid0(VALU_DEP_1) | instskip(NEXT) | instid1(SALU_CYCLE_1)
	s_or_b32 s0, vcc_lo, s0
	s_or_not1_b32 s0, s0, exec_lo
.LBB461_6:
	s_or_b32 exec_lo, exec_lo, s1
	s_and_saveexec_b32 s1, s0
	s_cbranch_execz .LBB461_43
; %bb.7:
	s_clause 0x1
	s_load_b128 s[4:7], s[2:3], 0x20
	s_load_b64 s[8:9], s[2:3], 0x30
	s_waitcnt lgkmcnt(0)
	s_cmp_eq_u64 s[4:5], 0
	s_cbranch_scc1 .LBB461_9
; %bb.8:
	s_ashr_i32 s13, s12, 31
	s_delay_alu instid0(SALU_CYCLE_1) | instskip(NEXT) | instid1(SALU_CYCLE_1)
	s_lshl_b64 s[0:1], s[12:13], 2
	s_add_u32 s0, s4, s0
	s_addc_u32 s1, s5, s1
	s_load_b32 s0, s[0:1], 0x0
	s_waitcnt lgkmcnt(0)
	s_sub_i32 s12, s0, s14
.LBB461_9:
	s_load_b32 s1, s[2:3], 0x4
	v_mul_u32_u24_e32 v0, 0x889, v4
	v_mov_b32_e32 v2, 0
	v_mov_b32_e32 v3, 0
	s_delay_alu instid0(VALU_DEP_3) | instskip(NEXT) | instid1(VALU_DEP_1)
	v_lshrrev_b32_e32 v13, 16, v0
	v_mul_lo_u16 v0, v13, 30
	s_delay_alu instid0(VALU_DEP_1) | instskip(NEXT) | instid1(VALU_DEP_4)
	v_sub_nc_u16 v16, v4, v0
	v_dual_mov_b32 v0, v2 :: v_dual_mov_b32 v1, v3
	s_waitcnt lgkmcnt(0)
	s_cmp_eq_u32 s1, 1
	s_cselect_b32 s0, -1, 0
	s_cmp_lg_u32 s1, 1
	s_cselect_b32 s20, -1, 0
	s_ashr_i32 s13, s12, 31
	s_delay_alu instid0(SALU_CYCLE_1) | instskip(NEXT) | instid1(SALU_CYCLE_1)
	s_lshl_b64 s[4:5], s[12:13], 3
	s_add_u32 s6, s6, s4
	s_addc_u32 s7, s7, s5
	s_add_u32 s1, s6, 8
	s_addc_u32 s10, s7, 0
	;; [unrolled: 2-line block ×3, first 2 shown]
	s_cmp_eq_u64 s[8:9], 0
	s_load_b64 s[8:9], s[2:3], 0x60
	s_cselect_b32 s5, s10, s5
	s_cselect_b32 s4, s1, s4
	s_load_b64 s[18:19], s[6:7], 0x0
	s_load_b64 s[10:11], s[4:5], 0x0
	s_waitcnt lgkmcnt(0)
	v_cmp_ge_i64_e64 s1, s[18:19], s[10:11]
	s_delay_alu instid0(VALU_DEP_1)
	s_and_b32 vcc_lo, exec_lo, s1
	s_cbranch_vccnz .LBB461_14
; %bb.10:
	s_clause 0x1
	s_load_b128 s[4:7], s[2:3], 0x38
	s_load_b64 s[2:3], s[2:3], 0x48
	s_sub_u32 s10, s10, s14
	s_subb_u32 s11, s11, 0
	s_sub_u32 s16, s18, s14
	s_subb_u32 s17, s19, 0
	v_and_b32_e32 v0, 0xffff, v16
	v_dual_mov_b32 v2, 0 :: v_dual_and_b32 v1, 0xffff, v13
	v_dual_mov_b32 v3, 0 :: v_dual_lshlrev_b32 v14, 3, v4
	s_mul_hi_u32 s1, s16, 0x1c20
	s_mul_i32 s21, s17, 0x1c20
	s_mul_i32 s13, s16, 0x1c20
	s_add_i32 s1, s1, s21
	s_mov_b32 s15, 0
	v_cndmask_b32_e64 v13, v0, v1, s0
	v_dual_mov_b32 v0, v2 :: v_dual_mov_b32 v1, v3
	s_waitcnt lgkmcnt(0)
	s_add_u32 s13, s6, s13
	s_addc_u32 s21, s7, s1
	s_lshl_b64 s[0:1], s[18:19], 2
	s_lshl_b64 s[6:7], s[14:15], 2
	v_add_co_u32 v14, s13, s13, v14
	s_delay_alu instid0(VALU_DEP_1)
	v_add_co_ci_u32_e64 v15, null, s21, 0, s13
	s_sub_u32 s0, s0, s6
	s_subb_u32 s1, s1, s7
	s_add_u32 s0, s4, s0
	s_addc_u32 s1, s5, s1
	s_set_inst_prefetch_distance 0x1
	s_branch .LBB461_12
	.p2align	6
.LBB461_11:                             ;   in Loop: Header=BB461_12 Depth=1
	s_add_u32 s16, s16, 1
	s_addc_u32 s17, s17, 0
	s_add_u32 s0, s0, 4
	v_cmp_lt_i64_e64 s4, s[16:17], s[10:11]
	s_addc_u32 s1, s1, 0
	s_delay_alu instid0(VALU_DEP_1)
	s_and_b32 vcc_lo, exec_lo, s4
	s_cbranch_vccz .LBB461_14
.LBB461_12:                             ; =>This Inner Loop Header: Depth=1
	v_cmp_ge_i64_e64 s4, s[16:17], s[10:11]
	s_delay_alu instid0(VALU_DEP_1)
	s_and_b32 vcc_lo, exec_lo, s4
	s_cbranch_vccnz .LBB461_11
; %bb.13:                               ;   in Loop: Header=BB461_12 Depth=1
	s_load_b32 s4, s[0:1], 0x0
	s_waitcnt lgkmcnt(0)
	s_sub_i32 s4, s4, s14
	s_delay_alu instid0(SALU_CYCLE_1) | instskip(NEXT) | instid1(VALU_DEP_1)
	v_mad_u64_u32 v[17:18], null, s4, 30, v[13:14]
	v_ashrrev_i32_e32 v18, 31, v17
	s_delay_alu instid0(VALU_DEP_1) | instskip(NEXT) | instid1(VALU_DEP_1)
	v_lshlrev_b64 v[17:18], 4, v[17:18]
	v_add_co_u32 v17, vcc_lo, s2, v17
	s_delay_alu instid0(VALU_DEP_2)
	v_add_co_ci_u32_e32 v18, vcc_lo, s3, v18, vcc_lo
	global_load_b64 v[21:22], v[14:15], off
	global_load_b128 v[17:20], v[17:18], off
	v_add_co_u32 v14, vcc_lo, 0x1c20, v14
	v_add_co_ci_u32_e32 v15, vcc_lo, 0, v15, vcc_lo
	s_waitcnt vmcnt(0)
	v_fma_f64 v[0:1], v[21:22], v[17:18], v[0:1]
	v_fma_f64 v[2:3], v[17:18], 0, v[2:3]
	s_delay_alu instid0(VALU_DEP_2) | instskip(NEXT) | instid1(VALU_DEP_2)
	v_fma_f64 v[0:1], 0x80000000, v[19:20], v[0:1]
	v_fma_f64 v[2:3], v[21:22], v[19:20], v[2:3]
	s_branch .LBB461_11
.LBB461_14:
	s_set_inst_prefetch_distance 0x2
	v_lshlrev_b32_e32 v17, 4, v4
	s_and_b32 vcc_lo, exec_lo, s20
	ds_store_b128 v17, v[0:3]
	s_waitcnt vmcnt(0) lgkmcnt(0)
	s_barrier
	buffer_gl0_inv
	s_cbranch_vccz .LBB461_26
; %bb.15:
	s_mov_b32 s0, exec_lo
	v_cmpx_gt_u16_e32 14, v16
	s_cbranch_execz .LBB461_17
; %bb.16:
	ds_load_b128 v[18:21], v17 offset:256
	ds_load_b128 v[22:25], v17
	s_waitcnt lgkmcnt(0)
	v_add_f64 v[18:19], v[18:19], v[22:23]
	v_add_f64 v[20:21], v[20:21], v[24:25]
	ds_store_b128 v17, v[18:21]
.LBB461_17:
	s_or_b32 exec_lo, exec_lo, s0
	s_delay_alu instid0(SALU_CYCLE_1)
	s_mov_b32 s0, exec_lo
	s_waitcnt lgkmcnt(0)
	s_barrier
	buffer_gl0_inv
	v_cmpx_gt_u16_e32 8, v16
	s_cbranch_execz .LBB461_19
; %bb.18:
	ds_load_b128 v[18:21], v17 offset:128
	ds_load_b128 v[22:25], v17
	s_waitcnt lgkmcnt(0)
	v_add_f64 v[18:19], v[18:19], v[22:23]
	v_add_f64 v[20:21], v[20:21], v[24:25]
	ds_store_b128 v17, v[18:21]
.LBB461_19:
	s_or_b32 exec_lo, exec_lo, s0
	s_delay_alu instid0(SALU_CYCLE_1)
	s_mov_b32 s0, exec_lo
	s_waitcnt lgkmcnt(0)
	s_barrier
	buffer_gl0_inv
	v_cmpx_gt_u16_e32 4, v16
	s_cbranch_execz .LBB461_21
; %bb.20:
	ds_load_b128 v[18:21], v17 offset:64
	ds_load_b128 v[22:25], v17
	s_waitcnt lgkmcnt(0)
	v_add_f64 v[18:19], v[18:19], v[22:23]
	v_add_f64 v[20:21], v[20:21], v[24:25]
	ds_store_b128 v17, v[18:21]
.LBB461_21:
	s_or_b32 exec_lo, exec_lo, s0
	s_delay_alu instid0(SALU_CYCLE_1)
	s_mov_b32 s0, exec_lo
	s_waitcnt lgkmcnt(0)
	s_barrier
	buffer_gl0_inv
	v_cmpx_gt_u16_e32 2, v16
	s_cbranch_execz .LBB461_23
; %bb.22:
	ds_load_b128 v[13:16], v17
	ds_load_b128 v[18:21], v17 offset:32
	s_waitcnt lgkmcnt(0)
	v_add_f64 v[13:14], v[18:19], v[13:14]
	v_add_f64 v[15:16], v[20:21], v[15:16]
	ds_store_b128 v17, v[13:16]
.LBB461_23:
	s_or_b32 exec_lo, exec_lo, s0
	v_dual_mov_b32 v16, v3 :: v_dual_mov_b32 v15, v2
	v_dual_mov_b32 v14, v1 :: v_dual_mov_b32 v13, v0
	s_mov_b32 s0, exec_lo
	s_waitcnt lgkmcnt(0)
	s_barrier
	buffer_gl0_inv
	v_cmpx_gt_u32_e32 30, v4
	s_cbranch_execz .LBB461_25
; %bb.24:
	v_mul_u32_u24_e32 v13, 30, v4
	s_delay_alu instid0(VALU_DEP_1)
	v_lshlrev_b32_e32 v18, 4, v13
	ds_load_b128 v[13:16], v18
	ds_load_b128 v[18:21], v18 offset:16
	s_waitcnt lgkmcnt(0)
	v_add_f64 v[13:14], v[18:19], v[13:14]
	v_add_f64 v[15:16], v[20:21], v[15:16]
.LBB461_25:
	s_or_b32 exec_lo, exec_lo, s0
	s_branch .LBB461_38
.LBB461_26:
                                        ; implicit-def: $vgpr15_vgpr16
                                        ; implicit-def: $vgpr13_vgpr14
	s_cbranch_execz .LBB461_38
; %bb.27:
	s_mov_b32 s0, exec_lo
	v_cmpx_gt_u32_e32 0x1a4, v4
	s_cbranch_execz .LBB461_29
; %bb.28:
	ds_load_b128 v[13:16], v17 offset:7680
	ds_load_b128 v[18:21], v17
	s_waitcnt lgkmcnt(0)
	v_add_f64 v[13:14], v[13:14], v[18:19]
	v_add_f64 v[15:16], v[15:16], v[20:21]
	ds_store_b128 v17, v[13:16]
.LBB461_29:
	s_or_b32 exec_lo, exec_lo, s0
	s_delay_alu instid0(SALU_CYCLE_1)
	s_mov_b32 s0, exec_lo
	s_waitcnt lgkmcnt(0)
	s_barrier
	buffer_gl0_inv
	v_cmpx_gt_u32_e32 0xf0, v4
	s_cbranch_execz .LBB461_31
; %bb.30:
	ds_load_b128 v[13:16], v17 offset:3840
	ds_load_b128 v[18:21], v17
	s_waitcnt lgkmcnt(0)
	v_add_f64 v[13:14], v[13:14], v[18:19]
	v_add_f64 v[15:16], v[15:16], v[20:21]
	ds_store_b128 v17, v[13:16]
.LBB461_31:
	s_or_b32 exec_lo, exec_lo, s0
	s_delay_alu instid0(SALU_CYCLE_1)
	s_mov_b32 s0, exec_lo
	s_waitcnt lgkmcnt(0)
	s_barrier
	buffer_gl0_inv
	;; [unrolled: 16-line block ×3, first 2 shown]
	v_cmpx_gt_u32_e32 60, v4
	s_cbranch_execz .LBB461_35
; %bb.34:
	ds_load_b128 v[13:16], v17 offset:960
	ds_load_b128 v[18:21], v17
	s_waitcnt lgkmcnt(0)
	v_add_f64 v[13:14], v[13:14], v[18:19]
	v_add_f64 v[15:16], v[15:16], v[20:21]
	ds_store_b128 v17, v[13:16]
.LBB461_35:
	s_or_b32 exec_lo, exec_lo, s0
	s_delay_alu instid0(SALU_CYCLE_1)
	s_mov_b32 s0, exec_lo
	s_waitcnt lgkmcnt(0)
	buffer_gl0_inv
	v_cmpx_gt_u32_e32 30, v4
	s_cbranch_execz .LBB461_37
; %bb.36:
	ds_load_b128 v[0:3], v17 offset:480
	ds_load_b128 v[13:16], v17
	s_waitcnt lgkmcnt(0)
	v_add_f64 v[0:1], v[0:1], v[13:14]
	v_add_f64 v[2:3], v[2:3], v[15:16]
.LBB461_37:
	s_or_b32 exec_lo, exec_lo, s0
	s_delay_alu instid0(VALU_DEP_1) | instskip(NEXT) | instid1(VALU_DEP_3)
	v_dual_mov_b32 v16, v3 :: v_dual_mov_b32 v15, v2
	v_dual_mov_b32 v14, v1 :: v_dual_mov_b32 v13, v0
.LBB461_38:
	v_cmp_gt_u32_e32 vcc_lo, 30, v4
	s_and_b32 exec_lo, exec_lo, vcc_lo
	s_cbranch_execz .LBB461_43
; %bb.39:
	s_delay_alu instid0(VALU_DEP_2) | instskip(SKIP_3) | instid1(VALU_DEP_4)
	v_mul_f64 v[0:1], v[15:16], -v[11:12]
	v_mul_f64 v[2:3], v[9:10], v[15:16]
	v_cmp_eq_f64_e32 vcc_lo, 0, v[5:6]
	v_cmp_eq_f64_e64 s0, 0, v[7:8]
	v_fma_f64 v[0:1], v[9:10], v[13:14], v[0:1]
	s_delay_alu instid0(VALU_DEP_4) | instskip(NEXT) | instid1(VALU_DEP_3)
	v_fma_f64 v[2:3], v[11:12], v[13:14], v[2:3]
	s_and_b32 s0, vcc_lo, s0
	s_delay_alu instid0(SALU_CYCLE_1) | instskip(NEXT) | instid1(SALU_CYCLE_1)
	s_and_saveexec_b32 s1, s0
	s_xor_b32 s0, exec_lo, s1
	s_cbranch_execz .LBB461_41
; %bb.40:
	v_mad_u64_u32 v[5:6], null, s12, 30, v[4:5]
	v_mov_b32_e32 v6, 0
                                        ; implicit-def: $vgpr7_vgpr8
	s_delay_alu instid0(VALU_DEP_1) | instskip(NEXT) | instid1(VALU_DEP_1)
	v_lshlrev_b64 v[4:5], 4, v[5:6]
	v_add_co_u32 v4, vcc_lo, s8, v4
	s_delay_alu instid0(VALU_DEP_2)
	v_add_co_ci_u32_e32 v5, vcc_lo, s9, v5, vcc_lo
	global_store_b128 v[4:5], v[0:3], off
                                        ; implicit-def: $vgpr4
                                        ; implicit-def: $vgpr5_vgpr6
                                        ; implicit-def: $vgpr0_vgpr1
.LBB461_41:
	s_and_not1_saveexec_b32 s0, s0
	s_cbranch_execz .LBB461_43
; %bb.42:
	v_mad_u64_u32 v[9:10], null, s12, 30, v[4:5]
	v_mov_b32_e32 v10, 0
	s_delay_alu instid0(VALU_DEP_1) | instskip(NEXT) | instid1(VALU_DEP_1)
	v_lshlrev_b64 v[9:10], 4, v[9:10]
	v_add_co_u32 v13, vcc_lo, s8, v9
	s_delay_alu instid0(VALU_DEP_2) | instskip(SKIP_4) | instid1(VALU_DEP_2)
	v_add_co_ci_u32_e32 v14, vcc_lo, s9, v10, vcc_lo
	global_load_b128 v[9:12], v[13:14], off
	s_waitcnt vmcnt(0)
	v_fma_f64 v[0:1], v[5:6], v[9:10], v[0:1]
	v_fma_f64 v[2:3], v[7:8], v[9:10], v[2:3]
	v_fma_f64 v[0:1], -v[7:8], v[11:12], v[0:1]
	s_delay_alu instid0(VALU_DEP_2)
	v_fma_f64 v[2:3], v[5:6], v[11:12], v[2:3]
	global_store_b128 v[13:14], v[0:3], off
.LBB461_43:
	s_nop 0
	s_sendmsg sendmsg(MSG_DEALLOC_VGPRS)
	s_endpgm
	.section	.rodata,"a",@progbits
	.p2align	6, 0x0
	.amdhsa_kernel _ZN9rocsparseL20bsrxmvn_17_32_kernelILj30E21rocsparse_complex_numIdElidS2_S2_EEvT2_20rocsparse_direction_NS_24const_host_device_scalarIT0_EES3_PKS3_PKT1_SC_S9_PKT3_PKT4_S7_PT5_21rocsparse_index_base_b
		.amdhsa_group_segment_fixed_size 28800
		.amdhsa_private_segment_fixed_size 0
		.amdhsa_kernarg_size 112
		.amdhsa_user_sgpr_count 15
		.amdhsa_user_sgpr_dispatch_ptr 1
		.amdhsa_user_sgpr_queue_ptr 0
		.amdhsa_user_sgpr_kernarg_segment_ptr 1
		.amdhsa_user_sgpr_dispatch_id 0
		.amdhsa_user_sgpr_private_segment_size 0
		.amdhsa_wavefront_size32 1
		.amdhsa_uses_dynamic_stack 0
		.amdhsa_enable_private_segment 0
		.amdhsa_system_sgpr_workgroup_id_x 1
		.amdhsa_system_sgpr_workgroup_id_y 0
		.amdhsa_system_sgpr_workgroup_id_z 0
		.amdhsa_system_sgpr_workgroup_info 0
		.amdhsa_system_vgpr_workitem_id 2
		.amdhsa_next_free_vgpr 26
		.amdhsa_next_free_sgpr 22
		.amdhsa_reserve_vcc 1
		.amdhsa_float_round_mode_32 0
		.amdhsa_float_round_mode_16_64 0
		.amdhsa_float_denorm_mode_32 3
		.amdhsa_float_denorm_mode_16_64 3
		.amdhsa_dx10_clamp 1
		.amdhsa_ieee_mode 1
		.amdhsa_fp16_overflow 0
		.amdhsa_workgroup_processor_mode 1
		.amdhsa_memory_ordered 1
		.amdhsa_forward_progress 0
		.amdhsa_shared_vgpr_count 0
		.amdhsa_exception_fp_ieee_invalid_op 0
		.amdhsa_exception_fp_denorm_src 0
		.amdhsa_exception_fp_ieee_div_zero 0
		.amdhsa_exception_fp_ieee_overflow 0
		.amdhsa_exception_fp_ieee_underflow 0
		.amdhsa_exception_fp_ieee_inexact 0
		.amdhsa_exception_int_div_zero 0
	.end_amdhsa_kernel
	.section	.text._ZN9rocsparseL20bsrxmvn_17_32_kernelILj30E21rocsparse_complex_numIdElidS2_S2_EEvT2_20rocsparse_direction_NS_24const_host_device_scalarIT0_EES3_PKS3_PKT1_SC_S9_PKT3_PKT4_S7_PT5_21rocsparse_index_base_b,"axG",@progbits,_ZN9rocsparseL20bsrxmvn_17_32_kernelILj30E21rocsparse_complex_numIdElidS2_S2_EEvT2_20rocsparse_direction_NS_24const_host_device_scalarIT0_EES3_PKS3_PKT1_SC_S9_PKT3_PKT4_S7_PT5_21rocsparse_index_base_b,comdat
.Lfunc_end461:
	.size	_ZN9rocsparseL20bsrxmvn_17_32_kernelILj30E21rocsparse_complex_numIdElidS2_S2_EEvT2_20rocsparse_direction_NS_24const_host_device_scalarIT0_EES3_PKS3_PKT1_SC_S9_PKT3_PKT4_S7_PT5_21rocsparse_index_base_b, .Lfunc_end461-_ZN9rocsparseL20bsrxmvn_17_32_kernelILj30E21rocsparse_complex_numIdElidS2_S2_EEvT2_20rocsparse_direction_NS_24const_host_device_scalarIT0_EES3_PKS3_PKT1_SC_S9_PKT3_PKT4_S7_PT5_21rocsparse_index_base_b
                                        ; -- End function
	.section	.AMDGPU.csdata,"",@progbits
; Kernel info:
; codeLenInByte = 2072
; NumSgprs: 24
; NumVgprs: 26
; ScratchSize: 0
; MemoryBound: 0
; FloatMode: 240
; IeeeMode: 1
; LDSByteSize: 28800 bytes/workgroup (compile time only)
; SGPRBlocks: 2
; VGPRBlocks: 3
; NumSGPRsForWavesPerEU: 24
; NumVGPRsForWavesPerEU: 26
; Occupancy: 15
; WaveLimiterHint : 1
; COMPUTE_PGM_RSRC2:SCRATCH_EN: 0
; COMPUTE_PGM_RSRC2:USER_SGPR: 15
; COMPUTE_PGM_RSRC2:TRAP_HANDLER: 0
; COMPUTE_PGM_RSRC2:TGID_X_EN: 1
; COMPUTE_PGM_RSRC2:TGID_Y_EN: 0
; COMPUTE_PGM_RSRC2:TGID_Z_EN: 0
; COMPUTE_PGM_RSRC2:TIDIG_COMP_CNT: 2
	.section	.text._ZN9rocsparseL20bsrxmvn_17_32_kernelILj31E21rocsparse_complex_numIdElidS2_S2_EEvT2_20rocsparse_direction_NS_24const_host_device_scalarIT0_EES3_PKS3_PKT1_SC_S9_PKT3_PKT4_S7_PT5_21rocsparse_index_base_b,"axG",@progbits,_ZN9rocsparseL20bsrxmvn_17_32_kernelILj31E21rocsparse_complex_numIdElidS2_S2_EEvT2_20rocsparse_direction_NS_24const_host_device_scalarIT0_EES3_PKS3_PKT1_SC_S9_PKT3_PKT4_S7_PT5_21rocsparse_index_base_b,comdat
	.globl	_ZN9rocsparseL20bsrxmvn_17_32_kernelILj31E21rocsparse_complex_numIdElidS2_S2_EEvT2_20rocsparse_direction_NS_24const_host_device_scalarIT0_EES3_PKS3_PKT1_SC_S9_PKT3_PKT4_S7_PT5_21rocsparse_index_base_b ; -- Begin function _ZN9rocsparseL20bsrxmvn_17_32_kernelILj31E21rocsparse_complex_numIdElidS2_S2_EEvT2_20rocsparse_direction_NS_24const_host_device_scalarIT0_EES3_PKS3_PKT1_SC_S9_PKT3_PKT4_S7_PT5_21rocsparse_index_base_b
	.p2align	8
	.type	_ZN9rocsparseL20bsrxmvn_17_32_kernelILj31E21rocsparse_complex_numIdElidS2_S2_EEvT2_20rocsparse_direction_NS_24const_host_device_scalarIT0_EES3_PKS3_PKT1_SC_S9_PKT3_PKT4_S7_PT5_21rocsparse_index_base_b,@function
_ZN9rocsparseL20bsrxmvn_17_32_kernelILj31E21rocsparse_complex_numIdElidS2_S2_EEvT2_20rocsparse_direction_NS_24const_host_device_scalarIT0_EES3_PKS3_PKT1_SC_S9_PKT3_PKT4_S7_PT5_21rocsparse_index_base_b: ; @_ZN9rocsparseL20bsrxmvn_17_32_kernelILj31E21rocsparse_complex_numIdElidS2_S2_EEvT2_20rocsparse_direction_NS_24const_host_device_scalarIT0_EES3_PKS3_PKT1_SC_S9_PKT3_PKT4_S7_PT5_21rocsparse_index_base_b
; %bb.0:
	s_mov_b32 s12, s15
	s_clause 0x1
	s_load_b64 s[14:15], s[2:3], 0x68
	s_load_b128 s[4:7], s[2:3], 0x8
	s_load_b64 s[16:17], s[0:1], 0x4
	s_mov_b64 s[0:1], src_shared_base
	v_and_b32_e32 v4, 0x3ff, v0
	s_load_b128 s[8:11], s[2:3], 0x50
	v_bfe_u32 v2, v0, 10, 10
	v_bfe_u32 v0, v0, 20, 10
	s_waitcnt lgkmcnt(0)
	s_bitcmp1_b32 s15, 0
	v_mov_b32_e32 v12, s7
	s_cselect_b32 s0, -1, 0
	v_mov_b32_e32 v11, s6
	s_and_b32 vcc_lo, s0, exec_lo
	s_cselect_b32 s13, s1, s5
	s_lshr_b32 s15, s16, 16
	v_mov_b32_e32 v6, s13
	s_mul_i32 s15, s15, s17
	s_xor_b32 s6, s0, -1
	v_mul_lo_u32 v1, s15, v4
	s_delay_alu instid0(VALU_DEP_1) | instskip(SKIP_1) | instid1(VALU_DEP_2)
	v_mad_u32_u24 v1, v2, s17, v1
	v_dual_mov_b32 v2, s8 :: v_dual_mov_b32 v3, s9
	v_add_lshl_u32 v7, v1, v0, 3
	v_dual_mov_b32 v0, s4 :: v_dual_mov_b32 v1, s5
	ds_store_b64 v7, v[0:1] offset:23064
	ds_store_b64 v7, v[2:3] offset:15376
	v_add_nc_u32_e32 v5, 0x5a18, v7
	v_add_nc_u32_e32 v0, 0x3c10, v7
	s_delay_alu instid0(VALU_DEP_2)
	v_cndmask_b32_e64 v5, s4, v5, s0
	flat_load_b64 v[9:10], v[5:6]
	s_cbranch_vccnz .LBB462_2
; %bb.1:
	v_dual_mov_b32 v1, s4 :: v_dual_mov_b32 v2, s5
	flat_load_b64 v[11:12], v[1:2] offset:8
.LBB462_2:
	s_and_b32 s4, s0, exec_lo
	s_cselect_b32 s1, s1, s9
	v_cndmask_b32_e64 v0, s8, v0, s0
	v_mov_b32_e32 v1, s1
	v_dual_mov_b32 v7, s10 :: v_dual_mov_b32 v8, s11
	s_and_not1_b32 vcc_lo, exec_lo, s6
	flat_load_b64 v[5:6], v[0:1]
	s_cbranch_vccnz .LBB462_4
; %bb.3:
	v_dual_mov_b32 v0, s8 :: v_dual_mov_b32 v1, s9
	flat_load_b64 v[7:8], v[0:1] offset:8
.LBB462_4:
	s_waitcnt vmcnt(1) lgkmcnt(1)
	v_cmp_eq_f64_e32 vcc_lo, 0, v[9:10]
	v_cmp_eq_f64_e64 s0, 0, v[11:12]
	s_delay_alu instid0(VALU_DEP_1)
	s_and_b32 s4, vcc_lo, s0
	s_mov_b32 s0, -1
	s_and_saveexec_b32 s1, s4
	s_cbranch_execz .LBB462_6
; %bb.5:
	s_waitcnt vmcnt(0) lgkmcnt(0)
	v_cmp_neq_f64_e32 vcc_lo, 1.0, v[5:6]
	v_cmp_neq_f64_e64 s0, 0, v[7:8]
	s_delay_alu instid0(VALU_DEP_1) | instskip(NEXT) | instid1(SALU_CYCLE_1)
	s_or_b32 s0, vcc_lo, s0
	s_or_not1_b32 s0, s0, exec_lo
.LBB462_6:
	s_or_b32 exec_lo, exec_lo, s1
	s_and_saveexec_b32 s1, s0
	s_cbranch_execz .LBB462_43
; %bb.7:
	s_clause 0x1
	s_load_b128 s[4:7], s[2:3], 0x20
	s_load_b64 s[8:9], s[2:3], 0x30
	s_waitcnt lgkmcnt(0)
	s_cmp_eq_u64 s[4:5], 0
	s_cbranch_scc1 .LBB462_9
; %bb.8:
	s_ashr_i32 s13, s12, 31
	s_delay_alu instid0(SALU_CYCLE_1) | instskip(NEXT) | instid1(SALU_CYCLE_1)
	s_lshl_b64 s[0:1], s[12:13], 2
	s_add_u32 s0, s4, s0
	s_addc_u32 s1, s5, s1
	s_load_b32 s0, s[0:1], 0x0
	s_waitcnt lgkmcnt(0)
	s_sub_i32 s12, s0, s14
.LBB462_9:
	s_load_b32 s1, s[2:3], 0x4
	v_mul_u32_u24_e32 v0, 0x843, v4
	v_mov_b32_e32 v2, 0
	v_mov_b32_e32 v3, 0
	s_delay_alu instid0(VALU_DEP_3) | instskip(NEXT) | instid1(VALU_DEP_1)
	v_lshrrev_b32_e32 v13, 16, v0
	v_mul_lo_u16 v0, v13, 31
	s_delay_alu instid0(VALU_DEP_1) | instskip(NEXT) | instid1(VALU_DEP_4)
	v_sub_nc_u16 v16, v4, v0
	v_dual_mov_b32 v0, v2 :: v_dual_mov_b32 v1, v3
	s_waitcnt lgkmcnt(0)
	s_cmp_eq_u32 s1, 1
	s_cselect_b32 s0, -1, 0
	s_cmp_lg_u32 s1, 1
	s_cselect_b32 s20, -1, 0
	s_ashr_i32 s13, s12, 31
	s_delay_alu instid0(SALU_CYCLE_1) | instskip(NEXT) | instid1(SALU_CYCLE_1)
	s_lshl_b64 s[4:5], s[12:13], 3
	s_add_u32 s6, s6, s4
	s_addc_u32 s7, s7, s5
	s_add_u32 s1, s6, 8
	s_addc_u32 s10, s7, 0
	;; [unrolled: 2-line block ×3, first 2 shown]
	s_cmp_eq_u64 s[8:9], 0
	s_load_b64 s[8:9], s[2:3], 0x60
	s_cselect_b32 s5, s10, s5
	s_cselect_b32 s4, s1, s4
	s_load_b64 s[18:19], s[6:7], 0x0
	s_load_b64 s[10:11], s[4:5], 0x0
	s_waitcnt lgkmcnt(0)
	v_cmp_ge_i64_e64 s1, s[18:19], s[10:11]
	s_delay_alu instid0(VALU_DEP_1)
	s_and_b32 vcc_lo, exec_lo, s1
	s_cbranch_vccnz .LBB462_14
; %bb.10:
	s_clause 0x1
	s_load_b128 s[4:7], s[2:3], 0x38
	s_load_b64 s[2:3], s[2:3], 0x48
	s_sub_u32 s10, s10, s14
	s_subb_u32 s11, s11, 0
	s_sub_u32 s16, s18, s14
	s_subb_u32 s17, s19, 0
	v_and_b32_e32 v0, 0xffff, v16
	v_dual_mov_b32 v2, 0 :: v_dual_and_b32 v1, 0xffff, v13
	v_dual_mov_b32 v3, 0 :: v_dual_lshlrev_b32 v14, 3, v4
	s_mul_hi_u32 s1, s16, 0x1e08
	s_mul_i32 s21, s17, 0x1e08
	s_mul_i32 s13, s16, 0x1e08
	s_add_i32 s1, s1, s21
	s_mov_b32 s15, 0
	v_cndmask_b32_e64 v13, v0, v1, s0
	v_dual_mov_b32 v0, v2 :: v_dual_mov_b32 v1, v3
	s_waitcnt lgkmcnt(0)
	s_add_u32 s13, s6, s13
	s_addc_u32 s21, s7, s1
	s_lshl_b64 s[0:1], s[18:19], 2
	s_lshl_b64 s[6:7], s[14:15], 2
	v_add_co_u32 v14, s13, s13, v14
	s_delay_alu instid0(VALU_DEP_1)
	v_add_co_ci_u32_e64 v15, null, s21, 0, s13
	s_sub_u32 s0, s0, s6
	s_subb_u32 s1, s1, s7
	s_add_u32 s0, s4, s0
	s_addc_u32 s1, s5, s1
	s_set_inst_prefetch_distance 0x1
	s_branch .LBB462_12
	.p2align	6
.LBB462_11:                             ;   in Loop: Header=BB462_12 Depth=1
	s_add_u32 s16, s16, 1
	s_addc_u32 s17, s17, 0
	s_add_u32 s0, s0, 4
	v_cmp_lt_i64_e64 s4, s[16:17], s[10:11]
	s_addc_u32 s1, s1, 0
	s_delay_alu instid0(VALU_DEP_1)
	s_and_b32 vcc_lo, exec_lo, s4
	s_cbranch_vccz .LBB462_14
.LBB462_12:                             ; =>This Inner Loop Header: Depth=1
	v_cmp_ge_i64_e64 s4, s[16:17], s[10:11]
	s_delay_alu instid0(VALU_DEP_1)
	s_and_b32 vcc_lo, exec_lo, s4
	s_cbranch_vccnz .LBB462_11
; %bb.13:                               ;   in Loop: Header=BB462_12 Depth=1
	s_load_b32 s4, s[0:1], 0x0
	s_waitcnt lgkmcnt(0)
	s_sub_i32 s4, s4, s14
	s_delay_alu instid0(SALU_CYCLE_1) | instskip(NEXT) | instid1(VALU_DEP_1)
	v_mad_u64_u32 v[17:18], null, s4, 31, v[13:14]
	v_ashrrev_i32_e32 v18, 31, v17
	s_delay_alu instid0(VALU_DEP_1) | instskip(NEXT) | instid1(VALU_DEP_1)
	v_lshlrev_b64 v[17:18], 4, v[17:18]
	v_add_co_u32 v17, vcc_lo, s2, v17
	s_delay_alu instid0(VALU_DEP_2)
	v_add_co_ci_u32_e32 v18, vcc_lo, s3, v18, vcc_lo
	global_load_b64 v[21:22], v[14:15], off
	global_load_b128 v[17:20], v[17:18], off
	v_add_co_u32 v14, vcc_lo, 0x1e08, v14
	v_add_co_ci_u32_e32 v15, vcc_lo, 0, v15, vcc_lo
	s_waitcnt vmcnt(0)
	v_fma_f64 v[0:1], v[21:22], v[17:18], v[0:1]
	v_fma_f64 v[2:3], v[17:18], 0, v[2:3]
	s_delay_alu instid0(VALU_DEP_2) | instskip(NEXT) | instid1(VALU_DEP_2)
	v_fma_f64 v[0:1], 0x80000000, v[19:20], v[0:1]
	v_fma_f64 v[2:3], v[21:22], v[19:20], v[2:3]
	s_branch .LBB462_11
.LBB462_14:
	s_set_inst_prefetch_distance 0x2
	v_lshlrev_b32_e32 v17, 4, v4
	s_and_b32 vcc_lo, exec_lo, s20
	ds_store_b128 v17, v[0:3]
	s_waitcnt vmcnt(0) lgkmcnt(0)
	s_barrier
	buffer_gl0_inv
	s_cbranch_vccz .LBB462_26
; %bb.15:
	s_mov_b32 s0, exec_lo
	v_cmpx_gt_u16_e32 15, v16
	s_cbranch_execz .LBB462_17
; %bb.16:
	ds_load_b128 v[18:21], v17 offset:256
	ds_load_b128 v[22:25], v17
	s_waitcnt lgkmcnt(0)
	v_add_f64 v[18:19], v[18:19], v[22:23]
	v_add_f64 v[20:21], v[20:21], v[24:25]
	ds_store_b128 v17, v[18:21]
.LBB462_17:
	s_or_b32 exec_lo, exec_lo, s0
	s_delay_alu instid0(SALU_CYCLE_1)
	s_mov_b32 s0, exec_lo
	s_waitcnt lgkmcnt(0)
	s_barrier
	buffer_gl0_inv
	v_cmpx_gt_u16_e32 8, v16
	s_cbranch_execz .LBB462_19
; %bb.18:
	ds_load_b128 v[18:21], v17 offset:128
	ds_load_b128 v[22:25], v17
	s_waitcnt lgkmcnt(0)
	v_add_f64 v[18:19], v[18:19], v[22:23]
	v_add_f64 v[20:21], v[20:21], v[24:25]
	ds_store_b128 v17, v[18:21]
.LBB462_19:
	s_or_b32 exec_lo, exec_lo, s0
	s_delay_alu instid0(SALU_CYCLE_1)
	s_mov_b32 s0, exec_lo
	s_waitcnt lgkmcnt(0)
	s_barrier
	buffer_gl0_inv
	;; [unrolled: 16-line block ×3, first 2 shown]
	v_cmpx_gt_u16_e32 2, v16
	s_cbranch_execz .LBB462_23
; %bb.22:
	ds_load_b128 v[13:16], v17
	ds_load_b128 v[18:21], v17 offset:32
	s_waitcnt lgkmcnt(0)
	v_add_f64 v[13:14], v[18:19], v[13:14]
	v_add_f64 v[15:16], v[20:21], v[15:16]
	ds_store_b128 v17, v[13:16]
.LBB462_23:
	s_or_b32 exec_lo, exec_lo, s0
	v_dual_mov_b32 v16, v3 :: v_dual_mov_b32 v15, v2
	v_dual_mov_b32 v14, v1 :: v_dual_mov_b32 v13, v0
	s_mov_b32 s0, exec_lo
	s_waitcnt lgkmcnt(0)
	s_barrier
	buffer_gl0_inv
	v_cmpx_gt_u32_e32 31, v4
	s_cbranch_execz .LBB462_25
; %bb.24:
	v_mul_u32_u24_e32 v13, 31, v4
	s_delay_alu instid0(VALU_DEP_1)
	v_lshlrev_b32_e32 v18, 4, v13
	ds_load_b128 v[13:16], v18
	ds_load_b128 v[18:21], v18 offset:16
	s_waitcnt lgkmcnt(0)
	v_add_f64 v[13:14], v[18:19], v[13:14]
	v_add_f64 v[15:16], v[20:21], v[15:16]
.LBB462_25:
	s_or_b32 exec_lo, exec_lo, s0
	s_branch .LBB462_38
.LBB462_26:
                                        ; implicit-def: $vgpr15_vgpr16
                                        ; implicit-def: $vgpr13_vgpr14
	s_cbranch_execz .LBB462_38
; %bb.27:
	s_mov_b32 s0, exec_lo
	v_cmpx_gt_u32_e32 0x1d1, v4
	s_cbranch_execz .LBB462_29
; %bb.28:
	ds_load_b128 v[13:16], v17 offset:7936
	ds_load_b128 v[18:21], v17
	s_waitcnt lgkmcnt(0)
	v_add_f64 v[13:14], v[13:14], v[18:19]
	v_add_f64 v[15:16], v[15:16], v[20:21]
	ds_store_b128 v17, v[13:16]
.LBB462_29:
	s_or_b32 exec_lo, exec_lo, s0
	s_delay_alu instid0(SALU_CYCLE_1)
	s_mov_b32 s0, exec_lo
	s_waitcnt lgkmcnt(0)
	s_barrier
	buffer_gl0_inv
	v_cmpx_gt_u32_e32 0xf8, v4
	s_cbranch_execz .LBB462_31
; %bb.30:
	ds_load_b128 v[13:16], v17 offset:3968
	ds_load_b128 v[18:21], v17
	s_waitcnt lgkmcnt(0)
	v_add_f64 v[13:14], v[13:14], v[18:19]
	v_add_f64 v[15:16], v[15:16], v[20:21]
	ds_store_b128 v17, v[13:16]
.LBB462_31:
	s_or_b32 exec_lo, exec_lo, s0
	s_delay_alu instid0(SALU_CYCLE_1)
	s_mov_b32 s0, exec_lo
	s_waitcnt lgkmcnt(0)
	s_barrier
	buffer_gl0_inv
	;; [unrolled: 16-line block ×3, first 2 shown]
	v_cmpx_gt_u32_e32 62, v4
	s_cbranch_execz .LBB462_35
; %bb.34:
	ds_load_b128 v[13:16], v17 offset:992
	ds_load_b128 v[18:21], v17
	s_waitcnt lgkmcnt(0)
	v_add_f64 v[13:14], v[13:14], v[18:19]
	v_add_f64 v[15:16], v[15:16], v[20:21]
	ds_store_b128 v17, v[13:16]
.LBB462_35:
	s_or_b32 exec_lo, exec_lo, s0
	s_delay_alu instid0(SALU_CYCLE_1)
	s_mov_b32 s0, exec_lo
	s_waitcnt lgkmcnt(0)
	buffer_gl0_inv
	v_cmpx_gt_u32_e32 31, v4
	s_cbranch_execz .LBB462_37
; %bb.36:
	ds_load_b128 v[0:3], v17 offset:496
	ds_load_b128 v[13:16], v17
	s_waitcnt lgkmcnt(0)
	v_add_f64 v[0:1], v[0:1], v[13:14]
	v_add_f64 v[2:3], v[2:3], v[15:16]
.LBB462_37:
	s_or_b32 exec_lo, exec_lo, s0
	s_delay_alu instid0(VALU_DEP_1) | instskip(NEXT) | instid1(VALU_DEP_3)
	v_dual_mov_b32 v16, v3 :: v_dual_mov_b32 v15, v2
	v_dual_mov_b32 v14, v1 :: v_dual_mov_b32 v13, v0
.LBB462_38:
	v_cmp_gt_u32_e32 vcc_lo, 31, v4
	s_and_b32 exec_lo, exec_lo, vcc_lo
	s_cbranch_execz .LBB462_43
; %bb.39:
	s_delay_alu instid0(VALU_DEP_2) | instskip(SKIP_3) | instid1(VALU_DEP_4)
	v_mul_f64 v[0:1], v[15:16], -v[11:12]
	v_mul_f64 v[2:3], v[9:10], v[15:16]
	v_cmp_eq_f64_e32 vcc_lo, 0, v[5:6]
	v_cmp_eq_f64_e64 s0, 0, v[7:8]
	v_fma_f64 v[0:1], v[9:10], v[13:14], v[0:1]
	s_delay_alu instid0(VALU_DEP_4) | instskip(NEXT) | instid1(VALU_DEP_3)
	v_fma_f64 v[2:3], v[11:12], v[13:14], v[2:3]
	s_and_b32 s0, vcc_lo, s0
	s_delay_alu instid0(SALU_CYCLE_1) | instskip(NEXT) | instid1(SALU_CYCLE_1)
	s_and_saveexec_b32 s1, s0
	s_xor_b32 s0, exec_lo, s1
	s_cbranch_execz .LBB462_41
; %bb.40:
	v_mad_u64_u32 v[5:6], null, s12, 31, v[4:5]
	v_mov_b32_e32 v6, 0
                                        ; implicit-def: $vgpr7_vgpr8
	s_delay_alu instid0(VALU_DEP_1) | instskip(NEXT) | instid1(VALU_DEP_1)
	v_lshlrev_b64 v[4:5], 4, v[5:6]
	v_add_co_u32 v4, vcc_lo, s8, v4
	s_delay_alu instid0(VALU_DEP_2)
	v_add_co_ci_u32_e32 v5, vcc_lo, s9, v5, vcc_lo
	global_store_b128 v[4:5], v[0:3], off
                                        ; implicit-def: $vgpr4
                                        ; implicit-def: $vgpr5_vgpr6
                                        ; implicit-def: $vgpr0_vgpr1
.LBB462_41:
	s_and_not1_saveexec_b32 s0, s0
	s_cbranch_execz .LBB462_43
; %bb.42:
	v_mad_u64_u32 v[9:10], null, s12, 31, v[4:5]
	v_mov_b32_e32 v10, 0
	s_delay_alu instid0(VALU_DEP_1) | instskip(NEXT) | instid1(VALU_DEP_1)
	v_lshlrev_b64 v[9:10], 4, v[9:10]
	v_add_co_u32 v13, vcc_lo, s8, v9
	s_delay_alu instid0(VALU_DEP_2) | instskip(SKIP_4) | instid1(VALU_DEP_2)
	v_add_co_ci_u32_e32 v14, vcc_lo, s9, v10, vcc_lo
	global_load_b128 v[9:12], v[13:14], off
	s_waitcnt vmcnt(0)
	v_fma_f64 v[0:1], v[5:6], v[9:10], v[0:1]
	v_fma_f64 v[2:3], v[7:8], v[9:10], v[2:3]
	v_fma_f64 v[0:1], -v[7:8], v[11:12], v[0:1]
	s_delay_alu instid0(VALU_DEP_2)
	v_fma_f64 v[2:3], v[5:6], v[11:12], v[2:3]
	global_store_b128 v[13:14], v[0:3], off
.LBB462_43:
	s_nop 0
	s_sendmsg sendmsg(MSG_DEALLOC_VGPRS)
	s_endpgm
	.section	.rodata,"a",@progbits
	.p2align	6, 0x0
	.amdhsa_kernel _ZN9rocsparseL20bsrxmvn_17_32_kernelILj31E21rocsparse_complex_numIdElidS2_S2_EEvT2_20rocsparse_direction_NS_24const_host_device_scalarIT0_EES3_PKS3_PKT1_SC_S9_PKT3_PKT4_S7_PT5_21rocsparse_index_base_b
		.amdhsa_group_segment_fixed_size 30752
		.amdhsa_private_segment_fixed_size 0
		.amdhsa_kernarg_size 112
		.amdhsa_user_sgpr_count 15
		.amdhsa_user_sgpr_dispatch_ptr 1
		.amdhsa_user_sgpr_queue_ptr 0
		.amdhsa_user_sgpr_kernarg_segment_ptr 1
		.amdhsa_user_sgpr_dispatch_id 0
		.amdhsa_user_sgpr_private_segment_size 0
		.amdhsa_wavefront_size32 1
		.amdhsa_uses_dynamic_stack 0
		.amdhsa_enable_private_segment 0
		.amdhsa_system_sgpr_workgroup_id_x 1
		.amdhsa_system_sgpr_workgroup_id_y 0
		.amdhsa_system_sgpr_workgroup_id_z 0
		.amdhsa_system_sgpr_workgroup_info 0
		.amdhsa_system_vgpr_workitem_id 2
		.amdhsa_next_free_vgpr 26
		.amdhsa_next_free_sgpr 22
		.amdhsa_reserve_vcc 1
		.amdhsa_float_round_mode_32 0
		.amdhsa_float_round_mode_16_64 0
		.amdhsa_float_denorm_mode_32 3
		.amdhsa_float_denorm_mode_16_64 3
		.amdhsa_dx10_clamp 1
		.amdhsa_ieee_mode 1
		.amdhsa_fp16_overflow 0
		.amdhsa_workgroup_processor_mode 1
		.amdhsa_memory_ordered 1
		.amdhsa_forward_progress 0
		.amdhsa_shared_vgpr_count 0
		.amdhsa_exception_fp_ieee_invalid_op 0
		.amdhsa_exception_fp_denorm_src 0
		.amdhsa_exception_fp_ieee_div_zero 0
		.amdhsa_exception_fp_ieee_overflow 0
		.amdhsa_exception_fp_ieee_underflow 0
		.amdhsa_exception_fp_ieee_inexact 0
		.amdhsa_exception_int_div_zero 0
	.end_amdhsa_kernel
	.section	.text._ZN9rocsparseL20bsrxmvn_17_32_kernelILj31E21rocsparse_complex_numIdElidS2_S2_EEvT2_20rocsparse_direction_NS_24const_host_device_scalarIT0_EES3_PKS3_PKT1_SC_S9_PKT3_PKT4_S7_PT5_21rocsparse_index_base_b,"axG",@progbits,_ZN9rocsparseL20bsrxmvn_17_32_kernelILj31E21rocsparse_complex_numIdElidS2_S2_EEvT2_20rocsparse_direction_NS_24const_host_device_scalarIT0_EES3_PKS3_PKT1_SC_S9_PKT3_PKT4_S7_PT5_21rocsparse_index_base_b,comdat
.Lfunc_end462:
	.size	_ZN9rocsparseL20bsrxmvn_17_32_kernelILj31E21rocsparse_complex_numIdElidS2_S2_EEvT2_20rocsparse_direction_NS_24const_host_device_scalarIT0_EES3_PKS3_PKT1_SC_S9_PKT3_PKT4_S7_PT5_21rocsparse_index_base_b, .Lfunc_end462-_ZN9rocsparseL20bsrxmvn_17_32_kernelILj31E21rocsparse_complex_numIdElidS2_S2_EEvT2_20rocsparse_direction_NS_24const_host_device_scalarIT0_EES3_PKS3_PKT1_SC_S9_PKT3_PKT4_S7_PT5_21rocsparse_index_base_b
                                        ; -- End function
	.section	.AMDGPU.csdata,"",@progbits
; Kernel info:
; codeLenInByte = 2072
; NumSgprs: 24
; NumVgprs: 26
; ScratchSize: 0
; MemoryBound: 0
; FloatMode: 240
; IeeeMode: 1
; LDSByteSize: 30752 bytes/workgroup (compile time only)
; SGPRBlocks: 2
; VGPRBlocks: 3
; NumSGPRsForWavesPerEU: 24
; NumVGPRsForWavesPerEU: 26
; Occupancy: 16
; WaveLimiterHint : 1
; COMPUTE_PGM_RSRC2:SCRATCH_EN: 0
; COMPUTE_PGM_RSRC2:USER_SGPR: 15
; COMPUTE_PGM_RSRC2:TRAP_HANDLER: 0
; COMPUTE_PGM_RSRC2:TGID_X_EN: 1
; COMPUTE_PGM_RSRC2:TGID_Y_EN: 0
; COMPUTE_PGM_RSRC2:TGID_Z_EN: 0
; COMPUTE_PGM_RSRC2:TIDIG_COMP_CNT: 2
	.section	.text._ZN9rocsparseL20bsrxmvn_17_32_kernelILj32E21rocsparse_complex_numIdElidS2_S2_EEvT2_20rocsparse_direction_NS_24const_host_device_scalarIT0_EES3_PKS3_PKT1_SC_S9_PKT3_PKT4_S7_PT5_21rocsparse_index_base_b,"axG",@progbits,_ZN9rocsparseL20bsrxmvn_17_32_kernelILj32E21rocsparse_complex_numIdElidS2_S2_EEvT2_20rocsparse_direction_NS_24const_host_device_scalarIT0_EES3_PKS3_PKT1_SC_S9_PKT3_PKT4_S7_PT5_21rocsparse_index_base_b,comdat
	.globl	_ZN9rocsparseL20bsrxmvn_17_32_kernelILj32E21rocsparse_complex_numIdElidS2_S2_EEvT2_20rocsparse_direction_NS_24const_host_device_scalarIT0_EES3_PKS3_PKT1_SC_S9_PKT3_PKT4_S7_PT5_21rocsparse_index_base_b ; -- Begin function _ZN9rocsparseL20bsrxmvn_17_32_kernelILj32E21rocsparse_complex_numIdElidS2_S2_EEvT2_20rocsparse_direction_NS_24const_host_device_scalarIT0_EES3_PKS3_PKT1_SC_S9_PKT3_PKT4_S7_PT5_21rocsparse_index_base_b
	.p2align	8
	.type	_ZN9rocsparseL20bsrxmvn_17_32_kernelILj32E21rocsparse_complex_numIdElidS2_S2_EEvT2_20rocsparse_direction_NS_24const_host_device_scalarIT0_EES3_PKS3_PKT1_SC_S9_PKT3_PKT4_S7_PT5_21rocsparse_index_base_b,@function
_ZN9rocsparseL20bsrxmvn_17_32_kernelILj32E21rocsparse_complex_numIdElidS2_S2_EEvT2_20rocsparse_direction_NS_24const_host_device_scalarIT0_EES3_PKS3_PKT1_SC_S9_PKT3_PKT4_S7_PT5_21rocsparse_index_base_b: ; @_ZN9rocsparseL20bsrxmvn_17_32_kernelILj32E21rocsparse_complex_numIdElidS2_S2_EEvT2_20rocsparse_direction_NS_24const_host_device_scalarIT0_EES3_PKS3_PKT1_SC_S9_PKT3_PKT4_S7_PT5_21rocsparse_index_base_b
; %bb.0:
	s_mov_b32 s12, s15
	s_clause 0x1
	s_load_b64 s[14:15], s[2:3], 0x68
	s_load_b128 s[4:7], s[2:3], 0x8
	s_load_b64 s[16:17], s[0:1], 0x4
	s_mov_b64 s[0:1], src_shared_base
	v_and_b32_e32 v16, 0x3ff, v0
	s_load_b128 s[8:11], s[2:3], 0x50
	v_bfe_u32 v2, v0, 10, 10
	v_bfe_u32 v0, v0, 20, 10
	s_waitcnt lgkmcnt(0)
	s_bitcmp1_b32 s15, 0
	v_mov_b32_e32 v11, s7
	s_cselect_b32 s0, -1, 0
	v_mov_b32_e32 v10, s6
	s_and_b32 vcc_lo, s0, exec_lo
	s_cselect_b32 s13, s1, s5
	s_lshr_b32 s15, s16, 16
	s_xor_b32 s6, s0, -1
	s_mul_i32 s15, s15, s17
	v_mov_b32_e32 v5, s13
	v_mul_lo_u32 v1, s15, v16
	s_delay_alu instid0(VALU_DEP_1) | instskip(SKIP_1) | instid1(VALU_DEP_2)
	v_mad_u32_u24 v1, v2, s17, v1
	v_dual_mov_b32 v2, s8 :: v_dual_mov_b32 v3, s9
	v_add_lshl_u32 v6, v1, v0, 3
	v_dual_mov_b32 v0, s4 :: v_dual_mov_b32 v1, s5
	s_delay_alu instid0(VALU_DEP_2)
	v_add_nc_u32_e32 v4, 0x6000, v6
	ds_store_2addr_stride64_b64 v6, v[2:3], v[0:1] offset0:32 offset1:48
	v_add_nc_u32_e32 v0, 0x4000, v6
	v_cndmask_b32_e64 v4, s4, v4, s0
	flat_load_b64 v[8:9], v[4:5]
	s_cbranch_vccnz .LBB463_2
; %bb.1:
	v_dual_mov_b32 v1, s4 :: v_dual_mov_b32 v2, s5
	flat_load_b64 v[10:11], v[1:2] offset:8
.LBB463_2:
	s_and_b32 s4, s0, exec_lo
	s_cselect_b32 s1, s1, s9
	v_cndmask_b32_e64 v0, s8, v0, s0
	v_dual_mov_b32 v1, s1 :: v_dual_mov_b32 v6, s10
	v_mov_b32_e32 v7, s11
	s_and_not1_b32 vcc_lo, exec_lo, s6
	flat_load_b64 v[4:5], v[0:1]
	s_cbranch_vccnz .LBB463_4
; %bb.3:
	v_dual_mov_b32 v0, s8 :: v_dual_mov_b32 v1, s9
	flat_load_b64 v[6:7], v[0:1] offset:8
.LBB463_4:
	s_waitcnt vmcnt(1) lgkmcnt(1)
	v_cmp_eq_f64_e32 vcc_lo, 0, v[8:9]
	v_cmp_eq_f64_e64 s0, 0, v[10:11]
	s_delay_alu instid0(VALU_DEP_1)
	s_and_b32 s4, vcc_lo, s0
	s_mov_b32 s0, -1
	s_and_saveexec_b32 s1, s4
	s_cbranch_execz .LBB463_6
; %bb.5:
	s_waitcnt vmcnt(0) lgkmcnt(0)
	v_cmp_neq_f64_e32 vcc_lo, 1.0, v[4:5]
	v_cmp_neq_f64_e64 s0, 0, v[6:7]
	s_delay_alu instid0(VALU_DEP_1) | instskip(NEXT) | instid1(SALU_CYCLE_1)
	s_or_b32 s0, vcc_lo, s0
	s_or_not1_b32 s0, s0, exec_lo
.LBB463_6:
	s_or_b32 exec_lo, exec_lo, s1
	s_and_saveexec_b32 s1, s0
	s_cbranch_execz .LBB463_41
; %bb.7:
	s_clause 0x1
	s_load_b128 s[4:7], s[2:3], 0x20
	s_load_b64 s[8:9], s[2:3], 0x30
	s_waitcnt lgkmcnt(0)
	s_cmp_eq_u64 s[4:5], 0
	s_cbranch_scc1 .LBB463_9
; %bb.8:
	s_ashr_i32 s13, s12, 31
	s_delay_alu instid0(SALU_CYCLE_1) | instskip(NEXT) | instid1(SALU_CYCLE_1)
	s_lshl_b64 s[0:1], s[12:13], 2
	s_add_u32 s0, s4, s0
	s_addc_u32 s1, s5, s1
	s_load_b32 s0, s[0:1], 0x0
	s_waitcnt lgkmcnt(0)
	s_sub_i32 s12, s0, s14
.LBB463_9:
	s_load_b32 s1, s[2:3], 0x4
	v_mov_b32_e32 v2, 0
	v_dual_mov_b32 v3, 0 :: v_dual_and_b32 v14, 31, v16
	s_delay_alu instid0(VALU_DEP_1)
	v_dual_mov_b32 v0, v2 :: v_dual_mov_b32 v1, v3
	s_waitcnt lgkmcnt(0)
	s_cmp_eq_u32 s1, 1
	s_cselect_b32 s0, -1, 0
	s_cmp_lg_u32 s1, 1
	s_cselect_b32 s20, -1, 0
	s_ashr_i32 s13, s12, 31
	s_delay_alu instid0(SALU_CYCLE_1) | instskip(NEXT) | instid1(SALU_CYCLE_1)
	s_lshl_b64 s[4:5], s[12:13], 3
	s_add_u32 s6, s6, s4
	s_addc_u32 s7, s7, s5
	s_add_u32 s1, s6, 8
	s_addc_u32 s10, s7, 0
	s_add_u32 s4, s8, s4
	s_addc_u32 s5, s9, s5
	s_cmp_eq_u64 s[8:9], 0
	s_cselect_b32 s5, s10, s5
	s_cselect_b32 s4, s1, s4
	s_load_b64 s[18:19], s[6:7], 0x0
	s_load_b64 s[10:11], s[4:5], 0x0
	;; [unrolled: 1-line block ×3, first 2 shown]
	s_waitcnt lgkmcnt(0)
	v_cmp_ge_i64_e64 s1, s[18:19], s[10:11]
	s_delay_alu instid0(VALU_DEP_1)
	s_and_b32 vcc_lo, exec_lo, s1
	s_cbranch_vccnz .LBB463_12
; %bb.10:
	s_clause 0x1
	s_load_b128 s[4:7], s[2:3], 0x38
	s_load_b64 s[2:3], s[2:3], 0x48
	s_sub_u32 s10, s10, s14
	s_subb_u32 s11, s11, 0
	s_sub_u32 s16, s18, s14
	s_subb_u32 s17, s19, 0
	v_lshrrev_b32_e32 v0, 5, v16
	s_lshl_b64 s[22:23], s[16:17], 13
	v_mov_b32_e32 v2, 0
	v_lshl_or_b32 v1, v16, 3, s22
	v_mov_b32_e32 v3, 0
	v_cndmask_b32_e64 v15, v14, v0, s0
	v_mov_b32_e32 v0, s23
	s_mov_b32 s15, 0
	s_lshl_b64 s[18:19], s[18:19], 2
	s_lshl_b64 s[24:25], s[14:15], 2
	s_delay_alu instid0(SALU_CYCLE_1)
	s_sub_u32 s0, s18, s24
	s_subb_u32 s1, s19, s25
	s_waitcnt lgkmcnt(0)
	v_add_co_u32 v12, vcc_lo, s6, v1
	v_add_co_ci_u32_e32 v13, vcc_lo, s7, v0, vcc_lo
	v_dual_mov_b32 v0, v2 :: v_dual_mov_b32 v1, v3
	s_add_u32 s0, s4, s0
	s_addc_u32 s1, s5, s1
	s_set_inst_prefetch_distance 0x1
	.p2align	6
.LBB463_11:                             ; =>This Inner Loop Header: Depth=1
	s_load_b32 s4, s[0:1], 0x0
	s_waitcnt lgkmcnt(0)
	s_sub_i32 s4, s4, s14
	s_add_u32 s16, s16, 1
	v_lshl_or_b32 v17, s4, 5, v15
	s_addc_u32 s17, s17, 0
	s_add_u32 s0, s0, 4
	v_cmp_lt_i64_e64 s4, s[16:17], s[10:11]
	s_addc_u32 s1, s1, 0
	v_ashrrev_i32_e32 v18, 31, v17
	s_delay_alu instid0(VALU_DEP_1) | instskip(NEXT) | instid1(VALU_DEP_1)
	v_lshlrev_b64 v[17:18], 4, v[17:18]
	v_add_co_u32 v17, vcc_lo, s2, v17
	s_delay_alu instid0(VALU_DEP_2)
	v_add_co_ci_u32_e32 v18, vcc_lo, s3, v18, vcc_lo
	global_load_b64 v[21:22], v[12:13], off
	global_load_b128 v[17:20], v[17:18], off
	v_add_co_u32 v12, vcc_lo, 0x2000, v12
	v_add_co_ci_u32_e32 v13, vcc_lo, 0, v13, vcc_lo
	s_and_b32 vcc_lo, exec_lo, s4
	s_waitcnt vmcnt(0)
	v_fma_f64 v[0:1], v[21:22], v[17:18], v[0:1]
	v_fma_f64 v[2:3], v[17:18], 0, v[2:3]
	s_delay_alu instid0(VALU_DEP_2) | instskip(NEXT) | instid1(VALU_DEP_2)
	v_fma_f64 v[0:1], 0x80000000, v[19:20], v[0:1]
	v_fma_f64 v[2:3], v[21:22], v[19:20], v[2:3]
	s_cbranch_vccnz .LBB463_11
.LBB463_12:
	s_set_inst_prefetch_distance 0x2
	v_lshlrev_b32_e32 v17, 4, v16
	s_and_b32 vcc_lo, exec_lo, s20
	ds_store_b128 v17, v[0:3]
	s_waitcnt vmcnt(0) lgkmcnt(0)
	s_barrier
	buffer_gl0_inv
	s_cbranch_vccz .LBB463_24
; %bb.13:
	s_mov_b32 s0, exec_lo
	v_cmpx_gt_u32_e32 16, v14
	s_cbranch_execz .LBB463_15
; %bb.14:
	ds_load_b128 v[18:21], v17 offset:256
	ds_load_b128 v[22:25], v17
	s_waitcnt lgkmcnt(0)
	v_add_f64 v[18:19], v[18:19], v[22:23]
	v_add_f64 v[20:21], v[20:21], v[24:25]
	ds_store_b128 v17, v[18:21]
.LBB463_15:
	s_or_b32 exec_lo, exec_lo, s0
	s_delay_alu instid0(SALU_CYCLE_1)
	s_mov_b32 s0, exec_lo
	s_waitcnt lgkmcnt(0)
	s_barrier
	buffer_gl0_inv
	v_cmpx_gt_u32_e32 8, v14
	s_cbranch_execz .LBB463_17
; %bb.16:
	ds_load_b128 v[18:21], v17 offset:128
	ds_load_b128 v[22:25], v17
	s_waitcnt lgkmcnt(0)
	v_add_f64 v[18:19], v[18:19], v[22:23]
	v_add_f64 v[20:21], v[20:21], v[24:25]
	ds_store_b128 v17, v[18:21]
.LBB463_17:
	s_or_b32 exec_lo, exec_lo, s0
	s_delay_alu instid0(SALU_CYCLE_1)
	s_mov_b32 s0, exec_lo
	s_waitcnt lgkmcnt(0)
	s_barrier
	buffer_gl0_inv
	;; [unrolled: 16-line block ×3, first 2 shown]
	v_cmpx_gt_u32_e32 2, v14
	s_cbranch_execz .LBB463_21
; %bb.20:
	ds_load_b128 v[12:15], v17
	ds_load_b128 v[18:21], v17 offset:32
	s_waitcnt lgkmcnt(0)
	v_add_f64 v[12:13], v[18:19], v[12:13]
	v_add_f64 v[14:15], v[20:21], v[14:15]
	ds_store_b128 v17, v[12:15]
.LBB463_21:
	s_or_b32 exec_lo, exec_lo, s0
	v_dual_mov_b32 v15, v3 :: v_dual_mov_b32 v14, v2
	v_dual_mov_b32 v13, v1 :: v_dual_mov_b32 v12, v0
	s_mov_b32 s0, exec_lo
	s_waitcnt lgkmcnt(0)
	s_barrier
	buffer_gl0_inv
	v_cmpx_gt_u32_e32 32, v16
	s_cbranch_execz .LBB463_23
; %bb.22:
	v_mad_u32_u24 v18, 0x1f0, v16, v17
	ds_load_b128 v[12:15], v18
	ds_load_b128 v[18:21], v18 offset:16
	s_waitcnt lgkmcnt(0)
	v_add_f64 v[12:13], v[18:19], v[12:13]
	v_add_f64 v[14:15], v[20:21], v[14:15]
.LBB463_23:
	s_or_b32 exec_lo, exec_lo, s0
	s_branch .LBB463_36
.LBB463_24:
                                        ; implicit-def: $vgpr14_vgpr15
                                        ; implicit-def: $vgpr12_vgpr13
	s_cbranch_execz .LBB463_36
; %bb.25:
	s_mov_b32 s0, exec_lo
	v_cmpx_gt_u32_e32 0x200, v16
	s_cbranch_execz .LBB463_27
; %bb.26:
	ds_load_b128 v[12:15], v17 offset:8192
	ds_load_b128 v[18:21], v17
	s_waitcnt lgkmcnt(0)
	v_add_f64 v[12:13], v[12:13], v[18:19]
	v_add_f64 v[14:15], v[14:15], v[20:21]
	ds_store_b128 v17, v[12:15]
.LBB463_27:
	s_or_b32 exec_lo, exec_lo, s0
	s_delay_alu instid0(SALU_CYCLE_1)
	s_mov_b32 s0, exec_lo
	s_waitcnt lgkmcnt(0)
	s_barrier
	buffer_gl0_inv
	v_cmpx_gt_u32_e32 0x100, v16
	s_cbranch_execz .LBB463_29
; %bb.28:
	ds_load_b128 v[12:15], v17 offset:4096
	ds_load_b128 v[18:21], v17
	s_waitcnt lgkmcnt(0)
	v_add_f64 v[12:13], v[12:13], v[18:19]
	v_add_f64 v[14:15], v[14:15], v[20:21]
	ds_store_b128 v17, v[12:15]
.LBB463_29:
	s_or_b32 exec_lo, exec_lo, s0
	s_delay_alu instid0(SALU_CYCLE_1)
	s_mov_b32 s0, exec_lo
	s_waitcnt lgkmcnt(0)
	s_barrier
	buffer_gl0_inv
	;; [unrolled: 16-line block ×3, first 2 shown]
	v_cmpx_gt_u32_e32 64, v16
	s_cbranch_execz .LBB463_33
; %bb.32:
	ds_load_b128 v[12:15], v17 offset:1024
	ds_load_b128 v[18:21], v17
	s_waitcnt lgkmcnt(0)
	v_add_f64 v[12:13], v[12:13], v[18:19]
	v_add_f64 v[14:15], v[14:15], v[20:21]
	ds_store_b128 v17, v[12:15]
.LBB463_33:
	s_or_b32 exec_lo, exec_lo, s0
	s_delay_alu instid0(SALU_CYCLE_1)
	s_mov_b32 s0, exec_lo
	s_waitcnt lgkmcnt(0)
	buffer_gl0_inv
	v_cmpx_gt_u32_e32 32, v16
	s_cbranch_execz .LBB463_35
; %bb.34:
	ds_load_b128 v[0:3], v17 offset:512
	ds_load_b128 v[12:15], v17
	s_waitcnt lgkmcnt(0)
	v_add_f64 v[0:1], v[0:1], v[12:13]
	v_add_f64 v[2:3], v[2:3], v[14:15]
.LBB463_35:
	s_or_b32 exec_lo, exec_lo, s0
	s_delay_alu instid0(VALU_DEP_1) | instskip(NEXT) | instid1(VALU_DEP_3)
	v_dual_mov_b32 v15, v3 :: v_dual_mov_b32 v14, v2
	v_dual_mov_b32 v13, v1 :: v_dual_mov_b32 v12, v0
.LBB463_36:
	v_cmp_gt_u32_e32 vcc_lo, 32, v16
	s_and_b32 exec_lo, exec_lo, vcc_lo
	s_cbranch_execz .LBB463_41
; %bb.37:
	s_delay_alu instid0(VALU_DEP_2) | instskip(SKIP_3) | instid1(VALU_DEP_4)
	v_mul_f64 v[0:1], v[14:15], -v[10:11]
	v_mul_f64 v[2:3], v[8:9], v[14:15]
	v_cmp_eq_f64_e32 vcc_lo, 0, v[4:5]
	v_cmp_eq_f64_e64 s0, 0, v[6:7]
	v_fma_f64 v[0:1], v[8:9], v[12:13], v[0:1]
	s_delay_alu instid0(VALU_DEP_4) | instskip(SKIP_1) | instid1(VALU_DEP_4)
	v_fma_f64 v[2:3], v[10:11], v[12:13], v[2:3]
	v_lshl_or_b32 v8, s12, 5, v16
	s_and_b32 s0, vcc_lo, s0
	s_delay_alu instid0(SALU_CYCLE_1) | instskip(NEXT) | instid1(SALU_CYCLE_1)
	s_and_saveexec_b32 s1, s0
	s_xor_b32 s0, exec_lo, s1
	s_cbranch_execz .LBB463_39
; %bb.38:
	v_mov_b32_e32 v9, 0
                                        ; implicit-def: $vgpr6_vgpr7
	s_delay_alu instid0(VALU_DEP_1) | instskip(NEXT) | instid1(VALU_DEP_1)
	v_lshlrev_b64 v[4:5], 4, v[8:9]
                                        ; implicit-def: $vgpr8
	v_add_co_u32 v4, vcc_lo, s8, v4
	s_delay_alu instid0(VALU_DEP_2)
	v_add_co_ci_u32_e32 v5, vcc_lo, s9, v5, vcc_lo
	global_store_b128 v[4:5], v[0:3], off
                                        ; implicit-def: $vgpr4_vgpr5
                                        ; implicit-def: $vgpr0_vgpr1
.LBB463_39:
	s_and_not1_saveexec_b32 s0, s0
	s_cbranch_execz .LBB463_41
; %bb.40:
	v_mov_b32_e32 v9, 0
	s_delay_alu instid0(VALU_DEP_1) | instskip(NEXT) | instid1(VALU_DEP_1)
	v_lshlrev_b64 v[8:9], 4, v[8:9]
	v_add_co_u32 v12, vcc_lo, s8, v8
	s_delay_alu instid0(VALU_DEP_2) | instskip(SKIP_4) | instid1(VALU_DEP_2)
	v_add_co_ci_u32_e32 v13, vcc_lo, s9, v9, vcc_lo
	global_load_b128 v[8:11], v[12:13], off
	s_waitcnt vmcnt(0)
	v_fma_f64 v[0:1], v[4:5], v[8:9], v[0:1]
	v_fma_f64 v[2:3], v[6:7], v[8:9], v[2:3]
	v_fma_f64 v[0:1], -v[6:7], v[10:11], v[0:1]
	s_delay_alu instid0(VALU_DEP_2)
	v_fma_f64 v[2:3], v[4:5], v[10:11], v[2:3]
	global_store_b128 v[12:13], v[0:3], off
.LBB463_41:
	s_nop 0
	s_sendmsg sendmsg(MSG_DEALLOC_VGPRS)
	s_endpgm
	.section	.rodata,"a",@progbits
	.p2align	6, 0x0
	.amdhsa_kernel _ZN9rocsparseL20bsrxmvn_17_32_kernelILj32E21rocsparse_complex_numIdElidS2_S2_EEvT2_20rocsparse_direction_NS_24const_host_device_scalarIT0_EES3_PKS3_PKT1_SC_S9_PKT3_PKT4_S7_PT5_21rocsparse_index_base_b
		.amdhsa_group_segment_fixed_size 32768
		.amdhsa_private_segment_fixed_size 0
		.amdhsa_kernarg_size 112
		.amdhsa_user_sgpr_count 15
		.amdhsa_user_sgpr_dispatch_ptr 1
		.amdhsa_user_sgpr_queue_ptr 0
		.amdhsa_user_sgpr_kernarg_segment_ptr 1
		.amdhsa_user_sgpr_dispatch_id 0
		.amdhsa_user_sgpr_private_segment_size 0
		.amdhsa_wavefront_size32 1
		.amdhsa_uses_dynamic_stack 0
		.amdhsa_enable_private_segment 0
		.amdhsa_system_sgpr_workgroup_id_x 1
		.amdhsa_system_sgpr_workgroup_id_y 0
		.amdhsa_system_sgpr_workgroup_id_z 0
		.amdhsa_system_sgpr_workgroup_info 0
		.amdhsa_system_vgpr_workitem_id 2
		.amdhsa_next_free_vgpr 26
		.amdhsa_next_free_sgpr 26
		.amdhsa_reserve_vcc 1
		.amdhsa_float_round_mode_32 0
		.amdhsa_float_round_mode_16_64 0
		.amdhsa_float_denorm_mode_32 3
		.amdhsa_float_denorm_mode_16_64 3
		.amdhsa_dx10_clamp 1
		.amdhsa_ieee_mode 1
		.amdhsa_fp16_overflow 0
		.amdhsa_workgroup_processor_mode 1
		.amdhsa_memory_ordered 1
		.amdhsa_forward_progress 0
		.amdhsa_shared_vgpr_count 0
		.amdhsa_exception_fp_ieee_invalid_op 0
		.amdhsa_exception_fp_denorm_src 0
		.amdhsa_exception_fp_ieee_div_zero 0
		.amdhsa_exception_fp_ieee_overflow 0
		.amdhsa_exception_fp_ieee_underflow 0
		.amdhsa_exception_fp_ieee_inexact 0
		.amdhsa_exception_int_div_zero 0
	.end_amdhsa_kernel
	.section	.text._ZN9rocsparseL20bsrxmvn_17_32_kernelILj32E21rocsparse_complex_numIdElidS2_S2_EEvT2_20rocsparse_direction_NS_24const_host_device_scalarIT0_EES3_PKS3_PKT1_SC_S9_PKT3_PKT4_S7_PT5_21rocsparse_index_base_b,"axG",@progbits,_ZN9rocsparseL20bsrxmvn_17_32_kernelILj32E21rocsparse_complex_numIdElidS2_S2_EEvT2_20rocsparse_direction_NS_24const_host_device_scalarIT0_EES3_PKS3_PKT1_SC_S9_PKT3_PKT4_S7_PT5_21rocsparse_index_base_b,comdat
.Lfunc_end463:
	.size	_ZN9rocsparseL20bsrxmvn_17_32_kernelILj32E21rocsparse_complex_numIdElidS2_S2_EEvT2_20rocsparse_direction_NS_24const_host_device_scalarIT0_EES3_PKS3_PKT1_SC_S9_PKT3_PKT4_S7_PT5_21rocsparse_index_base_b, .Lfunc_end463-_ZN9rocsparseL20bsrxmvn_17_32_kernelILj32E21rocsparse_complex_numIdElidS2_S2_EEvT2_20rocsparse_direction_NS_24const_host_device_scalarIT0_EES3_PKS3_PKT1_SC_S9_PKT3_PKT4_S7_PT5_21rocsparse_index_base_b
                                        ; -- End function
	.section	.AMDGPU.csdata,"",@progbits
; Kernel info:
; codeLenInByte = 1952
; NumSgprs: 28
; NumVgprs: 26
; ScratchSize: 0
; MemoryBound: 0
; FloatMode: 240
; IeeeMode: 1
; LDSByteSize: 32768 bytes/workgroup (compile time only)
; SGPRBlocks: 3
; VGPRBlocks: 3
; NumSGPRsForWavesPerEU: 28
; NumVGPRsForWavesPerEU: 26
; Occupancy: 16
; WaveLimiterHint : 1
; COMPUTE_PGM_RSRC2:SCRATCH_EN: 0
; COMPUTE_PGM_RSRC2:USER_SGPR: 15
; COMPUTE_PGM_RSRC2:TRAP_HANDLER: 0
; COMPUTE_PGM_RSRC2:TGID_X_EN: 1
; COMPUTE_PGM_RSRC2:TGID_Y_EN: 0
; COMPUTE_PGM_RSRC2:TGID_Z_EN: 0
; COMPUTE_PGM_RSRC2:TIDIG_COMP_CNT: 2
	.section	.text._ZN9rocsparseL20bsrxmvn_17_32_kernelILj17E21rocsparse_complex_numIdElldS2_S2_EEvT2_20rocsparse_direction_NS_24const_host_device_scalarIT0_EES3_PKS3_PKT1_SC_S9_PKT3_PKT4_S7_PT5_21rocsparse_index_base_b,"axG",@progbits,_ZN9rocsparseL20bsrxmvn_17_32_kernelILj17E21rocsparse_complex_numIdElldS2_S2_EEvT2_20rocsparse_direction_NS_24const_host_device_scalarIT0_EES3_PKS3_PKT1_SC_S9_PKT3_PKT4_S7_PT5_21rocsparse_index_base_b,comdat
	.globl	_ZN9rocsparseL20bsrxmvn_17_32_kernelILj17E21rocsparse_complex_numIdElldS2_S2_EEvT2_20rocsparse_direction_NS_24const_host_device_scalarIT0_EES3_PKS3_PKT1_SC_S9_PKT3_PKT4_S7_PT5_21rocsparse_index_base_b ; -- Begin function _ZN9rocsparseL20bsrxmvn_17_32_kernelILj17E21rocsparse_complex_numIdElldS2_S2_EEvT2_20rocsparse_direction_NS_24const_host_device_scalarIT0_EES3_PKS3_PKT1_SC_S9_PKT3_PKT4_S7_PT5_21rocsparse_index_base_b
	.p2align	8
	.type	_ZN9rocsparseL20bsrxmvn_17_32_kernelILj17E21rocsparse_complex_numIdElldS2_S2_EEvT2_20rocsparse_direction_NS_24const_host_device_scalarIT0_EES3_PKS3_PKT1_SC_S9_PKT3_PKT4_S7_PT5_21rocsparse_index_base_b,@function
_ZN9rocsparseL20bsrxmvn_17_32_kernelILj17E21rocsparse_complex_numIdElldS2_S2_EEvT2_20rocsparse_direction_NS_24const_host_device_scalarIT0_EES3_PKS3_PKT1_SC_S9_PKT3_PKT4_S7_PT5_21rocsparse_index_base_b: ; @_ZN9rocsparseL20bsrxmvn_17_32_kernelILj17E21rocsparse_complex_numIdElldS2_S2_EEvT2_20rocsparse_direction_NS_24const_host_device_scalarIT0_EES3_PKS3_PKT1_SC_S9_PKT3_PKT4_S7_PT5_21rocsparse_index_base_b
; %bb.0:
	s_mov_b32 s12, s15
	s_clause 0x1
	s_load_b64 s[14:15], s[2:3], 0x70
	s_load_b128 s[4:7], s[2:3], 0x10
	s_load_b64 s[16:17], s[0:1], 0x4
	s_mov_b64 s[0:1], src_shared_base
	v_and_b32_e32 v18, 0x3ff, v0
	s_load_b128 s[8:11], s[2:3], 0x58
	v_bfe_u32 v2, v0, 10, 10
	v_bfe_u32 v0, v0, 20, 10
	s_waitcnt lgkmcnt(0)
	s_bitcmp1_b32 s15, 0
	v_mov_b32_e32 v11, s7
	s_cselect_b32 s0, -1, 0
	v_mov_b32_e32 v10, s6
	s_and_b32 vcc_lo, s0, exec_lo
	s_cselect_b32 s13, s1, s5
	s_lshr_b32 s15, s16, 16
	s_xor_b32 s6, s0, -1
	s_mul_i32 s15, s15, s17
	v_mov_b32_e32 v5, s13
	v_mul_lo_u32 v1, s15, v18
	s_delay_alu instid0(VALU_DEP_1) | instskip(SKIP_1) | instid1(VALU_DEP_2)
	v_mad_u32_u24 v1, v2, s17, v1
	v_dual_mov_b32 v2, s8 :: v_dual_mov_b32 v3, s9
	v_add_lshl_u32 v6, v1, v0, 3
	v_dual_mov_b32 v0, s4 :: v_dual_mov_b32 v1, s5
	ds_store_b64 v6, v[0:1] offset:6936
	ds_store_b64 v6, v[2:3] offset:4624
	v_add_nc_u32_e32 v4, 0x1b18, v6
	v_add_nc_u32_e32 v0, 0x1210, v6
	s_delay_alu instid0(VALU_DEP_2)
	v_cndmask_b32_e64 v4, s4, v4, s0
	flat_load_b64 v[8:9], v[4:5]
	s_cbranch_vccnz .LBB464_2
; %bb.1:
	v_dual_mov_b32 v1, s4 :: v_dual_mov_b32 v2, s5
	flat_load_b64 v[10:11], v[1:2] offset:8
.LBB464_2:
	s_and_b32 s4, s0, exec_lo
	s_cselect_b32 s1, s1, s9
	v_cndmask_b32_e64 v0, s8, v0, s0
	v_dual_mov_b32 v1, s1 :: v_dual_mov_b32 v6, s10
	v_mov_b32_e32 v7, s11
	s_and_not1_b32 vcc_lo, exec_lo, s6
	flat_load_b64 v[4:5], v[0:1]
	s_cbranch_vccnz .LBB464_4
; %bb.3:
	v_dual_mov_b32 v0, s8 :: v_dual_mov_b32 v1, s9
	flat_load_b64 v[6:7], v[0:1] offset:8
.LBB464_4:
	s_waitcnt vmcnt(1) lgkmcnt(1)
	v_cmp_eq_f64_e32 vcc_lo, 0, v[8:9]
	v_cmp_eq_f64_e64 s0, 0, v[10:11]
	s_delay_alu instid0(VALU_DEP_1)
	s_and_b32 s4, vcc_lo, s0
	s_mov_b32 s0, -1
	s_and_saveexec_b32 s1, s4
	s_cbranch_execz .LBB464_6
; %bb.5:
	s_waitcnt vmcnt(0) lgkmcnt(0)
	v_cmp_neq_f64_e32 vcc_lo, 1.0, v[4:5]
	v_cmp_neq_f64_e64 s0, 0, v[6:7]
	s_delay_alu instid0(VALU_DEP_1) | instskip(NEXT) | instid1(SALU_CYCLE_1)
	s_or_b32 s0, vcc_lo, s0
	s_or_not1_b32 s0, s0, exec_lo
.LBB464_6:
	s_or_b32 exec_lo, exec_lo, s1
	s_and_saveexec_b32 s1, s0
	s_cbranch_execz .LBB464_43
; %bb.7:
	s_clause 0x1
	s_load_b128 s[4:7], s[2:3], 0x28
	s_load_b64 s[8:9], s[2:3], 0x38
	s_mov_b32 s13, 0
	s_waitcnt lgkmcnt(0)
	s_cmp_eq_u64 s[4:5], 0
	s_cbranch_scc1 .LBB464_9
; %bb.8:
	s_lshl_b64 s[0:1], s[12:13], 3
	s_delay_alu instid0(SALU_CYCLE_1)
	s_add_u32 s0, s4, s0
	s_addc_u32 s1, s5, s1
	s_load_b64 s[0:1], s[0:1], 0x0
	s_waitcnt lgkmcnt(0)
	s_sub_u32 s12, s0, s14
	s_subb_u32 s13, s1, 0
.LBB464_9:
	s_load_b32 s1, s[2:3], 0x8
	v_mul_u32_u24_e32 v0, 0xf10, v18
	v_mov_b32_e32 v2, 0
	v_mov_b32_e32 v3, 0
	s_delay_alu instid0(VALU_DEP_3) | instskip(NEXT) | instid1(VALU_DEP_1)
	v_lshrrev_b32_e32 v12, 16, v0
	v_mul_lo_u16 v0, v12, 17
	s_delay_alu instid0(VALU_DEP_1) | instskip(NEXT) | instid1(VALU_DEP_4)
	v_sub_nc_u16 v19, v18, v0
	v_dual_mov_b32 v0, v2 :: v_dual_mov_b32 v1, v3
	s_waitcnt lgkmcnt(0)
	s_cmp_eq_u32 s1, 1
	s_cselect_b32 s0, -1, 0
	s_cmp_lg_u32 s1, 1
	s_cselect_b32 s1, -1, 0
	s_lshl_b64 s[4:5], s[12:13], 3
	s_delay_alu instid0(SALU_CYCLE_1)
	s_add_u32 s6, s6, s4
	s_addc_u32 s7, s7, s5
	s_add_u32 s10, s6, 8
	s_addc_u32 s11, s7, 0
	;; [unrolled: 2-line block ×3, first 2 shown]
	s_cmp_eq_u64 s[8:9], 0
	s_load_b64 s[8:9], s[2:3], 0x68
	s_cselect_b32 s5, s11, s5
	s_cselect_b32 s4, s10, s4
	s_load_b64 s[16:17], s[6:7], 0x0
	s_load_b64 s[10:11], s[4:5], 0x0
	s_waitcnt lgkmcnt(0)
	v_cmp_ge_i64_e64 s4, s[16:17], s[10:11]
	s_delay_alu instid0(VALU_DEP_1)
	s_and_b32 vcc_lo, exec_lo, s4
	s_cbranch_vccnz .LBB464_14
; %bb.10:
	v_mul_lo_u16 v0, v12, 31
	v_and_b32_e32 v2, 0xffff, v18
	s_clause 0x1
	s_load_b64 s[18:19], s[2:3], 0x50
	s_load_b128 s[4:7], s[2:3], 0x40
	v_and_b32_e32 v1, 0xffff, v19
	s_sub_u32 s2, s10, s14
	v_lshrrev_b16 v0, 9, v0
	v_mul_u32_u24_e32 v2, 0xe3, v2
	s_subb_u32 s3, s11, 0
	s_sub_u32 s10, s16, s14
	s_subb_u32 s11, s17, 0
	v_mul_lo_u16 v0, v0, 17
	v_lshrrev_b32_e32 v20, 16, v2
	s_mul_hi_u32 s15, s10, 0x908
	s_mul_i32 s20, s11, 0x908
	s_mul_i32 s21, s10, 0x908
	v_sub_nc_u16 v0, v12, v0
	s_add_i32 s15, s15, s20
	v_lshlrev_b32_e32 v14, 3, v18
	s_delay_alu instid0(VALU_DEP_2) | instskip(NEXT) | instid1(VALU_DEP_1)
	v_and_b32_e32 v0, 0xff, v0
	v_cndmask_b32_e64 v0, v1, v0, s0
	v_add_co_u32 v1, s0, s16, v20
	s_delay_alu instid0(VALU_DEP_1) | instskip(NEXT) | instid1(VALU_DEP_3)
	v_add_co_ci_u32_e64 v2, null, s17, 0, s0
	v_lshlrev_b32_e32 v3, 4, v0
	s_delay_alu instid0(VALU_DEP_3) | instskip(NEXT) | instid1(VALU_DEP_3)
	v_sub_co_u32 v0, vcc_lo, v1, s14
	v_subrev_co_ci_u32_e32 v1, vcc_lo, 0, v2, vcc_lo
	s_waitcnt lgkmcnt(0)
	s_add_u32 s0, s6, s21
	s_addc_u32 s6, s7, s15
	v_add_co_u32 v12, s7, s18, v3
	v_lshlrev_b64 v[0:1], 3, v[0:1]
	v_mov_b32_e32 v2, 0
	v_mov_b32_e32 v3, 0
	v_add_co_u32 v14, s0, s0, v14
	v_add_co_ci_u32_e64 v13, null, s19, 0, s7
	v_add_co_u32 v16, vcc_lo, s4, v0
	v_add_co_ci_u32_e32 v17, vcc_lo, s5, v1, vcc_lo
	v_dual_mov_b32 v0, v2 :: v_dual_mov_b32 v1, v3
	v_add_co_ci_u32_e64 v15, null, s6, 0, s0
	s_set_inst_prefetch_distance 0x1
	s_branch .LBB464_12
	.p2align	6
.LBB464_11:                             ;   in Loop: Header=BB464_12 Depth=1
	s_or_b32 exec_lo, exec_lo, s0
	s_add_u32 s10, s10, 1
	s_addc_u32 s11, s11, 0
	v_add_co_u32 v16, vcc_lo, v16, 8
	v_cmp_lt_i64_e64 s0, s[10:11], s[2:3]
	v_add_co_ci_u32_e32 v17, vcc_lo, 0, v17, vcc_lo
	s_delay_alu instid0(VALU_DEP_2)
	s_and_b32 vcc_lo, exec_lo, s0
	s_cbranch_vccz .LBB464_14
.LBB464_12:                             ; =>This Inner Loop Header: Depth=1
	v_add_co_u32 v21, s0, v20, s10
	s_delay_alu instid0(VALU_DEP_1) | instskip(SKIP_1) | instid1(VALU_DEP_1)
	v_add_co_ci_u32_e64 v22, null, 0, s11, s0
	s_mov_b32 s0, exec_lo
	v_cmpx_gt_i64_e64 s[2:3], v[21:22]
	s_cbranch_execz .LBB464_11
; %bb.13:                               ;   in Loop: Header=BB464_12 Depth=1
	global_load_b64 v[21:22], v[16:17], off
	s_waitcnt vmcnt(0)
	v_sub_co_u32 v23, vcc_lo, v21, s14
	v_subrev_co_ci_u32_e32 v25, vcc_lo, 0, v22, vcc_lo
	s_delay_alu instid0(VALU_DEP_2) | instskip(NEXT) | instid1(VALU_DEP_1)
	v_mad_u64_u32 v[21:22], null, 0x110, v23, v[12:13]
	v_mad_u64_u32 v[23:24], null, 0x110, v25, v[22:23]
	s_delay_alu instid0(VALU_DEP_1)
	v_mov_b32_e32 v22, v23
	global_load_b64 v[25:26], v[14:15], off
	global_load_b128 v[21:24], v[21:22], off
	v_add_co_u32 v14, vcc_lo, 0x908, v14
	v_add_co_ci_u32_e32 v15, vcc_lo, 0, v15, vcc_lo
	s_waitcnt vmcnt(0)
	v_fma_f64 v[0:1], v[25:26], v[21:22], v[0:1]
	v_fma_f64 v[2:3], v[21:22], 0, v[2:3]
	s_delay_alu instid0(VALU_DEP_2) | instskip(NEXT) | instid1(VALU_DEP_2)
	v_fma_f64 v[0:1], 0x80000000, v[23:24], v[0:1]
	v_fma_f64 v[2:3], v[25:26], v[23:24], v[2:3]
	s_branch .LBB464_11
.LBB464_14:
	s_set_inst_prefetch_distance 0x2
	v_lshlrev_b32_e32 v16, 4, v18
	s_and_b32 vcc_lo, exec_lo, s1
	ds_store_b128 v16, v[0:3]
	s_waitcnt vmcnt(0) lgkmcnt(0)
	s_barrier
	buffer_gl0_inv
	s_cbranch_vccz .LBB464_26
; %bb.15:
	s_mov_b32 s0, exec_lo
	v_cmpx_eq_u16_e32 0, v19
	s_cbranch_execz .LBB464_17
; %bb.16:
	ds_load_b128 v[12:15], v16 offset:256
	ds_load_b128 v[20:23], v16
	s_waitcnt lgkmcnt(0)
	v_add_f64 v[12:13], v[12:13], v[20:21]
	v_add_f64 v[14:15], v[14:15], v[22:23]
	ds_store_b128 v16, v[12:15]
.LBB464_17:
	s_or_b32 exec_lo, exec_lo, s0
	s_delay_alu instid0(SALU_CYCLE_1)
	s_mov_b32 s0, exec_lo
	s_waitcnt lgkmcnt(0)
	s_barrier
	buffer_gl0_inv
	v_cmpx_gt_u16_e32 8, v19
	s_cbranch_execz .LBB464_19
; %bb.18:
	ds_load_b128 v[12:15], v16 offset:128
	ds_load_b128 v[20:23], v16
	s_waitcnt lgkmcnt(0)
	v_add_f64 v[12:13], v[12:13], v[20:21]
	v_add_f64 v[14:15], v[14:15], v[22:23]
	ds_store_b128 v16, v[12:15]
.LBB464_19:
	s_or_b32 exec_lo, exec_lo, s0
	s_delay_alu instid0(SALU_CYCLE_1)
	s_mov_b32 s0, exec_lo
	s_waitcnt lgkmcnt(0)
	s_barrier
	buffer_gl0_inv
	v_cmpx_gt_u16_e32 4, v19
	;; [unrolled: 16-line block ×3, first 2 shown]
	s_cbranch_execz .LBB464_23
; %bb.22:
	ds_load_b128 v[12:15], v16
	ds_load_b128 v[19:22], v16 offset:32
	s_waitcnt lgkmcnt(0)
	v_add_f64 v[12:13], v[19:20], v[12:13]
	v_add_f64 v[14:15], v[21:22], v[14:15]
	ds_store_b128 v16, v[12:15]
.LBB464_23:
	s_or_b32 exec_lo, exec_lo, s0
	v_dual_mov_b32 v15, v3 :: v_dual_mov_b32 v14, v2
	v_dual_mov_b32 v13, v1 :: v_dual_mov_b32 v12, v0
	s_mov_b32 s0, exec_lo
	s_waitcnt lgkmcnt(0)
	s_barrier
	buffer_gl0_inv
	v_cmpx_gt_u32_e32 17, v18
	s_cbranch_execz .LBB464_25
; %bb.24:
	v_mul_u32_u24_e32 v12, 17, v18
	s_delay_alu instid0(VALU_DEP_1)
	v_lshlrev_b32_e32 v17, 4, v12
	ds_load_b128 v[12:15], v17
	ds_load_b128 v[19:22], v17 offset:16
	s_waitcnt lgkmcnt(0)
	v_add_f64 v[12:13], v[19:20], v[12:13]
	v_add_f64 v[14:15], v[21:22], v[14:15]
.LBB464_25:
	s_or_b32 exec_lo, exec_lo, s0
	v_cmp_gt_u32_e64 s0, 17, v18
	s_branch .LBB464_38
.LBB464_26:
                                        ; implicit-def: $vgpr14_vgpr15
                                        ; implicit-def: $vgpr12_vgpr13
	v_cmp_gt_u32_e64 s0, 17, v18
	s_cbranch_execz .LBB464_38
; %bb.27:
	s_delay_alu instid0(VALU_DEP_1)
	s_and_saveexec_b32 s1, s0
	s_cbranch_execz .LBB464_29
; %bb.28:
	ds_load_b128 v[12:15], v16 offset:4352
	ds_load_b128 v[19:22], v16
	s_waitcnt lgkmcnt(0)
	v_add_f64 v[12:13], v[12:13], v[19:20]
	v_add_f64 v[14:15], v[14:15], v[21:22]
	ds_store_b128 v16, v[12:15]
.LBB464_29:
	s_or_b32 exec_lo, exec_lo, s1
	s_delay_alu instid0(SALU_CYCLE_1)
	s_mov_b32 s1, exec_lo
	s_waitcnt lgkmcnt(0)
	s_barrier
	buffer_gl0_inv
	v_cmpx_gt_u32_e32 0x88, v18
	s_cbranch_execz .LBB464_31
; %bb.30:
	ds_load_b128 v[12:15], v16 offset:2176
	ds_load_b128 v[19:22], v16
	s_waitcnt lgkmcnt(0)
	v_add_f64 v[12:13], v[12:13], v[19:20]
	v_add_f64 v[14:15], v[14:15], v[21:22]
	ds_store_b128 v16, v[12:15]
.LBB464_31:
	s_or_b32 exec_lo, exec_lo, s1
	s_delay_alu instid0(SALU_CYCLE_1)
	s_mov_b32 s1, exec_lo
	s_waitcnt lgkmcnt(0)
	s_barrier
	buffer_gl0_inv
	v_cmpx_gt_u32_e32 0x44, v18
	;; [unrolled: 16-line block ×3, first 2 shown]
	s_cbranch_execz .LBB464_35
; %bb.34:
	ds_load_b128 v[12:15], v16 offset:544
	ds_load_b128 v[19:22], v16
	s_waitcnt lgkmcnt(0)
	v_add_f64 v[12:13], v[12:13], v[19:20]
	v_add_f64 v[14:15], v[14:15], v[21:22]
	ds_store_b128 v16, v[12:15]
.LBB464_35:
	s_or_b32 exec_lo, exec_lo, s1
	s_waitcnt lgkmcnt(0)
	buffer_gl0_inv
	s_and_saveexec_b32 s1, s0
	s_cbranch_execz .LBB464_37
; %bb.36:
	ds_load_b128 v[0:3], v16 offset:272
	ds_load_b128 v[12:15], v16
	s_waitcnt lgkmcnt(0)
	v_add_f64 v[0:1], v[0:1], v[12:13]
	v_add_f64 v[2:3], v[2:3], v[14:15]
.LBB464_37:
	s_or_b32 exec_lo, exec_lo, s1
	s_delay_alu instid0(VALU_DEP_1) | instskip(NEXT) | instid1(VALU_DEP_3)
	v_dual_mov_b32 v15, v3 :: v_dual_mov_b32 v14, v2
	v_dual_mov_b32 v13, v1 :: v_dual_mov_b32 v12, v0
.LBB464_38:
	v_cmp_gt_u32_e32 vcc_lo, 17, v18
	s_and_b32 exec_lo, exec_lo, vcc_lo
	s_cbranch_execz .LBB464_43
; %bb.39:
	s_delay_alu instid0(VALU_DEP_3)
	v_mul_f64 v[0:1], v[14:15], -v[10:11]
	v_mul_f64 v[2:3], v[8:9], v[14:15]
	v_cmp_eq_f64_e32 vcc_lo, 0, v[4:5]
	v_cmp_eq_f64_e64 s0, 0, v[6:7]
	s_mul_hi_u32 s1, s12, 0x110
	s_mul_i32 s2, s12, 0x110
	s_delay_alu instid0(VALU_DEP_4) | instskip(NEXT) | instid1(VALU_DEP_4)
	v_fma_f64 v[0:1], v[8:9], v[12:13], v[0:1]
	v_fma_f64 v[2:3], v[10:11], v[12:13], v[2:3]
	s_delay_alu instid0(VALU_DEP_3) | instskip(SKIP_2) | instid1(SALU_CYCLE_1)
	s_and_b32 s3, vcc_lo, s0
	s_mul_i32 s0, s13, 0x110
	s_and_saveexec_b32 s4, s3
	s_xor_b32 s3, exec_lo, s4
	s_cbranch_execz .LBB464_41
; %bb.40:
	s_add_i32 s5, s1, s0
	s_add_u32 s4, s8, s2
	s_addc_u32 s5, s9, s5
                                        ; implicit-def: $vgpr4_vgpr5
                                        ; implicit-def: $vgpr6_vgpr7
	global_store_b128 v16, v[0:3], s[4:5]
                                        ; implicit-def: $vgpr16
                                        ; implicit-def: $vgpr0_vgpr1
.LBB464_41:
	s_and_not1_saveexec_b32 s3, s3
	s_cbranch_execz .LBB464_43
; %bb.42:
	s_add_i32 s1, s1, s0
	s_add_u32 s0, s8, s2
	s_addc_u32 s1, s9, s1
	global_load_b128 v[8:11], v16, s[0:1]
	s_waitcnt vmcnt(0)
	v_fma_f64 v[0:1], v[4:5], v[8:9], v[0:1]
	v_fma_f64 v[2:3], v[6:7], v[8:9], v[2:3]
	s_delay_alu instid0(VALU_DEP_2) | instskip(NEXT) | instid1(VALU_DEP_2)
	v_fma_f64 v[0:1], -v[6:7], v[10:11], v[0:1]
	v_fma_f64 v[2:3], v[4:5], v[10:11], v[2:3]
	global_store_b128 v16, v[0:3], s[0:1]
.LBB464_43:
	s_nop 0
	s_sendmsg sendmsg(MSG_DEALLOC_VGPRS)
	s_endpgm
	.section	.rodata,"a",@progbits
	.p2align	6, 0x0
	.amdhsa_kernel _ZN9rocsparseL20bsrxmvn_17_32_kernelILj17E21rocsparse_complex_numIdElldS2_S2_EEvT2_20rocsparse_direction_NS_24const_host_device_scalarIT0_EES3_PKS3_PKT1_SC_S9_PKT3_PKT4_S7_PT5_21rocsparse_index_base_b
		.amdhsa_group_segment_fixed_size 9248
		.amdhsa_private_segment_fixed_size 0
		.amdhsa_kernarg_size 120
		.amdhsa_user_sgpr_count 15
		.amdhsa_user_sgpr_dispatch_ptr 1
		.amdhsa_user_sgpr_queue_ptr 0
		.amdhsa_user_sgpr_kernarg_segment_ptr 1
		.amdhsa_user_sgpr_dispatch_id 0
		.amdhsa_user_sgpr_private_segment_size 0
		.amdhsa_wavefront_size32 1
		.amdhsa_uses_dynamic_stack 0
		.amdhsa_enable_private_segment 0
		.amdhsa_system_sgpr_workgroup_id_x 1
		.amdhsa_system_sgpr_workgroup_id_y 0
		.amdhsa_system_sgpr_workgroup_id_z 0
		.amdhsa_system_sgpr_workgroup_info 0
		.amdhsa_system_vgpr_workitem_id 2
		.amdhsa_next_free_vgpr 27
		.amdhsa_next_free_sgpr 22
		.amdhsa_reserve_vcc 1
		.amdhsa_float_round_mode_32 0
		.amdhsa_float_round_mode_16_64 0
		.amdhsa_float_denorm_mode_32 3
		.amdhsa_float_denorm_mode_16_64 3
		.amdhsa_dx10_clamp 1
		.amdhsa_ieee_mode 1
		.amdhsa_fp16_overflow 0
		.amdhsa_workgroup_processor_mode 1
		.amdhsa_memory_ordered 1
		.amdhsa_forward_progress 0
		.amdhsa_shared_vgpr_count 0
		.amdhsa_exception_fp_ieee_invalid_op 0
		.amdhsa_exception_fp_denorm_src 0
		.amdhsa_exception_fp_ieee_div_zero 0
		.amdhsa_exception_fp_ieee_overflow 0
		.amdhsa_exception_fp_ieee_underflow 0
		.amdhsa_exception_fp_ieee_inexact 0
		.amdhsa_exception_int_div_zero 0
	.end_amdhsa_kernel
	.section	.text._ZN9rocsparseL20bsrxmvn_17_32_kernelILj17E21rocsparse_complex_numIdElldS2_S2_EEvT2_20rocsparse_direction_NS_24const_host_device_scalarIT0_EES3_PKS3_PKT1_SC_S9_PKT3_PKT4_S7_PT5_21rocsparse_index_base_b,"axG",@progbits,_ZN9rocsparseL20bsrxmvn_17_32_kernelILj17E21rocsparse_complex_numIdElldS2_S2_EEvT2_20rocsparse_direction_NS_24const_host_device_scalarIT0_EES3_PKS3_PKT1_SC_S9_PKT3_PKT4_S7_PT5_21rocsparse_index_base_b,comdat
.Lfunc_end464:
	.size	_ZN9rocsparseL20bsrxmvn_17_32_kernelILj17E21rocsparse_complex_numIdElldS2_S2_EEvT2_20rocsparse_direction_NS_24const_host_device_scalarIT0_EES3_PKS3_PKT1_SC_S9_PKT3_PKT4_S7_PT5_21rocsparse_index_base_b, .Lfunc_end464-_ZN9rocsparseL20bsrxmvn_17_32_kernelILj17E21rocsparse_complex_numIdElldS2_S2_EEvT2_20rocsparse_direction_NS_24const_host_device_scalarIT0_EES3_PKS3_PKT1_SC_S9_PKT3_PKT4_S7_PT5_21rocsparse_index_base_b
                                        ; -- End function
	.section	.AMDGPU.csdata,"",@progbits
; Kernel info:
; codeLenInByte = 2168
; NumSgprs: 24
; NumVgprs: 27
; ScratchSize: 0
; MemoryBound: 1
; FloatMode: 240
; IeeeMode: 1
; LDSByteSize: 9248 bytes/workgroup (compile time only)
; SGPRBlocks: 2
; VGPRBlocks: 3
; NumSGPRsForWavesPerEU: 24
; NumVGPRsForWavesPerEU: 27
; Occupancy: 15
; WaveLimiterHint : 1
; COMPUTE_PGM_RSRC2:SCRATCH_EN: 0
; COMPUTE_PGM_RSRC2:USER_SGPR: 15
; COMPUTE_PGM_RSRC2:TRAP_HANDLER: 0
; COMPUTE_PGM_RSRC2:TGID_X_EN: 1
; COMPUTE_PGM_RSRC2:TGID_Y_EN: 0
; COMPUTE_PGM_RSRC2:TGID_Z_EN: 0
; COMPUTE_PGM_RSRC2:TIDIG_COMP_CNT: 2
	.section	.text._ZN9rocsparseL20bsrxmvn_17_32_kernelILj18E21rocsparse_complex_numIdElldS2_S2_EEvT2_20rocsparse_direction_NS_24const_host_device_scalarIT0_EES3_PKS3_PKT1_SC_S9_PKT3_PKT4_S7_PT5_21rocsparse_index_base_b,"axG",@progbits,_ZN9rocsparseL20bsrxmvn_17_32_kernelILj18E21rocsparse_complex_numIdElldS2_S2_EEvT2_20rocsparse_direction_NS_24const_host_device_scalarIT0_EES3_PKS3_PKT1_SC_S9_PKT3_PKT4_S7_PT5_21rocsparse_index_base_b,comdat
	.globl	_ZN9rocsparseL20bsrxmvn_17_32_kernelILj18E21rocsparse_complex_numIdElldS2_S2_EEvT2_20rocsparse_direction_NS_24const_host_device_scalarIT0_EES3_PKS3_PKT1_SC_S9_PKT3_PKT4_S7_PT5_21rocsparse_index_base_b ; -- Begin function _ZN9rocsparseL20bsrxmvn_17_32_kernelILj18E21rocsparse_complex_numIdElldS2_S2_EEvT2_20rocsparse_direction_NS_24const_host_device_scalarIT0_EES3_PKS3_PKT1_SC_S9_PKT3_PKT4_S7_PT5_21rocsparse_index_base_b
	.p2align	8
	.type	_ZN9rocsparseL20bsrxmvn_17_32_kernelILj18E21rocsparse_complex_numIdElldS2_S2_EEvT2_20rocsparse_direction_NS_24const_host_device_scalarIT0_EES3_PKS3_PKT1_SC_S9_PKT3_PKT4_S7_PT5_21rocsparse_index_base_b,@function
_ZN9rocsparseL20bsrxmvn_17_32_kernelILj18E21rocsparse_complex_numIdElldS2_S2_EEvT2_20rocsparse_direction_NS_24const_host_device_scalarIT0_EES3_PKS3_PKT1_SC_S9_PKT3_PKT4_S7_PT5_21rocsparse_index_base_b: ; @_ZN9rocsparseL20bsrxmvn_17_32_kernelILj18E21rocsparse_complex_numIdElldS2_S2_EEvT2_20rocsparse_direction_NS_24const_host_device_scalarIT0_EES3_PKS3_PKT1_SC_S9_PKT3_PKT4_S7_PT5_21rocsparse_index_base_b
; %bb.0:
	s_mov_b32 s12, s15
	s_clause 0x1
	s_load_b64 s[14:15], s[2:3], 0x70
	s_load_b128 s[4:7], s[2:3], 0x10
	s_load_b64 s[16:17], s[0:1], 0x4
	s_mov_b64 s[0:1], src_shared_base
	v_and_b32_e32 v18, 0x3ff, v0
	s_load_b128 s[8:11], s[2:3], 0x58
	v_bfe_u32 v2, v0, 10, 10
	v_bfe_u32 v0, v0, 20, 10
	s_waitcnt lgkmcnt(0)
	s_bitcmp1_b32 s15, 0
	v_mov_b32_e32 v11, s7
	s_cselect_b32 s0, -1, 0
	v_mov_b32_e32 v10, s6
	s_and_b32 vcc_lo, s0, exec_lo
	s_cselect_b32 s13, s1, s5
	s_lshr_b32 s15, s16, 16
	s_xor_b32 s6, s0, -1
	s_mul_i32 s15, s15, s17
	v_mov_b32_e32 v5, s13
	v_mul_lo_u32 v1, s15, v18
	s_delay_alu instid0(VALU_DEP_1) | instskip(SKIP_1) | instid1(VALU_DEP_2)
	v_mad_u32_u24 v1, v2, s17, v1
	v_dual_mov_b32 v2, s8 :: v_dual_mov_b32 v3, s9
	v_add_lshl_u32 v6, v1, v0, 3
	v_dual_mov_b32 v0, s4 :: v_dual_mov_b32 v1, s5
	ds_store_b64 v6, v[0:1] offset:7776
	ds_store_b64 v6, v[2:3] offset:5184
	v_add_nc_u32_e32 v4, 0x1e60, v6
	v_add_nc_u32_e32 v0, 0x1440, v6
	s_delay_alu instid0(VALU_DEP_2)
	v_cndmask_b32_e64 v4, s4, v4, s0
	flat_load_b64 v[8:9], v[4:5]
	s_cbranch_vccnz .LBB465_2
; %bb.1:
	v_dual_mov_b32 v1, s4 :: v_dual_mov_b32 v2, s5
	flat_load_b64 v[10:11], v[1:2] offset:8
.LBB465_2:
	s_and_b32 s4, s0, exec_lo
	s_cselect_b32 s1, s1, s9
	v_cndmask_b32_e64 v0, s8, v0, s0
	v_dual_mov_b32 v1, s1 :: v_dual_mov_b32 v6, s10
	v_mov_b32_e32 v7, s11
	s_and_not1_b32 vcc_lo, exec_lo, s6
	flat_load_b64 v[4:5], v[0:1]
	s_cbranch_vccnz .LBB465_4
; %bb.3:
	v_dual_mov_b32 v0, s8 :: v_dual_mov_b32 v1, s9
	flat_load_b64 v[6:7], v[0:1] offset:8
.LBB465_4:
	s_waitcnt vmcnt(1) lgkmcnt(1)
	v_cmp_eq_f64_e32 vcc_lo, 0, v[8:9]
	v_cmp_eq_f64_e64 s0, 0, v[10:11]
	s_delay_alu instid0(VALU_DEP_1)
	s_and_b32 s4, vcc_lo, s0
	s_mov_b32 s0, -1
	s_and_saveexec_b32 s1, s4
	s_cbranch_execz .LBB465_6
; %bb.5:
	s_waitcnt vmcnt(0) lgkmcnt(0)
	v_cmp_neq_f64_e32 vcc_lo, 1.0, v[4:5]
	v_cmp_neq_f64_e64 s0, 0, v[6:7]
	s_delay_alu instid0(VALU_DEP_1) | instskip(NEXT) | instid1(SALU_CYCLE_1)
	s_or_b32 s0, vcc_lo, s0
	s_or_not1_b32 s0, s0, exec_lo
.LBB465_6:
	s_or_b32 exec_lo, exec_lo, s1
	s_and_saveexec_b32 s1, s0
	s_cbranch_execz .LBB465_43
; %bb.7:
	s_clause 0x1
	s_load_b128 s[4:7], s[2:3], 0x28
	s_load_b64 s[8:9], s[2:3], 0x38
	s_mov_b32 s13, 0
	s_waitcnt lgkmcnt(0)
	s_cmp_eq_u64 s[4:5], 0
	s_cbranch_scc1 .LBB465_9
; %bb.8:
	s_lshl_b64 s[0:1], s[12:13], 3
	s_delay_alu instid0(SALU_CYCLE_1)
	s_add_u32 s0, s4, s0
	s_addc_u32 s1, s5, s1
	s_load_b64 s[0:1], s[0:1], 0x0
	s_waitcnt lgkmcnt(0)
	s_sub_u32 s12, s0, s14
	s_subb_u32 s13, s1, 0
.LBB465_9:
	s_load_b32 s1, s[2:3], 0x8
	v_mul_u32_u24_e32 v0, 0xe39, v18
	v_mov_b32_e32 v2, 0
	v_mov_b32_e32 v3, 0
	s_delay_alu instid0(VALU_DEP_3) | instskip(NEXT) | instid1(VALU_DEP_1)
	v_lshrrev_b32_e32 v12, 16, v0
	v_mul_lo_u16 v0, v12, 18
	s_delay_alu instid0(VALU_DEP_1) | instskip(NEXT) | instid1(VALU_DEP_4)
	v_sub_nc_u16 v19, v18, v0
	v_dual_mov_b32 v0, v2 :: v_dual_mov_b32 v1, v3
	s_waitcnt lgkmcnt(0)
	s_cmp_eq_u32 s1, 1
	s_cselect_b32 s0, -1, 0
	s_cmp_lg_u32 s1, 1
	s_cselect_b32 s1, -1, 0
	s_lshl_b64 s[4:5], s[12:13], 3
	s_delay_alu instid0(SALU_CYCLE_1)
	s_add_u32 s6, s6, s4
	s_addc_u32 s7, s7, s5
	s_add_u32 s10, s6, 8
	s_addc_u32 s11, s7, 0
	;; [unrolled: 2-line block ×3, first 2 shown]
	s_cmp_eq_u64 s[8:9], 0
	s_load_b64 s[8:9], s[2:3], 0x68
	s_cselect_b32 s5, s11, s5
	s_cselect_b32 s4, s10, s4
	s_load_b64 s[16:17], s[6:7], 0x0
	s_load_b64 s[10:11], s[4:5], 0x0
	s_waitcnt lgkmcnt(0)
	v_cmp_ge_i64_e64 s4, s[16:17], s[10:11]
	s_delay_alu instid0(VALU_DEP_1)
	s_and_b32 vcc_lo, exec_lo, s4
	s_cbranch_vccnz .LBB465_14
; %bb.10:
	v_mul_lo_u16 v0, v12, 15
	v_and_b32_e32 v2, 0xffff, v18
	s_clause 0x1
	s_load_b64 s[18:19], s[2:3], 0x50
	s_load_b128 s[4:7], s[2:3], 0x40
	v_and_b32_e32 v1, 0xffff, v19
	s_sub_u32 s2, s10, s14
	v_lshrrev_b16 v0, 8, v0
	v_mul_u32_u24_e32 v2, 0x195, v2
	s_subb_u32 s3, s11, 0
	s_sub_u32 s10, s16, s14
	s_subb_u32 s11, s17, 0
	v_mul_lo_u16 v0, v0, 18
	v_lshrrev_b32_e32 v20, 17, v2
	s_mul_hi_u32 s15, s10, 0xa20
	s_mul_i32 s20, s11, 0xa20
	s_mul_i32 s21, s10, 0xa20
	v_sub_nc_u16 v0, v12, v0
	s_add_i32 s15, s15, s20
	v_lshlrev_b32_e32 v14, 3, v18
	s_delay_alu instid0(VALU_DEP_2) | instskip(NEXT) | instid1(VALU_DEP_1)
	v_and_b32_e32 v0, 0xff, v0
	v_cndmask_b32_e64 v0, v1, v0, s0
	v_add_co_u32 v1, s0, s16, v20
	s_delay_alu instid0(VALU_DEP_1) | instskip(NEXT) | instid1(VALU_DEP_3)
	v_add_co_ci_u32_e64 v2, null, s17, 0, s0
	v_lshlrev_b32_e32 v3, 4, v0
	s_delay_alu instid0(VALU_DEP_3) | instskip(NEXT) | instid1(VALU_DEP_3)
	v_sub_co_u32 v0, vcc_lo, v1, s14
	v_subrev_co_ci_u32_e32 v1, vcc_lo, 0, v2, vcc_lo
	s_waitcnt lgkmcnt(0)
	s_add_u32 s0, s6, s21
	s_addc_u32 s6, s7, s15
	v_add_co_u32 v12, s7, s18, v3
	v_lshlrev_b64 v[0:1], 3, v[0:1]
	v_mov_b32_e32 v2, 0
	v_mov_b32_e32 v3, 0
	v_add_co_u32 v14, s0, s0, v14
	v_add_co_ci_u32_e64 v13, null, s19, 0, s7
	v_add_co_u32 v16, vcc_lo, s4, v0
	v_add_co_ci_u32_e32 v17, vcc_lo, s5, v1, vcc_lo
	v_dual_mov_b32 v0, v2 :: v_dual_mov_b32 v1, v3
	v_add_co_ci_u32_e64 v15, null, s6, 0, s0
	s_set_inst_prefetch_distance 0x1
	s_branch .LBB465_12
	.p2align	6
.LBB465_11:                             ;   in Loop: Header=BB465_12 Depth=1
	s_or_b32 exec_lo, exec_lo, s0
	s_add_u32 s10, s10, 1
	s_addc_u32 s11, s11, 0
	v_add_co_u32 v16, vcc_lo, v16, 8
	v_cmp_lt_i64_e64 s0, s[10:11], s[2:3]
	v_add_co_ci_u32_e32 v17, vcc_lo, 0, v17, vcc_lo
	s_delay_alu instid0(VALU_DEP_2)
	s_and_b32 vcc_lo, exec_lo, s0
	s_cbranch_vccz .LBB465_14
.LBB465_12:                             ; =>This Inner Loop Header: Depth=1
	v_add_co_u32 v21, s0, v20, s10
	s_delay_alu instid0(VALU_DEP_1) | instskip(SKIP_1) | instid1(VALU_DEP_1)
	v_add_co_ci_u32_e64 v22, null, 0, s11, s0
	s_mov_b32 s0, exec_lo
	v_cmpx_gt_i64_e64 s[2:3], v[21:22]
	s_cbranch_execz .LBB465_11
; %bb.13:                               ;   in Loop: Header=BB465_12 Depth=1
	global_load_b64 v[21:22], v[16:17], off
	s_waitcnt vmcnt(0)
	v_sub_co_u32 v23, vcc_lo, v21, s14
	v_subrev_co_ci_u32_e32 v25, vcc_lo, 0, v22, vcc_lo
	s_delay_alu instid0(VALU_DEP_2) | instskip(NEXT) | instid1(VALU_DEP_1)
	v_mad_u64_u32 v[21:22], null, 0x120, v23, v[12:13]
	v_mad_u64_u32 v[23:24], null, 0x120, v25, v[22:23]
	s_delay_alu instid0(VALU_DEP_1)
	v_mov_b32_e32 v22, v23
	global_load_b64 v[25:26], v[14:15], off
	global_load_b128 v[21:24], v[21:22], off
	v_add_co_u32 v14, vcc_lo, 0xa20, v14
	v_add_co_ci_u32_e32 v15, vcc_lo, 0, v15, vcc_lo
	s_waitcnt vmcnt(0)
	v_fma_f64 v[0:1], v[25:26], v[21:22], v[0:1]
	v_fma_f64 v[2:3], v[21:22], 0, v[2:3]
	s_delay_alu instid0(VALU_DEP_2) | instskip(NEXT) | instid1(VALU_DEP_2)
	v_fma_f64 v[0:1], 0x80000000, v[23:24], v[0:1]
	v_fma_f64 v[2:3], v[25:26], v[23:24], v[2:3]
	s_branch .LBB465_11
.LBB465_14:
	s_set_inst_prefetch_distance 0x2
	v_lshlrev_b32_e32 v16, 4, v18
	s_and_b32 vcc_lo, exec_lo, s1
	ds_store_b128 v16, v[0:3]
	s_waitcnt vmcnt(0) lgkmcnt(0)
	s_barrier
	buffer_gl0_inv
	s_cbranch_vccz .LBB465_26
; %bb.15:
	v_cmp_gt_u16_e32 vcc_lo, 2, v19
	s_and_saveexec_b32 s0, vcc_lo
	s_cbranch_execz .LBB465_17
; %bb.16:
	ds_load_b128 v[12:15], v16 offset:256
	ds_load_b128 v[20:23], v16
	s_waitcnt lgkmcnt(0)
	v_add_f64 v[12:13], v[12:13], v[20:21]
	v_add_f64 v[14:15], v[14:15], v[22:23]
	ds_store_b128 v16, v[12:15]
.LBB465_17:
	s_or_b32 exec_lo, exec_lo, s0
	s_delay_alu instid0(SALU_CYCLE_1)
	s_mov_b32 s1, exec_lo
	s_waitcnt lgkmcnt(0)
	s_barrier
	buffer_gl0_inv
	v_cmpx_gt_u16_e32 8, v19
	s_cbranch_execz .LBB465_19
; %bb.18:
	ds_load_b128 v[12:15], v16 offset:128
	ds_load_b128 v[20:23], v16
	s_waitcnt lgkmcnt(0)
	v_add_f64 v[12:13], v[12:13], v[20:21]
	v_add_f64 v[14:15], v[14:15], v[22:23]
	ds_store_b128 v16, v[12:15]
.LBB465_19:
	s_or_b32 exec_lo, exec_lo, s1
	s_delay_alu instid0(SALU_CYCLE_1)
	s_mov_b32 s1, exec_lo
	s_waitcnt lgkmcnt(0)
	s_barrier
	buffer_gl0_inv
	v_cmpx_gt_u16_e32 4, v19
	s_cbranch_execz .LBB465_21
; %bb.20:
	ds_load_b128 v[12:15], v16 offset:64
	ds_load_b128 v[19:22], v16
	s_waitcnt lgkmcnt(0)
	v_add_f64 v[12:13], v[12:13], v[19:20]
	v_add_f64 v[14:15], v[14:15], v[21:22]
	ds_store_b128 v16, v[12:15]
.LBB465_21:
	s_or_b32 exec_lo, exec_lo, s1
	s_waitcnt lgkmcnt(0)
	s_barrier
	buffer_gl0_inv
	s_and_saveexec_b32 s0, vcc_lo
	s_cbranch_execz .LBB465_23
; %bb.22:
	ds_load_b128 v[12:15], v16
	ds_load_b128 v[19:22], v16 offset:32
	s_waitcnt lgkmcnt(0)
	v_add_f64 v[12:13], v[19:20], v[12:13]
	v_add_f64 v[14:15], v[21:22], v[14:15]
	ds_store_b128 v16, v[12:15]
.LBB465_23:
	s_or_b32 exec_lo, exec_lo, s0
	v_dual_mov_b32 v15, v3 :: v_dual_mov_b32 v14, v2
	v_dual_mov_b32 v13, v1 :: v_dual_mov_b32 v12, v0
	s_mov_b32 s0, exec_lo
	s_waitcnt lgkmcnt(0)
	s_barrier
	buffer_gl0_inv
	v_cmpx_gt_u32_e32 18, v18
	s_cbranch_execz .LBB465_25
; %bb.24:
	v_mul_u32_u24_e32 v12, 18, v18
	s_delay_alu instid0(VALU_DEP_1)
	v_lshlrev_b32_e32 v17, 4, v12
	ds_load_b128 v[12:15], v17
	ds_load_b128 v[19:22], v17 offset:16
	s_waitcnt lgkmcnt(0)
	v_add_f64 v[12:13], v[19:20], v[12:13]
	v_add_f64 v[14:15], v[21:22], v[14:15]
.LBB465_25:
	s_or_b32 exec_lo, exec_lo, s0
	s_branch .LBB465_38
.LBB465_26:
                                        ; implicit-def: $vgpr14_vgpr15
                                        ; implicit-def: $vgpr12_vgpr13
	s_cbranch_execz .LBB465_38
; %bb.27:
	v_cmp_gt_u32_e32 vcc_lo, 36, v18
	s_and_saveexec_b32 s0, vcc_lo
	s_cbranch_execz .LBB465_29
; %bb.28:
	ds_load_b128 v[12:15], v16 offset:4608
	ds_load_b128 v[19:22], v16
	s_waitcnt lgkmcnt(0)
	v_add_f64 v[12:13], v[12:13], v[19:20]
	v_add_f64 v[14:15], v[14:15], v[21:22]
	ds_store_b128 v16, v[12:15]
.LBB465_29:
	s_or_b32 exec_lo, exec_lo, s0
	s_delay_alu instid0(SALU_CYCLE_1)
	s_mov_b32 s1, exec_lo
	s_waitcnt lgkmcnt(0)
	s_barrier
	buffer_gl0_inv
	v_cmpx_gt_u32_e32 0x90, v18
	s_cbranch_execz .LBB465_31
; %bb.30:
	ds_load_b128 v[12:15], v16 offset:2304
	ds_load_b128 v[19:22], v16
	s_waitcnt lgkmcnt(0)
	v_add_f64 v[12:13], v[12:13], v[19:20]
	v_add_f64 v[14:15], v[14:15], v[21:22]
	ds_store_b128 v16, v[12:15]
.LBB465_31:
	s_or_b32 exec_lo, exec_lo, s1
	s_delay_alu instid0(SALU_CYCLE_1)
	s_mov_b32 s1, exec_lo
	s_waitcnt lgkmcnt(0)
	s_barrier
	buffer_gl0_inv
	v_cmpx_gt_u32_e32 0x48, v18
	s_cbranch_execz .LBB465_33
; %bb.32:
	ds_load_b128 v[12:15], v16 offset:1152
	ds_load_b128 v[19:22], v16
	s_waitcnt lgkmcnt(0)
	v_add_f64 v[12:13], v[12:13], v[19:20]
	v_add_f64 v[14:15], v[14:15], v[21:22]
	ds_store_b128 v16, v[12:15]
.LBB465_33:
	s_or_b32 exec_lo, exec_lo, s1
	s_waitcnt lgkmcnt(0)
	s_barrier
	buffer_gl0_inv
	s_and_saveexec_b32 s0, vcc_lo
	s_cbranch_execz .LBB465_35
; %bb.34:
	ds_load_b128 v[12:15], v16 offset:576
	ds_load_b128 v[19:22], v16
	s_waitcnt lgkmcnt(0)
	v_add_f64 v[12:13], v[12:13], v[19:20]
	v_add_f64 v[14:15], v[14:15], v[21:22]
	ds_store_b128 v16, v[12:15]
.LBB465_35:
	s_or_b32 exec_lo, exec_lo, s0
	s_delay_alu instid0(SALU_CYCLE_1)
	s_mov_b32 s0, exec_lo
	s_waitcnt lgkmcnt(0)
	buffer_gl0_inv
	v_cmpx_gt_u32_e32 18, v18
	s_cbranch_execz .LBB465_37
; %bb.36:
	ds_load_b128 v[0:3], v16 offset:288
	ds_load_b128 v[12:15], v16
	s_waitcnt lgkmcnt(0)
	v_add_f64 v[0:1], v[0:1], v[12:13]
	v_add_f64 v[2:3], v[2:3], v[14:15]
.LBB465_37:
	s_or_b32 exec_lo, exec_lo, s0
	s_delay_alu instid0(VALU_DEP_1) | instskip(NEXT) | instid1(VALU_DEP_3)
	v_dual_mov_b32 v15, v3 :: v_dual_mov_b32 v14, v2
	v_dual_mov_b32 v13, v1 :: v_dual_mov_b32 v12, v0
.LBB465_38:
	v_cmp_gt_u32_e32 vcc_lo, 18, v18
	s_and_b32 exec_lo, exec_lo, vcc_lo
	s_cbranch_execz .LBB465_43
; %bb.39:
	s_delay_alu instid0(VALU_DEP_2)
	v_mul_f64 v[0:1], v[14:15], -v[10:11]
	v_mul_f64 v[2:3], v[8:9], v[14:15]
	v_cmp_eq_f64_e32 vcc_lo, 0, v[4:5]
	v_cmp_eq_f64_e64 s0, 0, v[6:7]
	s_mul_hi_u32 s1, s12, 0x120
	s_mul_i32 s2, s12, 0x120
	s_delay_alu instid0(VALU_DEP_4) | instskip(NEXT) | instid1(VALU_DEP_4)
	v_fma_f64 v[0:1], v[8:9], v[12:13], v[0:1]
	v_fma_f64 v[2:3], v[10:11], v[12:13], v[2:3]
	s_delay_alu instid0(VALU_DEP_3) | instskip(SKIP_2) | instid1(SALU_CYCLE_1)
	s_and_b32 s3, vcc_lo, s0
	s_mul_i32 s0, s13, 0x120
	s_and_saveexec_b32 s4, s3
	s_xor_b32 s3, exec_lo, s4
	s_cbranch_execz .LBB465_41
; %bb.40:
	s_add_i32 s5, s1, s0
	s_add_u32 s4, s8, s2
	s_addc_u32 s5, s9, s5
                                        ; implicit-def: $vgpr4_vgpr5
                                        ; implicit-def: $vgpr6_vgpr7
	global_store_b128 v16, v[0:3], s[4:5]
                                        ; implicit-def: $vgpr16
                                        ; implicit-def: $vgpr0_vgpr1
.LBB465_41:
	s_and_not1_saveexec_b32 s3, s3
	s_cbranch_execz .LBB465_43
; %bb.42:
	s_add_i32 s1, s1, s0
	s_add_u32 s0, s8, s2
	s_addc_u32 s1, s9, s1
	global_load_b128 v[8:11], v16, s[0:1]
	s_waitcnt vmcnt(0)
	v_fma_f64 v[0:1], v[4:5], v[8:9], v[0:1]
	v_fma_f64 v[2:3], v[6:7], v[8:9], v[2:3]
	s_delay_alu instid0(VALU_DEP_2) | instskip(NEXT) | instid1(VALU_DEP_2)
	v_fma_f64 v[0:1], -v[6:7], v[10:11], v[0:1]
	v_fma_f64 v[2:3], v[4:5], v[10:11], v[2:3]
	global_store_b128 v16, v[0:3], s[0:1]
.LBB465_43:
	s_nop 0
	s_sendmsg sendmsg(MSG_DEALLOC_VGPRS)
	s_endpgm
	.section	.rodata,"a",@progbits
	.p2align	6, 0x0
	.amdhsa_kernel _ZN9rocsparseL20bsrxmvn_17_32_kernelILj18E21rocsparse_complex_numIdElldS2_S2_EEvT2_20rocsparse_direction_NS_24const_host_device_scalarIT0_EES3_PKS3_PKT1_SC_S9_PKT3_PKT4_S7_PT5_21rocsparse_index_base_b
		.amdhsa_group_segment_fixed_size 10368
		.amdhsa_private_segment_fixed_size 0
		.amdhsa_kernarg_size 120
		.amdhsa_user_sgpr_count 15
		.amdhsa_user_sgpr_dispatch_ptr 1
		.amdhsa_user_sgpr_queue_ptr 0
		.amdhsa_user_sgpr_kernarg_segment_ptr 1
		.amdhsa_user_sgpr_dispatch_id 0
		.amdhsa_user_sgpr_private_segment_size 0
		.amdhsa_wavefront_size32 1
		.amdhsa_uses_dynamic_stack 0
		.amdhsa_enable_private_segment 0
		.amdhsa_system_sgpr_workgroup_id_x 1
		.amdhsa_system_sgpr_workgroup_id_y 0
		.amdhsa_system_sgpr_workgroup_id_z 0
		.amdhsa_system_sgpr_workgroup_info 0
		.amdhsa_system_vgpr_workitem_id 2
		.amdhsa_next_free_vgpr 27
		.amdhsa_next_free_sgpr 22
		.amdhsa_reserve_vcc 1
		.amdhsa_float_round_mode_32 0
		.amdhsa_float_round_mode_16_64 0
		.amdhsa_float_denorm_mode_32 3
		.amdhsa_float_denorm_mode_16_64 3
		.amdhsa_dx10_clamp 1
		.amdhsa_ieee_mode 1
		.amdhsa_fp16_overflow 0
		.amdhsa_workgroup_processor_mode 1
		.amdhsa_memory_ordered 1
		.amdhsa_forward_progress 0
		.amdhsa_shared_vgpr_count 0
		.amdhsa_exception_fp_ieee_invalid_op 0
		.amdhsa_exception_fp_denorm_src 0
		.amdhsa_exception_fp_ieee_div_zero 0
		.amdhsa_exception_fp_ieee_overflow 0
		.amdhsa_exception_fp_ieee_underflow 0
		.amdhsa_exception_fp_ieee_inexact 0
		.amdhsa_exception_int_div_zero 0
	.end_amdhsa_kernel
	.section	.text._ZN9rocsparseL20bsrxmvn_17_32_kernelILj18E21rocsparse_complex_numIdElldS2_S2_EEvT2_20rocsparse_direction_NS_24const_host_device_scalarIT0_EES3_PKS3_PKT1_SC_S9_PKT3_PKT4_S7_PT5_21rocsparse_index_base_b,"axG",@progbits,_ZN9rocsparseL20bsrxmvn_17_32_kernelILj18E21rocsparse_complex_numIdElldS2_S2_EEvT2_20rocsparse_direction_NS_24const_host_device_scalarIT0_EES3_PKS3_PKT1_SC_S9_PKT3_PKT4_S7_PT5_21rocsparse_index_base_b,comdat
.Lfunc_end465:
	.size	_ZN9rocsparseL20bsrxmvn_17_32_kernelILj18E21rocsparse_complex_numIdElldS2_S2_EEvT2_20rocsparse_direction_NS_24const_host_device_scalarIT0_EES3_PKS3_PKT1_SC_S9_PKT3_PKT4_S7_PT5_21rocsparse_index_base_b, .Lfunc_end465-_ZN9rocsparseL20bsrxmvn_17_32_kernelILj18E21rocsparse_complex_numIdElldS2_S2_EEvT2_20rocsparse_direction_NS_24const_host_device_scalarIT0_EES3_PKS3_PKT1_SC_S9_PKT3_PKT4_S7_PT5_21rocsparse_index_base_b
                                        ; -- End function
	.section	.AMDGPU.csdata,"",@progbits
; Kernel info:
; codeLenInByte = 2144
; NumSgprs: 24
; NumVgprs: 27
; ScratchSize: 0
; MemoryBound: 1
; FloatMode: 240
; IeeeMode: 1
; LDSByteSize: 10368 bytes/workgroup (compile time only)
; SGPRBlocks: 2
; VGPRBlocks: 3
; NumSGPRsForWavesPerEU: 24
; NumVGPRsForWavesPerEU: 27
; Occupancy: 14
; WaveLimiterHint : 1
; COMPUTE_PGM_RSRC2:SCRATCH_EN: 0
; COMPUTE_PGM_RSRC2:USER_SGPR: 15
; COMPUTE_PGM_RSRC2:TRAP_HANDLER: 0
; COMPUTE_PGM_RSRC2:TGID_X_EN: 1
; COMPUTE_PGM_RSRC2:TGID_Y_EN: 0
; COMPUTE_PGM_RSRC2:TGID_Z_EN: 0
; COMPUTE_PGM_RSRC2:TIDIG_COMP_CNT: 2
	.section	.text._ZN9rocsparseL20bsrxmvn_17_32_kernelILj19E21rocsparse_complex_numIdElldS2_S2_EEvT2_20rocsparse_direction_NS_24const_host_device_scalarIT0_EES3_PKS3_PKT1_SC_S9_PKT3_PKT4_S7_PT5_21rocsparse_index_base_b,"axG",@progbits,_ZN9rocsparseL20bsrxmvn_17_32_kernelILj19E21rocsparse_complex_numIdElldS2_S2_EEvT2_20rocsparse_direction_NS_24const_host_device_scalarIT0_EES3_PKS3_PKT1_SC_S9_PKT3_PKT4_S7_PT5_21rocsparse_index_base_b,comdat
	.globl	_ZN9rocsparseL20bsrxmvn_17_32_kernelILj19E21rocsparse_complex_numIdElldS2_S2_EEvT2_20rocsparse_direction_NS_24const_host_device_scalarIT0_EES3_PKS3_PKT1_SC_S9_PKT3_PKT4_S7_PT5_21rocsparse_index_base_b ; -- Begin function _ZN9rocsparseL20bsrxmvn_17_32_kernelILj19E21rocsparse_complex_numIdElldS2_S2_EEvT2_20rocsparse_direction_NS_24const_host_device_scalarIT0_EES3_PKS3_PKT1_SC_S9_PKT3_PKT4_S7_PT5_21rocsparse_index_base_b
	.p2align	8
	.type	_ZN9rocsparseL20bsrxmvn_17_32_kernelILj19E21rocsparse_complex_numIdElldS2_S2_EEvT2_20rocsparse_direction_NS_24const_host_device_scalarIT0_EES3_PKS3_PKT1_SC_S9_PKT3_PKT4_S7_PT5_21rocsparse_index_base_b,@function
_ZN9rocsparseL20bsrxmvn_17_32_kernelILj19E21rocsparse_complex_numIdElldS2_S2_EEvT2_20rocsparse_direction_NS_24const_host_device_scalarIT0_EES3_PKS3_PKT1_SC_S9_PKT3_PKT4_S7_PT5_21rocsparse_index_base_b: ; @_ZN9rocsparseL20bsrxmvn_17_32_kernelILj19E21rocsparse_complex_numIdElldS2_S2_EEvT2_20rocsparse_direction_NS_24const_host_device_scalarIT0_EES3_PKS3_PKT1_SC_S9_PKT3_PKT4_S7_PT5_21rocsparse_index_base_b
; %bb.0:
	s_mov_b32 s12, s15
	s_clause 0x1
	s_load_b64 s[14:15], s[2:3], 0x70
	s_load_b128 s[4:7], s[2:3], 0x10
	s_load_b64 s[16:17], s[0:1], 0x4
	s_mov_b64 s[0:1], src_shared_base
	v_and_b32_e32 v18, 0x3ff, v0
	s_load_b128 s[8:11], s[2:3], 0x58
	v_bfe_u32 v2, v0, 10, 10
	v_bfe_u32 v0, v0, 20, 10
	s_waitcnt lgkmcnt(0)
	s_bitcmp1_b32 s15, 0
	v_mov_b32_e32 v11, s7
	s_cselect_b32 s0, -1, 0
	v_mov_b32_e32 v10, s6
	s_and_b32 vcc_lo, s0, exec_lo
	s_cselect_b32 s13, s1, s5
	s_lshr_b32 s15, s16, 16
	s_xor_b32 s6, s0, -1
	s_mul_i32 s15, s15, s17
	v_mov_b32_e32 v5, s13
	v_mul_lo_u32 v1, s15, v18
	s_delay_alu instid0(VALU_DEP_1) | instskip(SKIP_1) | instid1(VALU_DEP_2)
	v_mad_u32_u24 v1, v2, s17, v1
	v_dual_mov_b32 v2, s8 :: v_dual_mov_b32 v3, s9
	v_add_lshl_u32 v6, v1, v0, 3
	v_dual_mov_b32 v0, s4 :: v_dual_mov_b32 v1, s5
	ds_store_b64 v6, v[0:1] offset:8664
	ds_store_b64 v6, v[2:3] offset:5776
	v_add_nc_u32_e32 v4, 0x21d8, v6
	v_add_nc_u32_e32 v0, 0x1690, v6
	s_delay_alu instid0(VALU_DEP_2)
	v_cndmask_b32_e64 v4, s4, v4, s0
	flat_load_b64 v[8:9], v[4:5]
	s_cbranch_vccnz .LBB466_2
; %bb.1:
	v_dual_mov_b32 v1, s4 :: v_dual_mov_b32 v2, s5
	flat_load_b64 v[10:11], v[1:2] offset:8
.LBB466_2:
	s_and_b32 s4, s0, exec_lo
	s_cselect_b32 s1, s1, s9
	v_cndmask_b32_e64 v0, s8, v0, s0
	v_dual_mov_b32 v1, s1 :: v_dual_mov_b32 v6, s10
	v_mov_b32_e32 v7, s11
	s_and_not1_b32 vcc_lo, exec_lo, s6
	flat_load_b64 v[4:5], v[0:1]
	s_cbranch_vccnz .LBB466_4
; %bb.3:
	v_dual_mov_b32 v0, s8 :: v_dual_mov_b32 v1, s9
	flat_load_b64 v[6:7], v[0:1] offset:8
.LBB466_4:
	s_waitcnt vmcnt(1) lgkmcnt(1)
	v_cmp_eq_f64_e32 vcc_lo, 0, v[8:9]
	v_cmp_eq_f64_e64 s0, 0, v[10:11]
	s_delay_alu instid0(VALU_DEP_1)
	s_and_b32 s4, vcc_lo, s0
	s_mov_b32 s0, -1
	s_and_saveexec_b32 s1, s4
	s_cbranch_execz .LBB466_6
; %bb.5:
	s_waitcnt vmcnt(0) lgkmcnt(0)
	v_cmp_neq_f64_e32 vcc_lo, 1.0, v[4:5]
	v_cmp_neq_f64_e64 s0, 0, v[6:7]
	s_delay_alu instid0(VALU_DEP_1) | instskip(NEXT) | instid1(SALU_CYCLE_1)
	s_or_b32 s0, vcc_lo, s0
	s_or_not1_b32 s0, s0, exec_lo
.LBB466_6:
	s_or_b32 exec_lo, exec_lo, s1
	s_and_saveexec_b32 s1, s0
	s_cbranch_execz .LBB466_43
; %bb.7:
	s_clause 0x1
	s_load_b128 s[4:7], s[2:3], 0x28
	s_load_b64 s[8:9], s[2:3], 0x38
	s_mov_b32 s13, 0
	s_waitcnt lgkmcnt(0)
	s_cmp_eq_u64 s[4:5], 0
	s_cbranch_scc1 .LBB466_9
; %bb.8:
	s_lshl_b64 s[0:1], s[12:13], 3
	s_delay_alu instid0(SALU_CYCLE_1)
	s_add_u32 s0, s4, s0
	s_addc_u32 s1, s5, s1
	s_load_b64 s[0:1], s[0:1], 0x0
	s_waitcnt lgkmcnt(0)
	s_sub_u32 s12, s0, s14
	s_subb_u32 s13, s1, 0
.LBB466_9:
	s_load_b32 s1, s[2:3], 0x8
	v_mul_u32_u24_e32 v0, 0xd7a, v18
	v_mov_b32_e32 v2, 0
	v_mov_b32_e32 v3, 0
	s_delay_alu instid0(VALU_DEP_3) | instskip(NEXT) | instid1(VALU_DEP_1)
	v_lshrrev_b32_e32 v12, 16, v0
	v_mul_lo_u16 v0, v12, 19
	s_delay_alu instid0(VALU_DEP_1) | instskip(NEXT) | instid1(VALU_DEP_4)
	v_sub_nc_u16 v19, v18, v0
	v_dual_mov_b32 v0, v2 :: v_dual_mov_b32 v1, v3
	s_waitcnt lgkmcnt(0)
	s_cmp_eq_u32 s1, 1
	s_cselect_b32 s0, -1, 0
	s_cmp_lg_u32 s1, 1
	s_cselect_b32 s1, -1, 0
	s_lshl_b64 s[4:5], s[12:13], 3
	s_delay_alu instid0(SALU_CYCLE_1)
	s_add_u32 s6, s6, s4
	s_addc_u32 s7, s7, s5
	s_add_u32 s10, s6, 8
	s_addc_u32 s11, s7, 0
	;; [unrolled: 2-line block ×3, first 2 shown]
	s_cmp_eq_u64 s[8:9], 0
	s_load_b64 s[8:9], s[2:3], 0x68
	s_cselect_b32 s5, s11, s5
	s_cselect_b32 s4, s10, s4
	s_load_b64 s[16:17], s[6:7], 0x0
	s_load_b64 s[10:11], s[4:5], 0x0
	s_waitcnt lgkmcnt(0)
	v_cmp_ge_i64_e64 s4, s[16:17], s[10:11]
	s_delay_alu instid0(VALU_DEP_1)
	s_and_b32 vcc_lo, exec_lo, s4
	s_cbranch_vccnz .LBB466_14
; %bb.10:
	v_mul_lo_u16 v0, v12, 14
	v_and_b32_e32 v2, 0xffff, v18
	s_clause 0x1
	s_load_b64 s[18:19], s[2:3], 0x50
	s_load_b128 s[4:7], s[2:3], 0x40
	v_and_b32_e32 v1, 0xffff, v19
	s_sub_u32 s2, s10, s14
	v_lshrrev_b16 v0, 8, v0
	v_mul_u32_u24_e32 v2, 0xb6, v2
	s_subb_u32 s3, s11, 0
	s_sub_u32 s10, s16, s14
	s_subb_u32 s11, s17, 0
	v_mul_lo_u16 v0, v0, 19
	v_lshrrev_b32_e32 v20, 16, v2
	s_mul_hi_u32 s15, s10, 0xb48
	s_mul_i32 s20, s11, 0xb48
	s_mul_i32 s21, s10, 0xb48
	v_sub_nc_u16 v0, v12, v0
	s_add_i32 s15, s15, s20
	v_lshlrev_b32_e32 v14, 3, v18
	s_delay_alu instid0(VALU_DEP_2) | instskip(NEXT) | instid1(VALU_DEP_1)
	v_and_b32_e32 v0, 0xff, v0
	v_cndmask_b32_e64 v0, v1, v0, s0
	v_add_co_u32 v1, s0, s16, v20
	s_delay_alu instid0(VALU_DEP_1) | instskip(NEXT) | instid1(VALU_DEP_3)
	v_add_co_ci_u32_e64 v2, null, s17, 0, s0
	v_lshlrev_b32_e32 v3, 4, v0
	s_delay_alu instid0(VALU_DEP_3) | instskip(NEXT) | instid1(VALU_DEP_3)
	v_sub_co_u32 v0, vcc_lo, v1, s14
	v_subrev_co_ci_u32_e32 v1, vcc_lo, 0, v2, vcc_lo
	s_waitcnt lgkmcnt(0)
	s_add_u32 s0, s6, s21
	s_addc_u32 s6, s7, s15
	v_add_co_u32 v12, s7, s18, v3
	v_lshlrev_b64 v[0:1], 3, v[0:1]
	v_mov_b32_e32 v2, 0
	v_mov_b32_e32 v3, 0
	v_add_co_u32 v14, s0, s0, v14
	v_add_co_ci_u32_e64 v13, null, s19, 0, s7
	v_add_co_u32 v16, vcc_lo, s4, v0
	v_add_co_ci_u32_e32 v17, vcc_lo, s5, v1, vcc_lo
	v_dual_mov_b32 v0, v2 :: v_dual_mov_b32 v1, v3
	v_add_co_ci_u32_e64 v15, null, s6, 0, s0
	s_set_inst_prefetch_distance 0x1
	s_branch .LBB466_12
	.p2align	6
.LBB466_11:                             ;   in Loop: Header=BB466_12 Depth=1
	s_or_b32 exec_lo, exec_lo, s0
	s_add_u32 s10, s10, 1
	s_addc_u32 s11, s11, 0
	v_add_co_u32 v16, vcc_lo, v16, 8
	v_cmp_lt_i64_e64 s0, s[10:11], s[2:3]
	v_add_co_ci_u32_e32 v17, vcc_lo, 0, v17, vcc_lo
	s_delay_alu instid0(VALU_DEP_2)
	s_and_b32 vcc_lo, exec_lo, s0
	s_cbranch_vccz .LBB466_14
.LBB466_12:                             ; =>This Inner Loop Header: Depth=1
	v_add_co_u32 v21, s0, v20, s10
	s_delay_alu instid0(VALU_DEP_1) | instskip(SKIP_1) | instid1(VALU_DEP_1)
	v_add_co_ci_u32_e64 v22, null, 0, s11, s0
	s_mov_b32 s0, exec_lo
	v_cmpx_gt_i64_e64 s[2:3], v[21:22]
	s_cbranch_execz .LBB466_11
; %bb.13:                               ;   in Loop: Header=BB466_12 Depth=1
	global_load_b64 v[21:22], v[16:17], off
	s_waitcnt vmcnt(0)
	v_sub_co_u32 v23, vcc_lo, v21, s14
	v_subrev_co_ci_u32_e32 v25, vcc_lo, 0, v22, vcc_lo
	s_delay_alu instid0(VALU_DEP_2) | instskip(NEXT) | instid1(VALU_DEP_1)
	v_mad_u64_u32 v[21:22], null, 0x130, v23, v[12:13]
	v_mad_u64_u32 v[23:24], null, 0x130, v25, v[22:23]
	s_delay_alu instid0(VALU_DEP_1)
	v_mov_b32_e32 v22, v23
	global_load_b64 v[25:26], v[14:15], off
	global_load_b128 v[21:24], v[21:22], off
	v_add_co_u32 v14, vcc_lo, 0xb48, v14
	v_add_co_ci_u32_e32 v15, vcc_lo, 0, v15, vcc_lo
	s_waitcnt vmcnt(0)
	v_fma_f64 v[0:1], v[25:26], v[21:22], v[0:1]
	v_fma_f64 v[2:3], v[21:22], 0, v[2:3]
	s_delay_alu instid0(VALU_DEP_2) | instskip(NEXT) | instid1(VALU_DEP_2)
	v_fma_f64 v[0:1], 0x80000000, v[23:24], v[0:1]
	v_fma_f64 v[2:3], v[25:26], v[23:24], v[2:3]
	s_branch .LBB466_11
.LBB466_14:
	s_set_inst_prefetch_distance 0x2
	v_lshlrev_b32_e32 v16, 4, v18
	s_and_b32 vcc_lo, exec_lo, s1
	ds_store_b128 v16, v[0:3]
	s_waitcnt vmcnt(0) lgkmcnt(0)
	s_barrier
	buffer_gl0_inv
	s_cbranch_vccz .LBB466_26
; %bb.15:
	s_mov_b32 s0, exec_lo
	v_cmpx_gt_u16_e32 3, v19
	s_cbranch_execz .LBB466_17
; %bb.16:
	ds_load_b128 v[12:15], v16 offset:256
	ds_load_b128 v[20:23], v16
	s_waitcnt lgkmcnt(0)
	v_add_f64 v[12:13], v[12:13], v[20:21]
	v_add_f64 v[14:15], v[14:15], v[22:23]
	ds_store_b128 v16, v[12:15]
.LBB466_17:
	s_or_b32 exec_lo, exec_lo, s0
	s_delay_alu instid0(SALU_CYCLE_1)
	s_mov_b32 s0, exec_lo
	s_waitcnt lgkmcnt(0)
	s_barrier
	buffer_gl0_inv
	v_cmpx_gt_u16_e32 8, v19
	s_cbranch_execz .LBB466_19
; %bb.18:
	ds_load_b128 v[12:15], v16 offset:128
	ds_load_b128 v[20:23], v16
	s_waitcnt lgkmcnt(0)
	v_add_f64 v[12:13], v[12:13], v[20:21]
	v_add_f64 v[14:15], v[14:15], v[22:23]
	ds_store_b128 v16, v[12:15]
.LBB466_19:
	s_or_b32 exec_lo, exec_lo, s0
	s_delay_alu instid0(SALU_CYCLE_1)
	s_mov_b32 s0, exec_lo
	s_waitcnt lgkmcnt(0)
	s_barrier
	buffer_gl0_inv
	;; [unrolled: 16-line block ×3, first 2 shown]
	v_cmpx_gt_u16_e32 2, v19
	s_cbranch_execz .LBB466_23
; %bb.22:
	ds_load_b128 v[12:15], v16
	ds_load_b128 v[19:22], v16 offset:32
	s_waitcnt lgkmcnt(0)
	v_add_f64 v[12:13], v[19:20], v[12:13]
	v_add_f64 v[14:15], v[21:22], v[14:15]
	ds_store_b128 v16, v[12:15]
.LBB466_23:
	s_or_b32 exec_lo, exec_lo, s0
	v_dual_mov_b32 v15, v3 :: v_dual_mov_b32 v14, v2
	v_dual_mov_b32 v13, v1 :: v_dual_mov_b32 v12, v0
	s_mov_b32 s0, exec_lo
	s_waitcnt lgkmcnt(0)
	s_barrier
	buffer_gl0_inv
	v_cmpx_gt_u32_e32 19, v18
	s_cbranch_execz .LBB466_25
; %bb.24:
	v_mul_u32_u24_e32 v12, 19, v18
	s_delay_alu instid0(VALU_DEP_1)
	v_lshlrev_b32_e32 v17, 4, v12
	ds_load_b128 v[12:15], v17
	ds_load_b128 v[19:22], v17 offset:16
	s_waitcnt lgkmcnt(0)
	v_add_f64 v[12:13], v[19:20], v[12:13]
	v_add_f64 v[14:15], v[21:22], v[14:15]
.LBB466_25:
	s_or_b32 exec_lo, exec_lo, s0
	s_branch .LBB466_38
.LBB466_26:
                                        ; implicit-def: $vgpr14_vgpr15
                                        ; implicit-def: $vgpr12_vgpr13
	s_cbranch_execz .LBB466_38
; %bb.27:
	s_mov_b32 s0, exec_lo
	v_cmpx_gt_u32_e32 57, v18
	s_cbranch_execz .LBB466_29
; %bb.28:
	ds_load_b128 v[12:15], v16 offset:4864
	ds_load_b128 v[19:22], v16
	s_waitcnt lgkmcnt(0)
	v_add_f64 v[12:13], v[12:13], v[19:20]
	v_add_f64 v[14:15], v[14:15], v[21:22]
	ds_store_b128 v16, v[12:15]
.LBB466_29:
	s_or_b32 exec_lo, exec_lo, s0
	s_delay_alu instid0(SALU_CYCLE_1)
	s_mov_b32 s0, exec_lo
	s_waitcnt lgkmcnt(0)
	s_barrier
	buffer_gl0_inv
	v_cmpx_gt_u32_e32 0x98, v18
	s_cbranch_execz .LBB466_31
; %bb.30:
	ds_load_b128 v[12:15], v16 offset:2432
	ds_load_b128 v[19:22], v16
	s_waitcnt lgkmcnt(0)
	v_add_f64 v[12:13], v[12:13], v[19:20]
	v_add_f64 v[14:15], v[14:15], v[21:22]
	ds_store_b128 v16, v[12:15]
.LBB466_31:
	s_or_b32 exec_lo, exec_lo, s0
	s_delay_alu instid0(SALU_CYCLE_1)
	s_mov_b32 s0, exec_lo
	s_waitcnt lgkmcnt(0)
	s_barrier
	buffer_gl0_inv
	;; [unrolled: 16-line block ×3, first 2 shown]
	v_cmpx_gt_u32_e32 38, v18
	s_cbranch_execz .LBB466_35
; %bb.34:
	ds_load_b128 v[12:15], v16 offset:608
	ds_load_b128 v[19:22], v16
	s_waitcnt lgkmcnt(0)
	v_add_f64 v[12:13], v[12:13], v[19:20]
	v_add_f64 v[14:15], v[14:15], v[21:22]
	ds_store_b128 v16, v[12:15]
.LBB466_35:
	s_or_b32 exec_lo, exec_lo, s0
	s_delay_alu instid0(SALU_CYCLE_1)
	s_mov_b32 s0, exec_lo
	s_waitcnt lgkmcnt(0)
	buffer_gl0_inv
	v_cmpx_gt_u32_e32 19, v18
	s_cbranch_execz .LBB466_37
; %bb.36:
	ds_load_b128 v[0:3], v16 offset:304
	ds_load_b128 v[12:15], v16
	s_waitcnt lgkmcnt(0)
	v_add_f64 v[0:1], v[0:1], v[12:13]
	v_add_f64 v[2:3], v[2:3], v[14:15]
.LBB466_37:
	s_or_b32 exec_lo, exec_lo, s0
	s_delay_alu instid0(VALU_DEP_1) | instskip(NEXT) | instid1(VALU_DEP_3)
	v_dual_mov_b32 v15, v3 :: v_dual_mov_b32 v14, v2
	v_dual_mov_b32 v13, v1 :: v_dual_mov_b32 v12, v0
.LBB466_38:
	v_cmp_gt_u32_e32 vcc_lo, 19, v18
	s_and_b32 exec_lo, exec_lo, vcc_lo
	s_cbranch_execz .LBB466_43
; %bb.39:
	s_delay_alu instid0(VALU_DEP_2)
	v_mul_f64 v[0:1], v[14:15], -v[10:11]
	v_mul_f64 v[2:3], v[8:9], v[14:15]
	v_cmp_eq_f64_e32 vcc_lo, 0, v[4:5]
	v_cmp_eq_f64_e64 s0, 0, v[6:7]
	s_mul_hi_u32 s1, s12, 0x130
	s_mul_i32 s2, s12, 0x130
	s_delay_alu instid0(VALU_DEP_4) | instskip(NEXT) | instid1(VALU_DEP_4)
	v_fma_f64 v[0:1], v[8:9], v[12:13], v[0:1]
	v_fma_f64 v[2:3], v[10:11], v[12:13], v[2:3]
	s_delay_alu instid0(VALU_DEP_3) | instskip(SKIP_2) | instid1(SALU_CYCLE_1)
	s_and_b32 s3, vcc_lo, s0
	s_mul_i32 s0, s13, 0x130
	s_and_saveexec_b32 s4, s3
	s_xor_b32 s3, exec_lo, s4
	s_cbranch_execz .LBB466_41
; %bb.40:
	s_add_i32 s5, s1, s0
	s_add_u32 s4, s8, s2
	s_addc_u32 s5, s9, s5
                                        ; implicit-def: $vgpr4_vgpr5
                                        ; implicit-def: $vgpr6_vgpr7
	global_store_b128 v16, v[0:3], s[4:5]
                                        ; implicit-def: $vgpr16
                                        ; implicit-def: $vgpr0_vgpr1
.LBB466_41:
	s_and_not1_saveexec_b32 s3, s3
	s_cbranch_execz .LBB466_43
; %bb.42:
	s_add_i32 s1, s1, s0
	s_add_u32 s0, s8, s2
	s_addc_u32 s1, s9, s1
	global_load_b128 v[8:11], v16, s[0:1]
	s_waitcnt vmcnt(0)
	v_fma_f64 v[0:1], v[4:5], v[8:9], v[0:1]
	v_fma_f64 v[2:3], v[6:7], v[8:9], v[2:3]
	s_delay_alu instid0(VALU_DEP_2) | instskip(NEXT) | instid1(VALU_DEP_2)
	v_fma_f64 v[0:1], -v[6:7], v[10:11], v[0:1]
	v_fma_f64 v[2:3], v[4:5], v[10:11], v[2:3]
	global_store_b128 v16, v[0:3], s[0:1]
.LBB466_43:
	s_nop 0
	s_sendmsg sendmsg(MSG_DEALLOC_VGPRS)
	s_endpgm
	.section	.rodata,"a",@progbits
	.p2align	6, 0x0
	.amdhsa_kernel _ZN9rocsparseL20bsrxmvn_17_32_kernelILj19E21rocsparse_complex_numIdElldS2_S2_EEvT2_20rocsparse_direction_NS_24const_host_device_scalarIT0_EES3_PKS3_PKT1_SC_S9_PKT3_PKT4_S7_PT5_21rocsparse_index_base_b
		.amdhsa_group_segment_fixed_size 11552
		.amdhsa_private_segment_fixed_size 0
		.amdhsa_kernarg_size 120
		.amdhsa_user_sgpr_count 15
		.amdhsa_user_sgpr_dispatch_ptr 1
		.amdhsa_user_sgpr_queue_ptr 0
		.amdhsa_user_sgpr_kernarg_segment_ptr 1
		.amdhsa_user_sgpr_dispatch_id 0
		.amdhsa_user_sgpr_private_segment_size 0
		.amdhsa_wavefront_size32 1
		.amdhsa_uses_dynamic_stack 0
		.amdhsa_enable_private_segment 0
		.amdhsa_system_sgpr_workgroup_id_x 1
		.amdhsa_system_sgpr_workgroup_id_y 0
		.amdhsa_system_sgpr_workgroup_id_z 0
		.amdhsa_system_sgpr_workgroup_info 0
		.amdhsa_system_vgpr_workitem_id 2
		.amdhsa_next_free_vgpr 27
		.amdhsa_next_free_sgpr 22
		.amdhsa_reserve_vcc 1
		.amdhsa_float_round_mode_32 0
		.amdhsa_float_round_mode_16_64 0
		.amdhsa_float_denorm_mode_32 3
		.amdhsa_float_denorm_mode_16_64 3
		.amdhsa_dx10_clamp 1
		.amdhsa_ieee_mode 1
		.amdhsa_fp16_overflow 0
		.amdhsa_workgroup_processor_mode 1
		.amdhsa_memory_ordered 1
		.amdhsa_forward_progress 0
		.amdhsa_shared_vgpr_count 0
		.amdhsa_exception_fp_ieee_invalid_op 0
		.amdhsa_exception_fp_denorm_src 0
		.amdhsa_exception_fp_ieee_div_zero 0
		.amdhsa_exception_fp_ieee_overflow 0
		.amdhsa_exception_fp_ieee_underflow 0
		.amdhsa_exception_fp_ieee_inexact 0
		.amdhsa_exception_int_div_zero 0
	.end_amdhsa_kernel
	.section	.text._ZN9rocsparseL20bsrxmvn_17_32_kernelILj19E21rocsparse_complex_numIdElldS2_S2_EEvT2_20rocsparse_direction_NS_24const_host_device_scalarIT0_EES3_PKS3_PKT1_SC_S9_PKT3_PKT4_S7_PT5_21rocsparse_index_base_b,"axG",@progbits,_ZN9rocsparseL20bsrxmvn_17_32_kernelILj19E21rocsparse_complex_numIdElldS2_S2_EEvT2_20rocsparse_direction_NS_24const_host_device_scalarIT0_EES3_PKS3_PKT1_SC_S9_PKT3_PKT4_S7_PT5_21rocsparse_index_base_b,comdat
.Lfunc_end466:
	.size	_ZN9rocsparseL20bsrxmvn_17_32_kernelILj19E21rocsparse_complex_numIdElldS2_S2_EEvT2_20rocsparse_direction_NS_24const_host_device_scalarIT0_EES3_PKS3_PKT1_SC_S9_PKT3_PKT4_S7_PT5_21rocsparse_index_base_b, .Lfunc_end466-_ZN9rocsparseL20bsrxmvn_17_32_kernelILj19E21rocsparse_complex_numIdElldS2_S2_EEvT2_20rocsparse_direction_NS_24const_host_device_scalarIT0_EES3_PKS3_PKT1_SC_S9_PKT3_PKT4_S7_PT5_21rocsparse_index_base_b
                                        ; -- End function
	.section	.AMDGPU.csdata,"",@progbits
; Kernel info:
; codeLenInByte = 2160
; NumSgprs: 24
; NumVgprs: 27
; ScratchSize: 0
; MemoryBound: 1
; FloatMode: 240
; IeeeMode: 1
; LDSByteSize: 11552 bytes/workgroup (compile time only)
; SGPRBlocks: 2
; VGPRBlocks: 3
; NumSGPRsForWavesPerEU: 24
; NumVGPRsForWavesPerEU: 27
; Occupancy: 15
; WaveLimiterHint : 1
; COMPUTE_PGM_RSRC2:SCRATCH_EN: 0
; COMPUTE_PGM_RSRC2:USER_SGPR: 15
; COMPUTE_PGM_RSRC2:TRAP_HANDLER: 0
; COMPUTE_PGM_RSRC2:TGID_X_EN: 1
; COMPUTE_PGM_RSRC2:TGID_Y_EN: 0
; COMPUTE_PGM_RSRC2:TGID_Z_EN: 0
; COMPUTE_PGM_RSRC2:TIDIG_COMP_CNT: 2
	.section	.text._ZN9rocsparseL20bsrxmvn_17_32_kernelILj20E21rocsparse_complex_numIdElldS2_S2_EEvT2_20rocsparse_direction_NS_24const_host_device_scalarIT0_EES3_PKS3_PKT1_SC_S9_PKT3_PKT4_S7_PT5_21rocsparse_index_base_b,"axG",@progbits,_ZN9rocsparseL20bsrxmvn_17_32_kernelILj20E21rocsparse_complex_numIdElldS2_S2_EEvT2_20rocsparse_direction_NS_24const_host_device_scalarIT0_EES3_PKS3_PKT1_SC_S9_PKT3_PKT4_S7_PT5_21rocsparse_index_base_b,comdat
	.globl	_ZN9rocsparseL20bsrxmvn_17_32_kernelILj20E21rocsparse_complex_numIdElldS2_S2_EEvT2_20rocsparse_direction_NS_24const_host_device_scalarIT0_EES3_PKS3_PKT1_SC_S9_PKT3_PKT4_S7_PT5_21rocsparse_index_base_b ; -- Begin function _ZN9rocsparseL20bsrxmvn_17_32_kernelILj20E21rocsparse_complex_numIdElldS2_S2_EEvT2_20rocsparse_direction_NS_24const_host_device_scalarIT0_EES3_PKS3_PKT1_SC_S9_PKT3_PKT4_S7_PT5_21rocsparse_index_base_b
	.p2align	8
	.type	_ZN9rocsparseL20bsrxmvn_17_32_kernelILj20E21rocsparse_complex_numIdElldS2_S2_EEvT2_20rocsparse_direction_NS_24const_host_device_scalarIT0_EES3_PKS3_PKT1_SC_S9_PKT3_PKT4_S7_PT5_21rocsparse_index_base_b,@function
_ZN9rocsparseL20bsrxmvn_17_32_kernelILj20E21rocsparse_complex_numIdElldS2_S2_EEvT2_20rocsparse_direction_NS_24const_host_device_scalarIT0_EES3_PKS3_PKT1_SC_S9_PKT3_PKT4_S7_PT5_21rocsparse_index_base_b: ; @_ZN9rocsparseL20bsrxmvn_17_32_kernelILj20E21rocsparse_complex_numIdElldS2_S2_EEvT2_20rocsparse_direction_NS_24const_host_device_scalarIT0_EES3_PKS3_PKT1_SC_S9_PKT3_PKT4_S7_PT5_21rocsparse_index_base_b
; %bb.0:
	s_mov_b32 s12, s15
	s_clause 0x1
	s_load_b64 s[14:15], s[2:3], 0x70
	s_load_b128 s[4:7], s[2:3], 0x10
	s_load_b64 s[16:17], s[0:1], 0x4
	s_mov_b64 s[0:1], src_shared_base
	v_and_b32_e32 v18, 0x3ff, v0
	s_load_b128 s[8:11], s[2:3], 0x58
	v_bfe_u32 v2, v0, 10, 10
	v_bfe_u32 v0, v0, 20, 10
	s_waitcnt lgkmcnt(0)
	s_bitcmp1_b32 s15, 0
	v_mov_b32_e32 v11, s7
	s_cselect_b32 s0, -1, 0
	v_mov_b32_e32 v10, s6
	s_and_b32 vcc_lo, s0, exec_lo
	s_cselect_b32 s13, s1, s5
	s_lshr_b32 s15, s16, 16
	s_xor_b32 s6, s0, -1
	s_mul_i32 s15, s15, s17
	v_mov_b32_e32 v5, s13
	v_mul_lo_u32 v1, s15, v18
	s_delay_alu instid0(VALU_DEP_1) | instskip(SKIP_1) | instid1(VALU_DEP_2)
	v_mad_u32_u24 v1, v2, s17, v1
	v_dual_mov_b32 v2, s8 :: v_dual_mov_b32 v3, s9
	v_add_lshl_u32 v6, v1, v0, 3
	v_dual_mov_b32 v0, s4 :: v_dual_mov_b32 v1, s5
	ds_store_b64 v6, v[0:1] offset:9600
	ds_store_b64 v6, v[2:3] offset:6400
	v_add_nc_u32_e32 v4, 0x2580, v6
	v_add_nc_u32_e32 v0, 0x1900, v6
	s_delay_alu instid0(VALU_DEP_2)
	v_cndmask_b32_e64 v4, s4, v4, s0
	flat_load_b64 v[8:9], v[4:5]
	s_cbranch_vccnz .LBB467_2
; %bb.1:
	v_dual_mov_b32 v1, s4 :: v_dual_mov_b32 v2, s5
	flat_load_b64 v[10:11], v[1:2] offset:8
.LBB467_2:
	s_and_b32 s4, s0, exec_lo
	s_cselect_b32 s1, s1, s9
	v_cndmask_b32_e64 v0, s8, v0, s0
	v_dual_mov_b32 v1, s1 :: v_dual_mov_b32 v6, s10
	v_mov_b32_e32 v7, s11
	s_and_not1_b32 vcc_lo, exec_lo, s6
	flat_load_b64 v[4:5], v[0:1]
	s_cbranch_vccnz .LBB467_4
; %bb.3:
	v_dual_mov_b32 v0, s8 :: v_dual_mov_b32 v1, s9
	flat_load_b64 v[6:7], v[0:1] offset:8
.LBB467_4:
	s_waitcnt vmcnt(1) lgkmcnt(1)
	v_cmp_eq_f64_e32 vcc_lo, 0, v[8:9]
	v_cmp_eq_f64_e64 s0, 0, v[10:11]
	s_delay_alu instid0(VALU_DEP_1)
	s_and_b32 s4, vcc_lo, s0
	s_mov_b32 s0, -1
	s_and_saveexec_b32 s1, s4
	s_cbranch_execz .LBB467_6
; %bb.5:
	s_waitcnt vmcnt(0) lgkmcnt(0)
	v_cmp_neq_f64_e32 vcc_lo, 1.0, v[4:5]
	v_cmp_neq_f64_e64 s0, 0, v[6:7]
	s_delay_alu instid0(VALU_DEP_1) | instskip(NEXT) | instid1(SALU_CYCLE_1)
	s_or_b32 s0, vcc_lo, s0
	s_or_not1_b32 s0, s0, exec_lo
.LBB467_6:
	s_or_b32 exec_lo, exec_lo, s1
	s_and_saveexec_b32 s1, s0
	s_cbranch_execz .LBB467_43
; %bb.7:
	s_clause 0x1
	s_load_b128 s[4:7], s[2:3], 0x28
	s_load_b64 s[8:9], s[2:3], 0x38
	s_mov_b32 s13, 0
	s_waitcnt lgkmcnt(0)
	s_cmp_eq_u64 s[4:5], 0
	s_cbranch_scc1 .LBB467_9
; %bb.8:
	s_lshl_b64 s[0:1], s[12:13], 3
	s_delay_alu instid0(SALU_CYCLE_1)
	s_add_u32 s0, s4, s0
	s_addc_u32 s1, s5, s1
	s_load_b64 s[0:1], s[0:1], 0x0
	s_waitcnt lgkmcnt(0)
	s_sub_u32 s12, s0, s14
	s_subb_u32 s13, s1, 0
.LBB467_9:
	s_load_b32 s1, s[2:3], 0x8
	v_mul_u32_u24_e32 v0, 0xccd, v18
	v_mov_b32_e32 v2, 0
	v_mov_b32_e32 v3, 0
	s_delay_alu instid0(VALU_DEP_3) | instskip(NEXT) | instid1(VALU_DEP_1)
	v_lshrrev_b32_e32 v12, 16, v0
	v_mul_lo_u16 v0, v12, 20
	s_delay_alu instid0(VALU_DEP_1) | instskip(NEXT) | instid1(VALU_DEP_4)
	v_sub_nc_u16 v19, v18, v0
	v_dual_mov_b32 v0, v2 :: v_dual_mov_b32 v1, v3
	s_waitcnt lgkmcnt(0)
	s_cmp_eq_u32 s1, 1
	s_cselect_b32 s0, -1, 0
	s_cmp_lg_u32 s1, 1
	s_cselect_b32 s1, -1, 0
	s_lshl_b64 s[4:5], s[12:13], 3
	s_delay_alu instid0(SALU_CYCLE_1)
	s_add_u32 s6, s6, s4
	s_addc_u32 s7, s7, s5
	s_add_u32 s10, s6, 8
	s_addc_u32 s11, s7, 0
	;; [unrolled: 2-line block ×3, first 2 shown]
	s_cmp_eq_u64 s[8:9], 0
	s_load_b64 s[8:9], s[2:3], 0x68
	s_cselect_b32 s5, s11, s5
	s_cselect_b32 s4, s10, s4
	s_load_b64 s[16:17], s[6:7], 0x0
	s_load_b64 s[10:11], s[4:5], 0x0
	s_waitcnt lgkmcnt(0)
	v_cmp_ge_i64_e64 s4, s[16:17], s[10:11]
	s_delay_alu instid0(VALU_DEP_1)
	s_and_b32 vcc_lo, exec_lo, s4
	s_cbranch_vccnz .LBB467_14
; %bb.10:
	v_mul_lo_u16 v0, v12, 13
	v_and_b32_e32 v2, 0xffff, v18
	s_clause 0x1
	s_load_b64 s[18:19], s[2:3], 0x50
	s_load_b128 s[4:7], s[2:3], 0x40
	v_and_b32_e32 v1, 0xffff, v19
	s_sub_u32 s2, s10, s14
	v_lshrrev_b16 v0, 8, v0
	v_mul_u32_u24_e32 v2, 0xa4, v2
	s_subb_u32 s3, s11, 0
	s_sub_u32 s10, s16, s14
	s_subb_u32 s11, s17, 0
	v_mul_lo_u16 v0, v0, 20
	v_lshrrev_b32_e32 v20, 16, v2
	s_mul_hi_u32 s15, s10, 0xc80
	s_mul_i32 s20, s11, 0xc80
	s_mul_i32 s21, s10, 0xc80
	v_sub_nc_u16 v0, v12, v0
	s_add_i32 s15, s15, s20
	v_lshlrev_b32_e32 v14, 3, v18
	s_delay_alu instid0(VALU_DEP_2) | instskip(NEXT) | instid1(VALU_DEP_1)
	v_and_b32_e32 v0, 0xff, v0
	v_cndmask_b32_e64 v0, v1, v0, s0
	v_add_co_u32 v1, s0, s16, v20
	s_delay_alu instid0(VALU_DEP_1) | instskip(NEXT) | instid1(VALU_DEP_3)
	v_add_co_ci_u32_e64 v2, null, s17, 0, s0
	v_lshlrev_b32_e32 v3, 4, v0
	s_delay_alu instid0(VALU_DEP_3) | instskip(NEXT) | instid1(VALU_DEP_3)
	v_sub_co_u32 v0, vcc_lo, v1, s14
	v_subrev_co_ci_u32_e32 v1, vcc_lo, 0, v2, vcc_lo
	s_waitcnt lgkmcnt(0)
	s_add_u32 s0, s6, s21
	s_addc_u32 s6, s7, s15
	v_add_co_u32 v12, s7, s18, v3
	v_lshlrev_b64 v[0:1], 3, v[0:1]
	v_mov_b32_e32 v2, 0
	v_mov_b32_e32 v3, 0
	v_add_co_u32 v14, s0, s0, v14
	v_add_co_ci_u32_e64 v13, null, s19, 0, s7
	v_add_co_u32 v16, vcc_lo, s4, v0
	v_add_co_ci_u32_e32 v17, vcc_lo, s5, v1, vcc_lo
	v_dual_mov_b32 v0, v2 :: v_dual_mov_b32 v1, v3
	v_add_co_ci_u32_e64 v15, null, s6, 0, s0
	s_set_inst_prefetch_distance 0x1
	s_branch .LBB467_12
	.p2align	6
.LBB467_11:                             ;   in Loop: Header=BB467_12 Depth=1
	s_or_b32 exec_lo, exec_lo, s0
	s_add_u32 s10, s10, 1
	s_addc_u32 s11, s11, 0
	v_add_co_u32 v16, vcc_lo, v16, 8
	v_cmp_lt_i64_e64 s0, s[10:11], s[2:3]
	v_add_co_ci_u32_e32 v17, vcc_lo, 0, v17, vcc_lo
	s_delay_alu instid0(VALU_DEP_2)
	s_and_b32 vcc_lo, exec_lo, s0
	s_cbranch_vccz .LBB467_14
.LBB467_12:                             ; =>This Inner Loop Header: Depth=1
	v_add_co_u32 v21, s0, v20, s10
	s_delay_alu instid0(VALU_DEP_1) | instskip(SKIP_1) | instid1(VALU_DEP_1)
	v_add_co_ci_u32_e64 v22, null, 0, s11, s0
	s_mov_b32 s0, exec_lo
	v_cmpx_gt_i64_e64 s[2:3], v[21:22]
	s_cbranch_execz .LBB467_11
; %bb.13:                               ;   in Loop: Header=BB467_12 Depth=1
	global_load_b64 v[21:22], v[16:17], off
	s_waitcnt vmcnt(0)
	v_sub_co_u32 v23, vcc_lo, v21, s14
	v_subrev_co_ci_u32_e32 v25, vcc_lo, 0, v22, vcc_lo
	s_delay_alu instid0(VALU_DEP_2) | instskip(NEXT) | instid1(VALU_DEP_1)
	v_mad_u64_u32 v[21:22], null, 0x140, v23, v[12:13]
	v_mad_u64_u32 v[23:24], null, 0x140, v25, v[22:23]
	s_delay_alu instid0(VALU_DEP_1)
	v_mov_b32_e32 v22, v23
	global_load_b64 v[25:26], v[14:15], off
	global_load_b128 v[21:24], v[21:22], off
	v_add_co_u32 v14, vcc_lo, 0xc80, v14
	v_add_co_ci_u32_e32 v15, vcc_lo, 0, v15, vcc_lo
	s_waitcnt vmcnt(0)
	v_fma_f64 v[0:1], v[25:26], v[21:22], v[0:1]
	v_fma_f64 v[2:3], v[21:22], 0, v[2:3]
	s_delay_alu instid0(VALU_DEP_2) | instskip(NEXT) | instid1(VALU_DEP_2)
	v_fma_f64 v[0:1], 0x80000000, v[23:24], v[0:1]
	v_fma_f64 v[2:3], v[25:26], v[23:24], v[2:3]
	s_branch .LBB467_11
.LBB467_14:
	s_set_inst_prefetch_distance 0x2
	v_lshlrev_b32_e32 v16, 4, v18
	s_and_b32 vcc_lo, exec_lo, s1
	ds_store_b128 v16, v[0:3]
	s_waitcnt vmcnt(0) lgkmcnt(0)
	s_barrier
	buffer_gl0_inv
	s_cbranch_vccz .LBB467_26
; %bb.15:
	v_cmp_gt_u16_e32 vcc_lo, 4, v19
	s_and_saveexec_b32 s0, vcc_lo
	s_cbranch_execz .LBB467_17
; %bb.16:
	ds_load_b128 v[12:15], v16 offset:256
	ds_load_b128 v[20:23], v16
	s_waitcnt lgkmcnt(0)
	v_add_f64 v[12:13], v[12:13], v[20:21]
	v_add_f64 v[14:15], v[14:15], v[22:23]
	ds_store_b128 v16, v[12:15]
.LBB467_17:
	s_or_b32 exec_lo, exec_lo, s0
	s_delay_alu instid0(SALU_CYCLE_1)
	s_mov_b32 s1, exec_lo
	s_waitcnt lgkmcnt(0)
	s_barrier
	buffer_gl0_inv
	v_cmpx_gt_u16_e32 8, v19
	s_cbranch_execz .LBB467_19
; %bb.18:
	ds_load_b128 v[12:15], v16 offset:128
	ds_load_b128 v[20:23], v16
	s_waitcnt lgkmcnt(0)
	v_add_f64 v[12:13], v[12:13], v[20:21]
	v_add_f64 v[14:15], v[14:15], v[22:23]
	ds_store_b128 v16, v[12:15]
.LBB467_19:
	s_or_b32 exec_lo, exec_lo, s1
	s_waitcnt lgkmcnt(0)
	s_barrier
	buffer_gl0_inv
	s_and_saveexec_b32 s0, vcc_lo
	s_cbranch_execz .LBB467_21
; %bb.20:
	ds_load_b128 v[12:15], v16 offset:64
	ds_load_b128 v[20:23], v16
	s_waitcnt lgkmcnt(0)
	v_add_f64 v[12:13], v[12:13], v[20:21]
	v_add_f64 v[14:15], v[14:15], v[22:23]
	ds_store_b128 v16, v[12:15]
.LBB467_21:
	s_or_b32 exec_lo, exec_lo, s0
	s_delay_alu instid0(SALU_CYCLE_1)
	s_mov_b32 s0, exec_lo
	s_waitcnt lgkmcnt(0)
	s_barrier
	buffer_gl0_inv
	v_cmpx_gt_u16_e32 2, v19
	s_cbranch_execz .LBB467_23
; %bb.22:
	ds_load_b128 v[12:15], v16
	ds_load_b128 v[19:22], v16 offset:32
	s_waitcnt lgkmcnt(0)
	v_add_f64 v[12:13], v[19:20], v[12:13]
	v_add_f64 v[14:15], v[21:22], v[14:15]
	ds_store_b128 v16, v[12:15]
.LBB467_23:
	s_or_b32 exec_lo, exec_lo, s0
	v_dual_mov_b32 v15, v3 :: v_dual_mov_b32 v14, v2
	v_dual_mov_b32 v13, v1 :: v_dual_mov_b32 v12, v0
	s_mov_b32 s0, exec_lo
	s_waitcnt lgkmcnt(0)
	s_barrier
	buffer_gl0_inv
	v_cmpx_gt_u32_e32 20, v18
	s_cbranch_execz .LBB467_25
; %bb.24:
	v_mul_u32_u24_e32 v12, 20, v18
	s_delay_alu instid0(VALU_DEP_1)
	v_lshlrev_b32_e32 v17, 4, v12
	ds_load_b128 v[12:15], v17
	ds_load_b128 v[19:22], v17 offset:16
	s_waitcnt lgkmcnt(0)
	v_add_f64 v[12:13], v[19:20], v[12:13]
	v_add_f64 v[14:15], v[21:22], v[14:15]
.LBB467_25:
	s_or_b32 exec_lo, exec_lo, s0
	s_branch .LBB467_38
.LBB467_26:
                                        ; implicit-def: $vgpr14_vgpr15
                                        ; implicit-def: $vgpr12_vgpr13
	s_cbranch_execz .LBB467_38
; %bb.27:
	v_cmp_gt_u32_e32 vcc_lo, 0x50, v18
	s_and_saveexec_b32 s0, vcc_lo
	s_cbranch_execz .LBB467_29
; %bb.28:
	ds_load_b128 v[12:15], v16 offset:5120
	ds_load_b128 v[19:22], v16
	s_waitcnt lgkmcnt(0)
	v_add_f64 v[12:13], v[12:13], v[19:20]
	v_add_f64 v[14:15], v[14:15], v[21:22]
	ds_store_b128 v16, v[12:15]
.LBB467_29:
	s_or_b32 exec_lo, exec_lo, s0
	s_delay_alu instid0(SALU_CYCLE_1)
	s_mov_b32 s1, exec_lo
	s_waitcnt lgkmcnt(0)
	s_barrier
	buffer_gl0_inv
	v_cmpx_gt_u32_e32 0xa0, v18
	s_cbranch_execz .LBB467_31
; %bb.30:
	ds_load_b128 v[12:15], v16 offset:2560
	ds_load_b128 v[19:22], v16
	s_waitcnt lgkmcnt(0)
	v_add_f64 v[12:13], v[12:13], v[19:20]
	v_add_f64 v[14:15], v[14:15], v[21:22]
	ds_store_b128 v16, v[12:15]
.LBB467_31:
	s_or_b32 exec_lo, exec_lo, s1
	s_waitcnt lgkmcnt(0)
	s_barrier
	buffer_gl0_inv
	s_and_saveexec_b32 s0, vcc_lo
	s_cbranch_execz .LBB467_33
; %bb.32:
	ds_load_b128 v[12:15], v16 offset:1280
	ds_load_b128 v[19:22], v16
	s_waitcnt lgkmcnt(0)
	v_add_f64 v[12:13], v[12:13], v[19:20]
	v_add_f64 v[14:15], v[14:15], v[21:22]
	ds_store_b128 v16, v[12:15]
.LBB467_33:
	s_or_b32 exec_lo, exec_lo, s0
	s_delay_alu instid0(SALU_CYCLE_1)
	s_mov_b32 s0, exec_lo
	s_waitcnt lgkmcnt(0)
	s_barrier
	buffer_gl0_inv
	v_cmpx_gt_u32_e32 40, v18
	s_cbranch_execz .LBB467_35
; %bb.34:
	ds_load_b128 v[12:15], v16 offset:640
	ds_load_b128 v[19:22], v16
	s_waitcnt lgkmcnt(0)
	v_add_f64 v[12:13], v[12:13], v[19:20]
	v_add_f64 v[14:15], v[14:15], v[21:22]
	ds_store_b128 v16, v[12:15]
.LBB467_35:
	s_or_b32 exec_lo, exec_lo, s0
	s_delay_alu instid0(SALU_CYCLE_1)
	s_mov_b32 s0, exec_lo
	s_waitcnt lgkmcnt(0)
	buffer_gl0_inv
	v_cmpx_gt_u32_e32 20, v18
	s_cbranch_execz .LBB467_37
; %bb.36:
	ds_load_b128 v[0:3], v16 offset:320
	ds_load_b128 v[12:15], v16
	s_waitcnt lgkmcnt(0)
	v_add_f64 v[0:1], v[0:1], v[12:13]
	v_add_f64 v[2:3], v[2:3], v[14:15]
.LBB467_37:
	s_or_b32 exec_lo, exec_lo, s0
	s_delay_alu instid0(VALU_DEP_1) | instskip(NEXT) | instid1(VALU_DEP_3)
	v_dual_mov_b32 v15, v3 :: v_dual_mov_b32 v14, v2
	v_dual_mov_b32 v13, v1 :: v_dual_mov_b32 v12, v0
.LBB467_38:
	v_cmp_gt_u32_e32 vcc_lo, 20, v18
	s_and_b32 exec_lo, exec_lo, vcc_lo
	s_cbranch_execz .LBB467_43
; %bb.39:
	s_delay_alu instid0(VALU_DEP_2)
	v_mul_f64 v[0:1], v[14:15], -v[10:11]
	v_mul_f64 v[2:3], v[8:9], v[14:15]
	v_cmp_eq_f64_e32 vcc_lo, 0, v[4:5]
	v_cmp_eq_f64_e64 s0, 0, v[6:7]
	s_mul_hi_u32 s1, s12, 0x140
	s_mul_i32 s2, s12, 0x140
	s_delay_alu instid0(VALU_DEP_4) | instskip(NEXT) | instid1(VALU_DEP_4)
	v_fma_f64 v[0:1], v[8:9], v[12:13], v[0:1]
	v_fma_f64 v[2:3], v[10:11], v[12:13], v[2:3]
	s_delay_alu instid0(VALU_DEP_3) | instskip(SKIP_2) | instid1(SALU_CYCLE_1)
	s_and_b32 s3, vcc_lo, s0
	s_mul_i32 s0, s13, 0x140
	s_and_saveexec_b32 s4, s3
	s_xor_b32 s3, exec_lo, s4
	s_cbranch_execz .LBB467_41
; %bb.40:
	s_add_i32 s5, s1, s0
	s_add_u32 s4, s8, s2
	s_addc_u32 s5, s9, s5
                                        ; implicit-def: $vgpr4_vgpr5
                                        ; implicit-def: $vgpr6_vgpr7
	global_store_b128 v16, v[0:3], s[4:5]
                                        ; implicit-def: $vgpr16
                                        ; implicit-def: $vgpr0_vgpr1
.LBB467_41:
	s_and_not1_saveexec_b32 s3, s3
	s_cbranch_execz .LBB467_43
; %bb.42:
	s_add_i32 s1, s1, s0
	s_add_u32 s0, s8, s2
	s_addc_u32 s1, s9, s1
	global_load_b128 v[8:11], v16, s[0:1]
	s_waitcnt vmcnt(0)
	v_fma_f64 v[0:1], v[4:5], v[8:9], v[0:1]
	v_fma_f64 v[2:3], v[6:7], v[8:9], v[2:3]
	s_delay_alu instid0(VALU_DEP_2) | instskip(NEXT) | instid1(VALU_DEP_2)
	v_fma_f64 v[0:1], -v[6:7], v[10:11], v[0:1]
	v_fma_f64 v[2:3], v[4:5], v[10:11], v[2:3]
	global_store_b128 v16, v[0:3], s[0:1]
.LBB467_43:
	s_nop 0
	s_sendmsg sendmsg(MSG_DEALLOC_VGPRS)
	s_endpgm
	.section	.rodata,"a",@progbits
	.p2align	6, 0x0
	.amdhsa_kernel _ZN9rocsparseL20bsrxmvn_17_32_kernelILj20E21rocsparse_complex_numIdElldS2_S2_EEvT2_20rocsparse_direction_NS_24const_host_device_scalarIT0_EES3_PKS3_PKT1_SC_S9_PKT3_PKT4_S7_PT5_21rocsparse_index_base_b
		.amdhsa_group_segment_fixed_size 12800
		.amdhsa_private_segment_fixed_size 0
		.amdhsa_kernarg_size 120
		.amdhsa_user_sgpr_count 15
		.amdhsa_user_sgpr_dispatch_ptr 1
		.amdhsa_user_sgpr_queue_ptr 0
		.amdhsa_user_sgpr_kernarg_segment_ptr 1
		.amdhsa_user_sgpr_dispatch_id 0
		.amdhsa_user_sgpr_private_segment_size 0
		.amdhsa_wavefront_size32 1
		.amdhsa_uses_dynamic_stack 0
		.amdhsa_enable_private_segment 0
		.amdhsa_system_sgpr_workgroup_id_x 1
		.amdhsa_system_sgpr_workgroup_id_y 0
		.amdhsa_system_sgpr_workgroup_id_z 0
		.amdhsa_system_sgpr_workgroup_info 0
		.amdhsa_system_vgpr_workitem_id 2
		.amdhsa_next_free_vgpr 27
		.amdhsa_next_free_sgpr 22
		.amdhsa_reserve_vcc 1
		.amdhsa_float_round_mode_32 0
		.amdhsa_float_round_mode_16_64 0
		.amdhsa_float_denorm_mode_32 3
		.amdhsa_float_denorm_mode_16_64 3
		.amdhsa_dx10_clamp 1
		.amdhsa_ieee_mode 1
		.amdhsa_fp16_overflow 0
		.amdhsa_workgroup_processor_mode 1
		.amdhsa_memory_ordered 1
		.amdhsa_forward_progress 0
		.amdhsa_shared_vgpr_count 0
		.amdhsa_exception_fp_ieee_invalid_op 0
		.amdhsa_exception_fp_denorm_src 0
		.amdhsa_exception_fp_ieee_div_zero 0
		.amdhsa_exception_fp_ieee_overflow 0
		.amdhsa_exception_fp_ieee_underflow 0
		.amdhsa_exception_fp_ieee_inexact 0
		.amdhsa_exception_int_div_zero 0
	.end_amdhsa_kernel
	.section	.text._ZN9rocsparseL20bsrxmvn_17_32_kernelILj20E21rocsparse_complex_numIdElldS2_S2_EEvT2_20rocsparse_direction_NS_24const_host_device_scalarIT0_EES3_PKS3_PKT1_SC_S9_PKT3_PKT4_S7_PT5_21rocsparse_index_base_b,"axG",@progbits,_ZN9rocsparseL20bsrxmvn_17_32_kernelILj20E21rocsparse_complex_numIdElldS2_S2_EEvT2_20rocsparse_direction_NS_24const_host_device_scalarIT0_EES3_PKS3_PKT1_SC_S9_PKT3_PKT4_S7_PT5_21rocsparse_index_base_b,comdat
.Lfunc_end467:
	.size	_ZN9rocsparseL20bsrxmvn_17_32_kernelILj20E21rocsparse_complex_numIdElldS2_S2_EEvT2_20rocsparse_direction_NS_24const_host_device_scalarIT0_EES3_PKS3_PKT1_SC_S9_PKT3_PKT4_S7_PT5_21rocsparse_index_base_b, .Lfunc_end467-_ZN9rocsparseL20bsrxmvn_17_32_kernelILj20E21rocsparse_complex_numIdElldS2_S2_EEvT2_20rocsparse_direction_NS_24const_host_device_scalarIT0_EES3_PKS3_PKT1_SC_S9_PKT3_PKT4_S7_PT5_21rocsparse_index_base_b
                                        ; -- End function
	.section	.AMDGPU.csdata,"",@progbits
; Kernel info:
; codeLenInByte = 2144
; NumSgprs: 24
; NumVgprs: 27
; ScratchSize: 0
; MemoryBound: 1
; FloatMode: 240
; IeeeMode: 1
; LDSByteSize: 12800 bytes/workgroup (compile time only)
; SGPRBlocks: 2
; VGPRBlocks: 3
; NumSGPRsForWavesPerEU: 24
; NumVGPRsForWavesPerEU: 27
; Occupancy: 13
; WaveLimiterHint : 1
; COMPUTE_PGM_RSRC2:SCRATCH_EN: 0
; COMPUTE_PGM_RSRC2:USER_SGPR: 15
; COMPUTE_PGM_RSRC2:TRAP_HANDLER: 0
; COMPUTE_PGM_RSRC2:TGID_X_EN: 1
; COMPUTE_PGM_RSRC2:TGID_Y_EN: 0
; COMPUTE_PGM_RSRC2:TGID_Z_EN: 0
; COMPUTE_PGM_RSRC2:TIDIG_COMP_CNT: 2
	.section	.text._ZN9rocsparseL20bsrxmvn_17_32_kernelILj21E21rocsparse_complex_numIdElldS2_S2_EEvT2_20rocsparse_direction_NS_24const_host_device_scalarIT0_EES3_PKS3_PKT1_SC_S9_PKT3_PKT4_S7_PT5_21rocsparse_index_base_b,"axG",@progbits,_ZN9rocsparseL20bsrxmvn_17_32_kernelILj21E21rocsparse_complex_numIdElldS2_S2_EEvT2_20rocsparse_direction_NS_24const_host_device_scalarIT0_EES3_PKS3_PKT1_SC_S9_PKT3_PKT4_S7_PT5_21rocsparse_index_base_b,comdat
	.globl	_ZN9rocsparseL20bsrxmvn_17_32_kernelILj21E21rocsparse_complex_numIdElldS2_S2_EEvT2_20rocsparse_direction_NS_24const_host_device_scalarIT0_EES3_PKS3_PKT1_SC_S9_PKT3_PKT4_S7_PT5_21rocsparse_index_base_b ; -- Begin function _ZN9rocsparseL20bsrxmvn_17_32_kernelILj21E21rocsparse_complex_numIdElldS2_S2_EEvT2_20rocsparse_direction_NS_24const_host_device_scalarIT0_EES3_PKS3_PKT1_SC_S9_PKT3_PKT4_S7_PT5_21rocsparse_index_base_b
	.p2align	8
	.type	_ZN9rocsparseL20bsrxmvn_17_32_kernelILj21E21rocsparse_complex_numIdElldS2_S2_EEvT2_20rocsparse_direction_NS_24const_host_device_scalarIT0_EES3_PKS3_PKT1_SC_S9_PKT3_PKT4_S7_PT5_21rocsparse_index_base_b,@function
_ZN9rocsparseL20bsrxmvn_17_32_kernelILj21E21rocsparse_complex_numIdElldS2_S2_EEvT2_20rocsparse_direction_NS_24const_host_device_scalarIT0_EES3_PKS3_PKT1_SC_S9_PKT3_PKT4_S7_PT5_21rocsparse_index_base_b: ; @_ZN9rocsparseL20bsrxmvn_17_32_kernelILj21E21rocsparse_complex_numIdElldS2_S2_EEvT2_20rocsparse_direction_NS_24const_host_device_scalarIT0_EES3_PKS3_PKT1_SC_S9_PKT3_PKT4_S7_PT5_21rocsparse_index_base_b
; %bb.0:
	s_mov_b32 s12, s15
	s_clause 0x1
	s_load_b64 s[14:15], s[2:3], 0x70
	s_load_b128 s[4:7], s[2:3], 0x10
	s_load_b64 s[16:17], s[0:1], 0x4
	s_mov_b64 s[0:1], src_shared_base
	v_and_b32_e32 v18, 0x3ff, v0
	s_load_b128 s[8:11], s[2:3], 0x58
	v_bfe_u32 v2, v0, 10, 10
	v_bfe_u32 v0, v0, 20, 10
	s_waitcnt lgkmcnt(0)
	s_bitcmp1_b32 s15, 0
	v_mov_b32_e32 v11, s7
	s_cselect_b32 s0, -1, 0
	v_mov_b32_e32 v10, s6
	s_and_b32 vcc_lo, s0, exec_lo
	s_cselect_b32 s13, s1, s5
	s_lshr_b32 s15, s16, 16
	s_xor_b32 s6, s0, -1
	s_mul_i32 s15, s15, s17
	v_mov_b32_e32 v5, s13
	v_mul_lo_u32 v1, s15, v18
	s_delay_alu instid0(VALU_DEP_1) | instskip(SKIP_1) | instid1(VALU_DEP_2)
	v_mad_u32_u24 v1, v2, s17, v1
	v_dual_mov_b32 v2, s8 :: v_dual_mov_b32 v3, s9
	v_add_lshl_u32 v6, v1, v0, 3
	v_dual_mov_b32 v0, s4 :: v_dual_mov_b32 v1, s5
	ds_store_b64 v6, v[0:1] offset:10584
	ds_store_b64 v6, v[2:3] offset:7056
	v_add_nc_u32_e32 v4, 0x2958, v6
	v_add_nc_u32_e32 v0, 0x1b90, v6
	s_delay_alu instid0(VALU_DEP_2)
	v_cndmask_b32_e64 v4, s4, v4, s0
	flat_load_b64 v[8:9], v[4:5]
	s_cbranch_vccnz .LBB468_2
; %bb.1:
	v_dual_mov_b32 v1, s4 :: v_dual_mov_b32 v2, s5
	flat_load_b64 v[10:11], v[1:2] offset:8
.LBB468_2:
	s_and_b32 s4, s0, exec_lo
	s_cselect_b32 s1, s1, s9
	v_cndmask_b32_e64 v0, s8, v0, s0
	v_dual_mov_b32 v1, s1 :: v_dual_mov_b32 v6, s10
	v_mov_b32_e32 v7, s11
	s_and_not1_b32 vcc_lo, exec_lo, s6
	flat_load_b64 v[4:5], v[0:1]
	s_cbranch_vccnz .LBB468_4
; %bb.3:
	v_dual_mov_b32 v0, s8 :: v_dual_mov_b32 v1, s9
	flat_load_b64 v[6:7], v[0:1] offset:8
.LBB468_4:
	s_waitcnt vmcnt(1) lgkmcnt(1)
	v_cmp_eq_f64_e32 vcc_lo, 0, v[8:9]
	v_cmp_eq_f64_e64 s0, 0, v[10:11]
	s_delay_alu instid0(VALU_DEP_1)
	s_and_b32 s4, vcc_lo, s0
	s_mov_b32 s0, -1
	s_and_saveexec_b32 s1, s4
	s_cbranch_execz .LBB468_6
; %bb.5:
	s_waitcnt vmcnt(0) lgkmcnt(0)
	v_cmp_neq_f64_e32 vcc_lo, 1.0, v[4:5]
	v_cmp_neq_f64_e64 s0, 0, v[6:7]
	s_delay_alu instid0(VALU_DEP_1) | instskip(NEXT) | instid1(SALU_CYCLE_1)
	s_or_b32 s0, vcc_lo, s0
	s_or_not1_b32 s0, s0, exec_lo
.LBB468_6:
	s_or_b32 exec_lo, exec_lo, s1
	s_and_saveexec_b32 s1, s0
	s_cbranch_execz .LBB468_43
; %bb.7:
	s_clause 0x1
	s_load_b128 s[4:7], s[2:3], 0x28
	s_load_b64 s[8:9], s[2:3], 0x38
	s_mov_b32 s13, 0
	s_waitcnt lgkmcnt(0)
	s_cmp_eq_u64 s[4:5], 0
	s_cbranch_scc1 .LBB468_9
; %bb.8:
	s_lshl_b64 s[0:1], s[12:13], 3
	s_delay_alu instid0(SALU_CYCLE_1)
	s_add_u32 s0, s4, s0
	s_addc_u32 s1, s5, s1
	s_load_b64 s[0:1], s[0:1], 0x0
	s_waitcnt lgkmcnt(0)
	s_sub_u32 s12, s0, s14
	s_subb_u32 s13, s1, 0
.LBB468_9:
	s_load_b32 s1, s[2:3], 0x8
	v_mul_u32_u24_e32 v0, 0xc31, v18
	v_mov_b32_e32 v2, 0
	v_mov_b32_e32 v3, 0
	s_delay_alu instid0(VALU_DEP_3) | instskip(NEXT) | instid1(VALU_DEP_1)
	v_lshrrev_b32_e32 v12, 16, v0
	v_mul_lo_u16 v0, v12, 21
	s_delay_alu instid0(VALU_DEP_1) | instskip(NEXT) | instid1(VALU_DEP_4)
	v_sub_nc_u16 v19, v18, v0
	v_dual_mov_b32 v0, v2 :: v_dual_mov_b32 v1, v3
	s_waitcnt lgkmcnt(0)
	s_cmp_eq_u32 s1, 1
	s_cselect_b32 s0, -1, 0
	s_cmp_lg_u32 s1, 1
	s_cselect_b32 s1, -1, 0
	s_lshl_b64 s[4:5], s[12:13], 3
	s_delay_alu instid0(SALU_CYCLE_1)
	s_add_u32 s6, s6, s4
	s_addc_u32 s7, s7, s5
	s_add_u32 s10, s6, 8
	s_addc_u32 s11, s7, 0
	;; [unrolled: 2-line block ×3, first 2 shown]
	s_cmp_eq_u64 s[8:9], 0
	s_load_b64 s[8:9], s[2:3], 0x68
	s_cselect_b32 s5, s11, s5
	s_cselect_b32 s4, s10, s4
	s_load_b64 s[16:17], s[6:7], 0x0
	s_load_b64 s[10:11], s[4:5], 0x0
	s_waitcnt lgkmcnt(0)
	v_cmp_ge_i64_e64 s4, s[16:17], s[10:11]
	s_delay_alu instid0(VALU_DEP_1)
	s_and_b32 vcc_lo, exec_lo, s4
	s_cbranch_vccnz .LBB468_14
; %bb.10:
	v_mul_lo_u16 v0, v12, 25
	v_and_b32_e32 v2, 0xffff, v18
	s_clause 0x1
	s_load_b64 s[18:19], s[2:3], 0x50
	s_load_b128 s[4:7], s[2:3], 0x40
	v_and_b32_e32 v1, 0xffff, v19
	s_sub_u32 s2, s10, s14
	v_lshrrev_b16 v0, 9, v0
	v_mul_u32_u24_e32 v2, 0x253, v2
	s_subb_u32 s3, s11, 0
	s_sub_u32 s10, s16, s14
	s_subb_u32 s11, s17, 0
	v_mul_lo_u16 v0, v0, 21
	v_lshrrev_b32_e32 v20, 18, v2
	s_mul_hi_u32 s15, s10, 0xdc8
	s_mul_i32 s20, s11, 0xdc8
	s_mul_i32 s21, s10, 0xdc8
	v_sub_nc_u16 v0, v12, v0
	s_add_i32 s15, s15, s20
	v_lshlrev_b32_e32 v14, 3, v18
	s_delay_alu instid0(VALU_DEP_2) | instskip(NEXT) | instid1(VALU_DEP_1)
	v_and_b32_e32 v0, 0xff, v0
	v_cndmask_b32_e64 v0, v1, v0, s0
	v_add_co_u32 v1, s0, s16, v20
	s_delay_alu instid0(VALU_DEP_1) | instskip(NEXT) | instid1(VALU_DEP_3)
	v_add_co_ci_u32_e64 v2, null, s17, 0, s0
	v_lshlrev_b32_e32 v3, 4, v0
	s_delay_alu instid0(VALU_DEP_3) | instskip(NEXT) | instid1(VALU_DEP_3)
	v_sub_co_u32 v0, vcc_lo, v1, s14
	v_subrev_co_ci_u32_e32 v1, vcc_lo, 0, v2, vcc_lo
	s_waitcnt lgkmcnt(0)
	s_add_u32 s0, s6, s21
	s_addc_u32 s6, s7, s15
	v_add_co_u32 v12, s7, s18, v3
	v_lshlrev_b64 v[0:1], 3, v[0:1]
	v_mov_b32_e32 v2, 0
	v_mov_b32_e32 v3, 0
	v_add_co_u32 v14, s0, s0, v14
	v_add_co_ci_u32_e64 v13, null, s19, 0, s7
	v_add_co_u32 v16, vcc_lo, s4, v0
	v_add_co_ci_u32_e32 v17, vcc_lo, s5, v1, vcc_lo
	v_dual_mov_b32 v0, v2 :: v_dual_mov_b32 v1, v3
	v_add_co_ci_u32_e64 v15, null, s6, 0, s0
	s_set_inst_prefetch_distance 0x1
	s_branch .LBB468_12
	.p2align	6
.LBB468_11:                             ;   in Loop: Header=BB468_12 Depth=1
	s_or_b32 exec_lo, exec_lo, s0
	s_add_u32 s10, s10, 1
	s_addc_u32 s11, s11, 0
	v_add_co_u32 v16, vcc_lo, v16, 8
	v_cmp_lt_i64_e64 s0, s[10:11], s[2:3]
	v_add_co_ci_u32_e32 v17, vcc_lo, 0, v17, vcc_lo
	s_delay_alu instid0(VALU_DEP_2)
	s_and_b32 vcc_lo, exec_lo, s0
	s_cbranch_vccz .LBB468_14
.LBB468_12:                             ; =>This Inner Loop Header: Depth=1
	v_add_co_u32 v21, s0, v20, s10
	s_delay_alu instid0(VALU_DEP_1) | instskip(SKIP_1) | instid1(VALU_DEP_1)
	v_add_co_ci_u32_e64 v22, null, 0, s11, s0
	s_mov_b32 s0, exec_lo
	v_cmpx_gt_i64_e64 s[2:3], v[21:22]
	s_cbranch_execz .LBB468_11
; %bb.13:                               ;   in Loop: Header=BB468_12 Depth=1
	global_load_b64 v[21:22], v[16:17], off
	s_waitcnt vmcnt(0)
	v_sub_co_u32 v23, vcc_lo, v21, s14
	v_subrev_co_ci_u32_e32 v25, vcc_lo, 0, v22, vcc_lo
	s_delay_alu instid0(VALU_DEP_2) | instskip(NEXT) | instid1(VALU_DEP_1)
	v_mad_u64_u32 v[21:22], null, 0x150, v23, v[12:13]
	v_mad_u64_u32 v[23:24], null, 0x150, v25, v[22:23]
	s_delay_alu instid0(VALU_DEP_1)
	v_mov_b32_e32 v22, v23
	global_load_b64 v[25:26], v[14:15], off
	global_load_b128 v[21:24], v[21:22], off
	v_add_co_u32 v14, vcc_lo, 0xdc8, v14
	v_add_co_ci_u32_e32 v15, vcc_lo, 0, v15, vcc_lo
	s_waitcnt vmcnt(0)
	v_fma_f64 v[0:1], v[25:26], v[21:22], v[0:1]
	v_fma_f64 v[2:3], v[21:22], 0, v[2:3]
	s_delay_alu instid0(VALU_DEP_2) | instskip(NEXT) | instid1(VALU_DEP_2)
	v_fma_f64 v[0:1], 0x80000000, v[23:24], v[0:1]
	v_fma_f64 v[2:3], v[25:26], v[23:24], v[2:3]
	s_branch .LBB468_11
.LBB468_14:
	s_set_inst_prefetch_distance 0x2
	v_lshlrev_b32_e32 v16, 4, v18
	s_and_b32 vcc_lo, exec_lo, s1
	ds_store_b128 v16, v[0:3]
	s_waitcnt vmcnt(0) lgkmcnt(0)
	s_barrier
	buffer_gl0_inv
	s_cbranch_vccz .LBB468_26
; %bb.15:
	s_mov_b32 s0, exec_lo
	v_cmpx_gt_u16_e32 5, v19
	s_cbranch_execz .LBB468_17
; %bb.16:
	ds_load_b128 v[12:15], v16 offset:256
	ds_load_b128 v[20:23], v16
	s_waitcnt lgkmcnt(0)
	v_add_f64 v[12:13], v[12:13], v[20:21]
	v_add_f64 v[14:15], v[14:15], v[22:23]
	ds_store_b128 v16, v[12:15]
.LBB468_17:
	s_or_b32 exec_lo, exec_lo, s0
	s_delay_alu instid0(SALU_CYCLE_1)
	s_mov_b32 s0, exec_lo
	s_waitcnt lgkmcnt(0)
	s_barrier
	buffer_gl0_inv
	v_cmpx_gt_u16_e32 8, v19
	s_cbranch_execz .LBB468_19
; %bb.18:
	ds_load_b128 v[12:15], v16 offset:128
	ds_load_b128 v[20:23], v16
	s_waitcnt lgkmcnt(0)
	v_add_f64 v[12:13], v[12:13], v[20:21]
	v_add_f64 v[14:15], v[14:15], v[22:23]
	ds_store_b128 v16, v[12:15]
.LBB468_19:
	s_or_b32 exec_lo, exec_lo, s0
	s_delay_alu instid0(SALU_CYCLE_1)
	s_mov_b32 s0, exec_lo
	s_waitcnt lgkmcnt(0)
	s_barrier
	buffer_gl0_inv
	;; [unrolled: 16-line block ×3, first 2 shown]
	v_cmpx_gt_u16_e32 2, v19
	s_cbranch_execz .LBB468_23
; %bb.22:
	ds_load_b128 v[12:15], v16
	ds_load_b128 v[19:22], v16 offset:32
	s_waitcnt lgkmcnt(0)
	v_add_f64 v[12:13], v[19:20], v[12:13]
	v_add_f64 v[14:15], v[21:22], v[14:15]
	ds_store_b128 v16, v[12:15]
.LBB468_23:
	s_or_b32 exec_lo, exec_lo, s0
	v_dual_mov_b32 v15, v3 :: v_dual_mov_b32 v14, v2
	v_dual_mov_b32 v13, v1 :: v_dual_mov_b32 v12, v0
	s_mov_b32 s0, exec_lo
	s_waitcnt lgkmcnt(0)
	s_barrier
	buffer_gl0_inv
	v_cmpx_gt_u32_e32 21, v18
	s_cbranch_execz .LBB468_25
; %bb.24:
	v_mul_u32_u24_e32 v12, 21, v18
	s_delay_alu instid0(VALU_DEP_1)
	v_lshlrev_b32_e32 v17, 4, v12
	ds_load_b128 v[12:15], v17
	ds_load_b128 v[19:22], v17 offset:16
	s_waitcnt lgkmcnt(0)
	v_add_f64 v[12:13], v[19:20], v[12:13]
	v_add_f64 v[14:15], v[21:22], v[14:15]
.LBB468_25:
	s_or_b32 exec_lo, exec_lo, s0
	s_branch .LBB468_38
.LBB468_26:
                                        ; implicit-def: $vgpr14_vgpr15
                                        ; implicit-def: $vgpr12_vgpr13
	s_cbranch_execz .LBB468_38
; %bb.27:
	s_mov_b32 s0, exec_lo
	v_cmpx_gt_u32_e32 0x69, v18
	s_cbranch_execz .LBB468_29
; %bb.28:
	ds_load_b128 v[12:15], v16 offset:5376
	ds_load_b128 v[19:22], v16
	s_waitcnt lgkmcnt(0)
	v_add_f64 v[12:13], v[12:13], v[19:20]
	v_add_f64 v[14:15], v[14:15], v[21:22]
	ds_store_b128 v16, v[12:15]
.LBB468_29:
	s_or_b32 exec_lo, exec_lo, s0
	s_delay_alu instid0(SALU_CYCLE_1)
	s_mov_b32 s0, exec_lo
	s_waitcnt lgkmcnt(0)
	s_barrier
	buffer_gl0_inv
	v_cmpx_gt_u32_e32 0xa8, v18
	s_cbranch_execz .LBB468_31
; %bb.30:
	ds_load_b128 v[12:15], v16 offset:2688
	ds_load_b128 v[19:22], v16
	s_waitcnt lgkmcnt(0)
	v_add_f64 v[12:13], v[12:13], v[19:20]
	v_add_f64 v[14:15], v[14:15], v[21:22]
	ds_store_b128 v16, v[12:15]
.LBB468_31:
	s_or_b32 exec_lo, exec_lo, s0
	s_delay_alu instid0(SALU_CYCLE_1)
	s_mov_b32 s0, exec_lo
	s_waitcnt lgkmcnt(0)
	s_barrier
	buffer_gl0_inv
	;; [unrolled: 16-line block ×3, first 2 shown]
	v_cmpx_gt_u32_e32 42, v18
	s_cbranch_execz .LBB468_35
; %bb.34:
	ds_load_b128 v[12:15], v16 offset:672
	ds_load_b128 v[19:22], v16
	s_waitcnt lgkmcnt(0)
	v_add_f64 v[12:13], v[12:13], v[19:20]
	v_add_f64 v[14:15], v[14:15], v[21:22]
	ds_store_b128 v16, v[12:15]
.LBB468_35:
	s_or_b32 exec_lo, exec_lo, s0
	s_delay_alu instid0(SALU_CYCLE_1)
	s_mov_b32 s0, exec_lo
	s_waitcnt lgkmcnt(0)
	buffer_gl0_inv
	v_cmpx_gt_u32_e32 21, v18
	s_cbranch_execz .LBB468_37
; %bb.36:
	ds_load_b128 v[0:3], v16 offset:336
	ds_load_b128 v[12:15], v16
	s_waitcnt lgkmcnt(0)
	v_add_f64 v[0:1], v[0:1], v[12:13]
	v_add_f64 v[2:3], v[2:3], v[14:15]
.LBB468_37:
	s_or_b32 exec_lo, exec_lo, s0
	s_delay_alu instid0(VALU_DEP_1) | instskip(NEXT) | instid1(VALU_DEP_3)
	v_dual_mov_b32 v15, v3 :: v_dual_mov_b32 v14, v2
	v_dual_mov_b32 v13, v1 :: v_dual_mov_b32 v12, v0
.LBB468_38:
	v_cmp_gt_u32_e32 vcc_lo, 21, v18
	s_and_b32 exec_lo, exec_lo, vcc_lo
	s_cbranch_execz .LBB468_43
; %bb.39:
	s_delay_alu instid0(VALU_DEP_2)
	v_mul_f64 v[0:1], v[14:15], -v[10:11]
	v_mul_f64 v[2:3], v[8:9], v[14:15]
	v_cmp_eq_f64_e32 vcc_lo, 0, v[4:5]
	v_cmp_eq_f64_e64 s0, 0, v[6:7]
	s_mul_hi_u32 s1, s12, 0x150
	s_mul_i32 s2, s12, 0x150
	s_delay_alu instid0(VALU_DEP_4) | instskip(NEXT) | instid1(VALU_DEP_4)
	v_fma_f64 v[0:1], v[8:9], v[12:13], v[0:1]
	v_fma_f64 v[2:3], v[10:11], v[12:13], v[2:3]
	s_delay_alu instid0(VALU_DEP_3) | instskip(SKIP_2) | instid1(SALU_CYCLE_1)
	s_and_b32 s3, vcc_lo, s0
	s_mul_i32 s0, s13, 0x150
	s_and_saveexec_b32 s4, s3
	s_xor_b32 s3, exec_lo, s4
	s_cbranch_execz .LBB468_41
; %bb.40:
	s_add_i32 s5, s1, s0
	s_add_u32 s4, s8, s2
	s_addc_u32 s5, s9, s5
                                        ; implicit-def: $vgpr4_vgpr5
                                        ; implicit-def: $vgpr6_vgpr7
	global_store_b128 v16, v[0:3], s[4:5]
                                        ; implicit-def: $vgpr16
                                        ; implicit-def: $vgpr0_vgpr1
.LBB468_41:
	s_and_not1_saveexec_b32 s3, s3
	s_cbranch_execz .LBB468_43
; %bb.42:
	s_add_i32 s1, s1, s0
	s_add_u32 s0, s8, s2
	s_addc_u32 s1, s9, s1
	global_load_b128 v[8:11], v16, s[0:1]
	s_waitcnt vmcnt(0)
	v_fma_f64 v[0:1], v[4:5], v[8:9], v[0:1]
	v_fma_f64 v[2:3], v[6:7], v[8:9], v[2:3]
	s_delay_alu instid0(VALU_DEP_2) | instskip(NEXT) | instid1(VALU_DEP_2)
	v_fma_f64 v[0:1], -v[6:7], v[10:11], v[0:1]
	v_fma_f64 v[2:3], v[4:5], v[10:11], v[2:3]
	global_store_b128 v16, v[0:3], s[0:1]
.LBB468_43:
	s_nop 0
	s_sendmsg sendmsg(MSG_DEALLOC_VGPRS)
	s_endpgm
	.section	.rodata,"a",@progbits
	.p2align	6, 0x0
	.amdhsa_kernel _ZN9rocsparseL20bsrxmvn_17_32_kernelILj21E21rocsparse_complex_numIdElldS2_S2_EEvT2_20rocsparse_direction_NS_24const_host_device_scalarIT0_EES3_PKS3_PKT1_SC_S9_PKT3_PKT4_S7_PT5_21rocsparse_index_base_b
		.amdhsa_group_segment_fixed_size 14112
		.amdhsa_private_segment_fixed_size 0
		.amdhsa_kernarg_size 120
		.amdhsa_user_sgpr_count 15
		.amdhsa_user_sgpr_dispatch_ptr 1
		.amdhsa_user_sgpr_queue_ptr 0
		.amdhsa_user_sgpr_kernarg_segment_ptr 1
		.amdhsa_user_sgpr_dispatch_id 0
		.amdhsa_user_sgpr_private_segment_size 0
		.amdhsa_wavefront_size32 1
		.amdhsa_uses_dynamic_stack 0
		.amdhsa_enable_private_segment 0
		.amdhsa_system_sgpr_workgroup_id_x 1
		.amdhsa_system_sgpr_workgroup_id_y 0
		.amdhsa_system_sgpr_workgroup_id_z 0
		.amdhsa_system_sgpr_workgroup_info 0
		.amdhsa_system_vgpr_workitem_id 2
		.amdhsa_next_free_vgpr 27
		.amdhsa_next_free_sgpr 22
		.amdhsa_reserve_vcc 1
		.amdhsa_float_round_mode_32 0
		.amdhsa_float_round_mode_16_64 0
		.amdhsa_float_denorm_mode_32 3
		.amdhsa_float_denorm_mode_16_64 3
		.amdhsa_dx10_clamp 1
		.amdhsa_ieee_mode 1
		.amdhsa_fp16_overflow 0
		.amdhsa_workgroup_processor_mode 1
		.amdhsa_memory_ordered 1
		.amdhsa_forward_progress 0
		.amdhsa_shared_vgpr_count 0
		.amdhsa_exception_fp_ieee_invalid_op 0
		.amdhsa_exception_fp_denorm_src 0
		.amdhsa_exception_fp_ieee_div_zero 0
		.amdhsa_exception_fp_ieee_overflow 0
		.amdhsa_exception_fp_ieee_underflow 0
		.amdhsa_exception_fp_ieee_inexact 0
		.amdhsa_exception_int_div_zero 0
	.end_amdhsa_kernel
	.section	.text._ZN9rocsparseL20bsrxmvn_17_32_kernelILj21E21rocsparse_complex_numIdElldS2_S2_EEvT2_20rocsparse_direction_NS_24const_host_device_scalarIT0_EES3_PKS3_PKT1_SC_S9_PKT3_PKT4_S7_PT5_21rocsparse_index_base_b,"axG",@progbits,_ZN9rocsparseL20bsrxmvn_17_32_kernelILj21E21rocsparse_complex_numIdElldS2_S2_EEvT2_20rocsparse_direction_NS_24const_host_device_scalarIT0_EES3_PKS3_PKT1_SC_S9_PKT3_PKT4_S7_PT5_21rocsparse_index_base_b,comdat
.Lfunc_end468:
	.size	_ZN9rocsparseL20bsrxmvn_17_32_kernelILj21E21rocsparse_complex_numIdElldS2_S2_EEvT2_20rocsparse_direction_NS_24const_host_device_scalarIT0_EES3_PKS3_PKT1_SC_S9_PKT3_PKT4_S7_PT5_21rocsparse_index_base_b, .Lfunc_end468-_ZN9rocsparseL20bsrxmvn_17_32_kernelILj21E21rocsparse_complex_numIdElldS2_S2_EEvT2_20rocsparse_direction_NS_24const_host_device_scalarIT0_EES3_PKS3_PKT1_SC_S9_PKT3_PKT4_S7_PT5_21rocsparse_index_base_b
                                        ; -- End function
	.section	.AMDGPU.csdata,"",@progbits
; Kernel info:
; codeLenInByte = 2164
; NumSgprs: 24
; NumVgprs: 27
; ScratchSize: 0
; MemoryBound: 1
; FloatMode: 240
; IeeeMode: 1
; LDSByteSize: 14112 bytes/workgroup (compile time only)
; SGPRBlocks: 2
; VGPRBlocks: 3
; NumSGPRsForWavesPerEU: 24
; NumVGPRsForWavesPerEU: 27
; Occupancy: 14
; WaveLimiterHint : 1
; COMPUTE_PGM_RSRC2:SCRATCH_EN: 0
; COMPUTE_PGM_RSRC2:USER_SGPR: 15
; COMPUTE_PGM_RSRC2:TRAP_HANDLER: 0
; COMPUTE_PGM_RSRC2:TGID_X_EN: 1
; COMPUTE_PGM_RSRC2:TGID_Y_EN: 0
; COMPUTE_PGM_RSRC2:TGID_Z_EN: 0
; COMPUTE_PGM_RSRC2:TIDIG_COMP_CNT: 2
	.section	.text._ZN9rocsparseL20bsrxmvn_17_32_kernelILj22E21rocsparse_complex_numIdElldS2_S2_EEvT2_20rocsparse_direction_NS_24const_host_device_scalarIT0_EES3_PKS3_PKT1_SC_S9_PKT3_PKT4_S7_PT5_21rocsparse_index_base_b,"axG",@progbits,_ZN9rocsparseL20bsrxmvn_17_32_kernelILj22E21rocsparse_complex_numIdElldS2_S2_EEvT2_20rocsparse_direction_NS_24const_host_device_scalarIT0_EES3_PKS3_PKT1_SC_S9_PKT3_PKT4_S7_PT5_21rocsparse_index_base_b,comdat
	.globl	_ZN9rocsparseL20bsrxmvn_17_32_kernelILj22E21rocsparse_complex_numIdElldS2_S2_EEvT2_20rocsparse_direction_NS_24const_host_device_scalarIT0_EES3_PKS3_PKT1_SC_S9_PKT3_PKT4_S7_PT5_21rocsparse_index_base_b ; -- Begin function _ZN9rocsparseL20bsrxmvn_17_32_kernelILj22E21rocsparse_complex_numIdElldS2_S2_EEvT2_20rocsparse_direction_NS_24const_host_device_scalarIT0_EES3_PKS3_PKT1_SC_S9_PKT3_PKT4_S7_PT5_21rocsparse_index_base_b
	.p2align	8
	.type	_ZN9rocsparseL20bsrxmvn_17_32_kernelILj22E21rocsparse_complex_numIdElldS2_S2_EEvT2_20rocsparse_direction_NS_24const_host_device_scalarIT0_EES3_PKS3_PKT1_SC_S9_PKT3_PKT4_S7_PT5_21rocsparse_index_base_b,@function
_ZN9rocsparseL20bsrxmvn_17_32_kernelILj22E21rocsparse_complex_numIdElldS2_S2_EEvT2_20rocsparse_direction_NS_24const_host_device_scalarIT0_EES3_PKS3_PKT1_SC_S9_PKT3_PKT4_S7_PT5_21rocsparse_index_base_b: ; @_ZN9rocsparseL20bsrxmvn_17_32_kernelILj22E21rocsparse_complex_numIdElldS2_S2_EEvT2_20rocsparse_direction_NS_24const_host_device_scalarIT0_EES3_PKS3_PKT1_SC_S9_PKT3_PKT4_S7_PT5_21rocsparse_index_base_b
; %bb.0:
	s_mov_b32 s12, s15
	s_clause 0x1
	s_load_b64 s[14:15], s[2:3], 0x70
	s_load_b128 s[4:7], s[2:3], 0x10
	s_load_b64 s[16:17], s[0:1], 0x4
	s_mov_b64 s[0:1], src_shared_base
	v_and_b32_e32 v18, 0x3ff, v0
	s_load_b128 s[8:11], s[2:3], 0x58
	v_bfe_u32 v2, v0, 10, 10
	v_bfe_u32 v0, v0, 20, 10
	s_waitcnt lgkmcnt(0)
	s_bitcmp1_b32 s15, 0
	v_mov_b32_e32 v11, s7
	s_cselect_b32 s0, -1, 0
	v_mov_b32_e32 v10, s6
	s_and_b32 vcc_lo, s0, exec_lo
	s_cselect_b32 s13, s1, s5
	s_lshr_b32 s15, s16, 16
	s_xor_b32 s6, s0, -1
	s_mul_i32 s15, s15, s17
	v_mov_b32_e32 v5, s13
	v_mul_lo_u32 v1, s15, v18
	s_delay_alu instid0(VALU_DEP_1) | instskip(SKIP_1) | instid1(VALU_DEP_2)
	v_mad_u32_u24 v1, v2, s17, v1
	v_dual_mov_b32 v2, s8 :: v_dual_mov_b32 v3, s9
	v_add_lshl_u32 v6, v1, v0, 3
	v_dual_mov_b32 v0, s4 :: v_dual_mov_b32 v1, s5
	ds_store_b64 v6, v[0:1] offset:11616
	ds_store_b64 v6, v[2:3] offset:7744
	v_add_nc_u32_e32 v4, 0x2d60, v6
	v_add_nc_u32_e32 v0, 0x1e40, v6
	s_delay_alu instid0(VALU_DEP_2)
	v_cndmask_b32_e64 v4, s4, v4, s0
	flat_load_b64 v[8:9], v[4:5]
	s_cbranch_vccnz .LBB469_2
; %bb.1:
	v_dual_mov_b32 v1, s4 :: v_dual_mov_b32 v2, s5
	flat_load_b64 v[10:11], v[1:2] offset:8
.LBB469_2:
	s_and_b32 s4, s0, exec_lo
	s_cselect_b32 s1, s1, s9
	v_cndmask_b32_e64 v0, s8, v0, s0
	v_dual_mov_b32 v1, s1 :: v_dual_mov_b32 v6, s10
	v_mov_b32_e32 v7, s11
	s_and_not1_b32 vcc_lo, exec_lo, s6
	flat_load_b64 v[4:5], v[0:1]
	s_cbranch_vccnz .LBB469_4
; %bb.3:
	v_dual_mov_b32 v0, s8 :: v_dual_mov_b32 v1, s9
	flat_load_b64 v[6:7], v[0:1] offset:8
.LBB469_4:
	s_waitcnt vmcnt(1) lgkmcnt(1)
	v_cmp_eq_f64_e32 vcc_lo, 0, v[8:9]
	v_cmp_eq_f64_e64 s0, 0, v[10:11]
	s_delay_alu instid0(VALU_DEP_1)
	s_and_b32 s4, vcc_lo, s0
	s_mov_b32 s0, -1
	s_and_saveexec_b32 s1, s4
	s_cbranch_execz .LBB469_6
; %bb.5:
	s_waitcnt vmcnt(0) lgkmcnt(0)
	v_cmp_neq_f64_e32 vcc_lo, 1.0, v[4:5]
	v_cmp_neq_f64_e64 s0, 0, v[6:7]
	s_delay_alu instid0(VALU_DEP_1) | instskip(NEXT) | instid1(SALU_CYCLE_1)
	s_or_b32 s0, vcc_lo, s0
	s_or_not1_b32 s0, s0, exec_lo
.LBB469_6:
	s_or_b32 exec_lo, exec_lo, s1
	s_and_saveexec_b32 s1, s0
	s_cbranch_execz .LBB469_43
; %bb.7:
	s_clause 0x1
	s_load_b128 s[4:7], s[2:3], 0x28
	s_load_b64 s[8:9], s[2:3], 0x38
	s_mov_b32 s13, 0
	s_waitcnt lgkmcnt(0)
	s_cmp_eq_u64 s[4:5], 0
	s_cbranch_scc1 .LBB469_9
; %bb.8:
	s_lshl_b64 s[0:1], s[12:13], 3
	s_delay_alu instid0(SALU_CYCLE_1)
	s_add_u32 s0, s4, s0
	s_addc_u32 s1, s5, s1
	s_load_b64 s[0:1], s[0:1], 0x0
	s_waitcnt lgkmcnt(0)
	s_sub_u32 s12, s0, s14
	s_subb_u32 s13, s1, 0
.LBB469_9:
	s_load_b32 s1, s[2:3], 0x8
	v_mul_u32_u24_e32 v0, 0xba3, v18
	v_mov_b32_e32 v2, 0
	v_mov_b32_e32 v3, 0
	s_delay_alu instid0(VALU_DEP_3) | instskip(NEXT) | instid1(VALU_DEP_1)
	v_lshrrev_b32_e32 v12, 16, v0
	v_mul_lo_u16 v0, v12, 22
	s_delay_alu instid0(VALU_DEP_1) | instskip(NEXT) | instid1(VALU_DEP_4)
	v_sub_nc_u16 v19, v18, v0
	v_dual_mov_b32 v0, v2 :: v_dual_mov_b32 v1, v3
	s_waitcnt lgkmcnt(0)
	s_cmp_eq_u32 s1, 1
	s_cselect_b32 s0, -1, 0
	s_cmp_lg_u32 s1, 1
	s_cselect_b32 s1, -1, 0
	s_lshl_b64 s[4:5], s[12:13], 3
	s_delay_alu instid0(SALU_CYCLE_1)
	s_add_u32 s6, s6, s4
	s_addc_u32 s7, s7, s5
	s_add_u32 s10, s6, 8
	s_addc_u32 s11, s7, 0
	;; [unrolled: 2-line block ×3, first 2 shown]
	s_cmp_eq_u64 s[8:9], 0
	s_load_b64 s[8:9], s[2:3], 0x68
	s_cselect_b32 s5, s11, s5
	s_cselect_b32 s4, s10, s4
	s_load_b64 s[16:17], s[6:7], 0x0
	s_load_b64 s[10:11], s[4:5], 0x0
	s_waitcnt lgkmcnt(0)
	v_cmp_ge_i64_e64 s4, s[16:17], s[10:11]
	s_delay_alu instid0(VALU_DEP_1)
	s_and_b32 vcc_lo, exec_lo, s4
	s_cbranch_vccnz .LBB469_14
; %bb.10:
	v_mul_lo_u16 v0, v12, 12
	v_and_b32_e32 v2, 0xffff, v18
	s_clause 0x1
	s_load_b64 s[18:19], s[2:3], 0x50
	s_load_b128 s[4:7], s[2:3], 0x40
	v_and_b32_e32 v1, 0xffff, v19
	s_sub_u32 s2, s10, s14
	v_lshrrev_b16 v0, 8, v0
	v_mul_u32_u24_e32 v2, 0x10f, v2
	s_subb_u32 s3, s11, 0
	s_sub_u32 s10, s16, s14
	s_subb_u32 s11, s17, 0
	v_mul_lo_u16 v0, v0, 22
	v_lshrrev_b32_e32 v20, 17, v2
	s_mul_hi_u32 s15, s10, 0xf20
	s_mul_i32 s20, s11, 0xf20
	s_mul_i32 s21, s10, 0xf20
	v_sub_nc_u16 v0, v12, v0
	s_add_i32 s15, s15, s20
	v_lshlrev_b32_e32 v14, 3, v18
	s_delay_alu instid0(VALU_DEP_2) | instskip(NEXT) | instid1(VALU_DEP_1)
	v_and_b32_e32 v0, 0xff, v0
	v_cndmask_b32_e64 v0, v1, v0, s0
	v_add_co_u32 v1, s0, s16, v20
	s_delay_alu instid0(VALU_DEP_1) | instskip(NEXT) | instid1(VALU_DEP_3)
	v_add_co_ci_u32_e64 v2, null, s17, 0, s0
	v_lshlrev_b32_e32 v3, 4, v0
	s_delay_alu instid0(VALU_DEP_3) | instskip(NEXT) | instid1(VALU_DEP_3)
	v_sub_co_u32 v0, vcc_lo, v1, s14
	v_subrev_co_ci_u32_e32 v1, vcc_lo, 0, v2, vcc_lo
	s_waitcnt lgkmcnt(0)
	s_add_u32 s0, s6, s21
	s_addc_u32 s6, s7, s15
	v_add_co_u32 v12, s7, s18, v3
	v_lshlrev_b64 v[0:1], 3, v[0:1]
	v_mov_b32_e32 v2, 0
	v_mov_b32_e32 v3, 0
	v_add_co_u32 v14, s0, s0, v14
	v_add_co_ci_u32_e64 v13, null, s19, 0, s7
	v_add_co_u32 v16, vcc_lo, s4, v0
	v_add_co_ci_u32_e32 v17, vcc_lo, s5, v1, vcc_lo
	v_dual_mov_b32 v0, v2 :: v_dual_mov_b32 v1, v3
	v_add_co_ci_u32_e64 v15, null, s6, 0, s0
	s_set_inst_prefetch_distance 0x1
	s_branch .LBB469_12
	.p2align	6
.LBB469_11:                             ;   in Loop: Header=BB469_12 Depth=1
	s_or_b32 exec_lo, exec_lo, s0
	s_add_u32 s10, s10, 1
	s_addc_u32 s11, s11, 0
	v_add_co_u32 v16, vcc_lo, v16, 8
	v_cmp_lt_i64_e64 s0, s[10:11], s[2:3]
	v_add_co_ci_u32_e32 v17, vcc_lo, 0, v17, vcc_lo
	s_delay_alu instid0(VALU_DEP_2)
	s_and_b32 vcc_lo, exec_lo, s0
	s_cbranch_vccz .LBB469_14
.LBB469_12:                             ; =>This Inner Loop Header: Depth=1
	v_add_co_u32 v21, s0, v20, s10
	s_delay_alu instid0(VALU_DEP_1) | instskip(SKIP_1) | instid1(VALU_DEP_1)
	v_add_co_ci_u32_e64 v22, null, 0, s11, s0
	s_mov_b32 s0, exec_lo
	v_cmpx_gt_i64_e64 s[2:3], v[21:22]
	s_cbranch_execz .LBB469_11
; %bb.13:                               ;   in Loop: Header=BB469_12 Depth=1
	global_load_b64 v[21:22], v[16:17], off
	s_waitcnt vmcnt(0)
	v_sub_co_u32 v23, vcc_lo, v21, s14
	v_subrev_co_ci_u32_e32 v25, vcc_lo, 0, v22, vcc_lo
	s_delay_alu instid0(VALU_DEP_2) | instskip(NEXT) | instid1(VALU_DEP_1)
	v_mad_u64_u32 v[21:22], null, 0x160, v23, v[12:13]
	v_mad_u64_u32 v[23:24], null, 0x160, v25, v[22:23]
	s_delay_alu instid0(VALU_DEP_1)
	v_mov_b32_e32 v22, v23
	global_load_b64 v[25:26], v[14:15], off
	global_load_b128 v[21:24], v[21:22], off
	v_add_co_u32 v14, vcc_lo, 0xf20, v14
	v_add_co_ci_u32_e32 v15, vcc_lo, 0, v15, vcc_lo
	s_waitcnt vmcnt(0)
	v_fma_f64 v[0:1], v[25:26], v[21:22], v[0:1]
	v_fma_f64 v[2:3], v[21:22], 0, v[2:3]
	s_delay_alu instid0(VALU_DEP_2) | instskip(NEXT) | instid1(VALU_DEP_2)
	v_fma_f64 v[0:1], 0x80000000, v[23:24], v[0:1]
	v_fma_f64 v[2:3], v[25:26], v[23:24], v[2:3]
	s_branch .LBB469_11
.LBB469_14:
	s_set_inst_prefetch_distance 0x2
	v_lshlrev_b32_e32 v16, 4, v18
	s_and_b32 vcc_lo, exec_lo, s1
	ds_store_b128 v16, v[0:3]
	s_waitcnt vmcnt(0) lgkmcnt(0)
	s_barrier
	buffer_gl0_inv
	s_cbranch_vccz .LBB469_26
; %bb.15:
	s_mov_b32 s0, exec_lo
	v_cmpx_gt_u16_e32 6, v19
	s_cbranch_execz .LBB469_17
; %bb.16:
	ds_load_b128 v[12:15], v16 offset:256
	ds_load_b128 v[20:23], v16
	s_waitcnt lgkmcnt(0)
	v_add_f64 v[12:13], v[12:13], v[20:21]
	v_add_f64 v[14:15], v[14:15], v[22:23]
	ds_store_b128 v16, v[12:15]
.LBB469_17:
	s_or_b32 exec_lo, exec_lo, s0
	s_delay_alu instid0(SALU_CYCLE_1)
	s_mov_b32 s0, exec_lo
	s_waitcnt lgkmcnt(0)
	s_barrier
	buffer_gl0_inv
	v_cmpx_gt_u16_e32 8, v19
	s_cbranch_execz .LBB469_19
; %bb.18:
	ds_load_b128 v[12:15], v16 offset:128
	ds_load_b128 v[20:23], v16
	s_waitcnt lgkmcnt(0)
	v_add_f64 v[12:13], v[12:13], v[20:21]
	v_add_f64 v[14:15], v[14:15], v[22:23]
	ds_store_b128 v16, v[12:15]
.LBB469_19:
	s_or_b32 exec_lo, exec_lo, s0
	s_delay_alu instid0(SALU_CYCLE_1)
	s_mov_b32 s0, exec_lo
	s_waitcnt lgkmcnt(0)
	s_barrier
	buffer_gl0_inv
	;; [unrolled: 16-line block ×3, first 2 shown]
	v_cmpx_gt_u16_e32 2, v19
	s_cbranch_execz .LBB469_23
; %bb.22:
	ds_load_b128 v[12:15], v16
	ds_load_b128 v[19:22], v16 offset:32
	s_waitcnt lgkmcnt(0)
	v_add_f64 v[12:13], v[19:20], v[12:13]
	v_add_f64 v[14:15], v[21:22], v[14:15]
	ds_store_b128 v16, v[12:15]
.LBB469_23:
	s_or_b32 exec_lo, exec_lo, s0
	v_dual_mov_b32 v15, v3 :: v_dual_mov_b32 v14, v2
	v_dual_mov_b32 v13, v1 :: v_dual_mov_b32 v12, v0
	s_mov_b32 s0, exec_lo
	s_waitcnt lgkmcnt(0)
	s_barrier
	buffer_gl0_inv
	v_cmpx_gt_u32_e32 22, v18
	s_cbranch_execz .LBB469_25
; %bb.24:
	v_mul_u32_u24_e32 v12, 22, v18
	s_delay_alu instid0(VALU_DEP_1)
	v_lshlrev_b32_e32 v17, 4, v12
	ds_load_b128 v[12:15], v17
	ds_load_b128 v[19:22], v17 offset:16
	s_waitcnt lgkmcnt(0)
	v_add_f64 v[12:13], v[19:20], v[12:13]
	v_add_f64 v[14:15], v[21:22], v[14:15]
.LBB469_25:
	s_or_b32 exec_lo, exec_lo, s0
	s_branch .LBB469_38
.LBB469_26:
                                        ; implicit-def: $vgpr14_vgpr15
                                        ; implicit-def: $vgpr12_vgpr13
	s_cbranch_execz .LBB469_38
; %bb.27:
	s_mov_b32 s0, exec_lo
	v_cmpx_gt_u32_e32 0x84, v18
	s_cbranch_execz .LBB469_29
; %bb.28:
	ds_load_b128 v[12:15], v16 offset:5632
	ds_load_b128 v[19:22], v16
	s_waitcnt lgkmcnt(0)
	v_add_f64 v[12:13], v[12:13], v[19:20]
	v_add_f64 v[14:15], v[14:15], v[21:22]
	ds_store_b128 v16, v[12:15]
.LBB469_29:
	s_or_b32 exec_lo, exec_lo, s0
	s_delay_alu instid0(SALU_CYCLE_1)
	s_mov_b32 s0, exec_lo
	s_waitcnt lgkmcnt(0)
	s_barrier
	buffer_gl0_inv
	v_cmpx_gt_u32_e32 0xb0, v18
	s_cbranch_execz .LBB469_31
; %bb.30:
	ds_load_b128 v[12:15], v16 offset:2816
	ds_load_b128 v[19:22], v16
	s_waitcnt lgkmcnt(0)
	v_add_f64 v[12:13], v[12:13], v[19:20]
	v_add_f64 v[14:15], v[14:15], v[21:22]
	ds_store_b128 v16, v[12:15]
.LBB469_31:
	s_or_b32 exec_lo, exec_lo, s0
	s_delay_alu instid0(SALU_CYCLE_1)
	s_mov_b32 s0, exec_lo
	s_waitcnt lgkmcnt(0)
	s_barrier
	buffer_gl0_inv
	;; [unrolled: 16-line block ×3, first 2 shown]
	v_cmpx_gt_u32_e32 44, v18
	s_cbranch_execz .LBB469_35
; %bb.34:
	ds_load_b128 v[12:15], v16 offset:704
	ds_load_b128 v[19:22], v16
	s_waitcnt lgkmcnt(0)
	v_add_f64 v[12:13], v[12:13], v[19:20]
	v_add_f64 v[14:15], v[14:15], v[21:22]
	ds_store_b128 v16, v[12:15]
.LBB469_35:
	s_or_b32 exec_lo, exec_lo, s0
	s_delay_alu instid0(SALU_CYCLE_1)
	s_mov_b32 s0, exec_lo
	s_waitcnt lgkmcnt(0)
	buffer_gl0_inv
	v_cmpx_gt_u32_e32 22, v18
	s_cbranch_execz .LBB469_37
; %bb.36:
	ds_load_b128 v[0:3], v16 offset:352
	ds_load_b128 v[12:15], v16
	s_waitcnt lgkmcnt(0)
	v_add_f64 v[0:1], v[0:1], v[12:13]
	v_add_f64 v[2:3], v[2:3], v[14:15]
.LBB469_37:
	s_or_b32 exec_lo, exec_lo, s0
	s_delay_alu instid0(VALU_DEP_1) | instskip(NEXT) | instid1(VALU_DEP_3)
	v_dual_mov_b32 v15, v3 :: v_dual_mov_b32 v14, v2
	v_dual_mov_b32 v13, v1 :: v_dual_mov_b32 v12, v0
.LBB469_38:
	v_cmp_gt_u32_e32 vcc_lo, 22, v18
	s_and_b32 exec_lo, exec_lo, vcc_lo
	s_cbranch_execz .LBB469_43
; %bb.39:
	s_delay_alu instid0(VALU_DEP_2)
	v_mul_f64 v[0:1], v[14:15], -v[10:11]
	v_mul_f64 v[2:3], v[8:9], v[14:15]
	v_cmp_eq_f64_e32 vcc_lo, 0, v[4:5]
	v_cmp_eq_f64_e64 s0, 0, v[6:7]
	s_mul_hi_u32 s1, s12, 0x160
	s_mul_i32 s2, s12, 0x160
	s_delay_alu instid0(VALU_DEP_4) | instskip(NEXT) | instid1(VALU_DEP_4)
	v_fma_f64 v[0:1], v[8:9], v[12:13], v[0:1]
	v_fma_f64 v[2:3], v[10:11], v[12:13], v[2:3]
	s_delay_alu instid0(VALU_DEP_3) | instskip(SKIP_2) | instid1(SALU_CYCLE_1)
	s_and_b32 s3, vcc_lo, s0
	s_mul_i32 s0, s13, 0x160
	s_and_saveexec_b32 s4, s3
	s_xor_b32 s3, exec_lo, s4
	s_cbranch_execz .LBB469_41
; %bb.40:
	s_add_i32 s5, s1, s0
	s_add_u32 s4, s8, s2
	s_addc_u32 s5, s9, s5
                                        ; implicit-def: $vgpr4_vgpr5
                                        ; implicit-def: $vgpr6_vgpr7
	global_store_b128 v16, v[0:3], s[4:5]
                                        ; implicit-def: $vgpr16
                                        ; implicit-def: $vgpr0_vgpr1
.LBB469_41:
	s_and_not1_saveexec_b32 s3, s3
	s_cbranch_execz .LBB469_43
; %bb.42:
	s_add_i32 s1, s1, s0
	s_add_u32 s0, s8, s2
	s_addc_u32 s1, s9, s1
	global_load_b128 v[8:11], v16, s[0:1]
	s_waitcnt vmcnt(0)
	v_fma_f64 v[0:1], v[4:5], v[8:9], v[0:1]
	v_fma_f64 v[2:3], v[6:7], v[8:9], v[2:3]
	s_delay_alu instid0(VALU_DEP_2) | instskip(NEXT) | instid1(VALU_DEP_2)
	v_fma_f64 v[0:1], -v[6:7], v[10:11], v[0:1]
	v_fma_f64 v[2:3], v[4:5], v[10:11], v[2:3]
	global_store_b128 v16, v[0:3], s[0:1]
.LBB469_43:
	s_nop 0
	s_sendmsg sendmsg(MSG_DEALLOC_VGPRS)
	s_endpgm
	.section	.rodata,"a",@progbits
	.p2align	6, 0x0
	.amdhsa_kernel _ZN9rocsparseL20bsrxmvn_17_32_kernelILj22E21rocsparse_complex_numIdElldS2_S2_EEvT2_20rocsparse_direction_NS_24const_host_device_scalarIT0_EES3_PKS3_PKT1_SC_S9_PKT3_PKT4_S7_PT5_21rocsparse_index_base_b
		.amdhsa_group_segment_fixed_size 15488
		.amdhsa_private_segment_fixed_size 0
		.amdhsa_kernarg_size 120
		.amdhsa_user_sgpr_count 15
		.amdhsa_user_sgpr_dispatch_ptr 1
		.amdhsa_user_sgpr_queue_ptr 0
		.amdhsa_user_sgpr_kernarg_segment_ptr 1
		.amdhsa_user_sgpr_dispatch_id 0
		.amdhsa_user_sgpr_private_segment_size 0
		.amdhsa_wavefront_size32 1
		.amdhsa_uses_dynamic_stack 0
		.amdhsa_enable_private_segment 0
		.amdhsa_system_sgpr_workgroup_id_x 1
		.amdhsa_system_sgpr_workgroup_id_y 0
		.amdhsa_system_sgpr_workgroup_id_z 0
		.amdhsa_system_sgpr_workgroup_info 0
		.amdhsa_system_vgpr_workitem_id 2
		.amdhsa_next_free_vgpr 27
		.amdhsa_next_free_sgpr 22
		.amdhsa_reserve_vcc 1
		.amdhsa_float_round_mode_32 0
		.amdhsa_float_round_mode_16_64 0
		.amdhsa_float_denorm_mode_32 3
		.amdhsa_float_denorm_mode_16_64 3
		.amdhsa_dx10_clamp 1
		.amdhsa_ieee_mode 1
		.amdhsa_fp16_overflow 0
		.amdhsa_workgroup_processor_mode 1
		.amdhsa_memory_ordered 1
		.amdhsa_forward_progress 0
		.amdhsa_shared_vgpr_count 0
		.amdhsa_exception_fp_ieee_invalid_op 0
		.amdhsa_exception_fp_denorm_src 0
		.amdhsa_exception_fp_ieee_div_zero 0
		.amdhsa_exception_fp_ieee_overflow 0
		.amdhsa_exception_fp_ieee_underflow 0
		.amdhsa_exception_fp_ieee_inexact 0
		.amdhsa_exception_int_div_zero 0
	.end_amdhsa_kernel
	.section	.text._ZN9rocsparseL20bsrxmvn_17_32_kernelILj22E21rocsparse_complex_numIdElldS2_S2_EEvT2_20rocsparse_direction_NS_24const_host_device_scalarIT0_EES3_PKS3_PKT1_SC_S9_PKT3_PKT4_S7_PT5_21rocsparse_index_base_b,"axG",@progbits,_ZN9rocsparseL20bsrxmvn_17_32_kernelILj22E21rocsparse_complex_numIdElldS2_S2_EEvT2_20rocsparse_direction_NS_24const_host_device_scalarIT0_EES3_PKS3_PKT1_SC_S9_PKT3_PKT4_S7_PT5_21rocsparse_index_base_b,comdat
.Lfunc_end469:
	.size	_ZN9rocsparseL20bsrxmvn_17_32_kernelILj22E21rocsparse_complex_numIdElldS2_S2_EEvT2_20rocsparse_direction_NS_24const_host_device_scalarIT0_EES3_PKS3_PKT1_SC_S9_PKT3_PKT4_S7_PT5_21rocsparse_index_base_b, .Lfunc_end469-_ZN9rocsparseL20bsrxmvn_17_32_kernelILj22E21rocsparse_complex_numIdElldS2_S2_EEvT2_20rocsparse_direction_NS_24const_host_device_scalarIT0_EES3_PKS3_PKT1_SC_S9_PKT3_PKT4_S7_PT5_21rocsparse_index_base_b
                                        ; -- End function
	.section	.AMDGPU.csdata,"",@progbits
; Kernel info:
; codeLenInByte = 2164
; NumSgprs: 24
; NumVgprs: 27
; ScratchSize: 0
; MemoryBound: 1
; FloatMode: 240
; IeeeMode: 1
; LDSByteSize: 15488 bytes/workgroup (compile time only)
; SGPRBlocks: 2
; VGPRBlocks: 3
; NumSGPRsForWavesPerEU: 24
; NumVGPRsForWavesPerEU: 27
; Occupancy: 16
; WaveLimiterHint : 1
; COMPUTE_PGM_RSRC2:SCRATCH_EN: 0
; COMPUTE_PGM_RSRC2:USER_SGPR: 15
; COMPUTE_PGM_RSRC2:TRAP_HANDLER: 0
; COMPUTE_PGM_RSRC2:TGID_X_EN: 1
; COMPUTE_PGM_RSRC2:TGID_Y_EN: 0
; COMPUTE_PGM_RSRC2:TGID_Z_EN: 0
; COMPUTE_PGM_RSRC2:TIDIG_COMP_CNT: 2
	.section	.text._ZN9rocsparseL20bsrxmvn_17_32_kernelILj23E21rocsparse_complex_numIdElldS2_S2_EEvT2_20rocsparse_direction_NS_24const_host_device_scalarIT0_EES3_PKS3_PKT1_SC_S9_PKT3_PKT4_S7_PT5_21rocsparse_index_base_b,"axG",@progbits,_ZN9rocsparseL20bsrxmvn_17_32_kernelILj23E21rocsparse_complex_numIdElldS2_S2_EEvT2_20rocsparse_direction_NS_24const_host_device_scalarIT0_EES3_PKS3_PKT1_SC_S9_PKT3_PKT4_S7_PT5_21rocsparse_index_base_b,comdat
	.globl	_ZN9rocsparseL20bsrxmvn_17_32_kernelILj23E21rocsparse_complex_numIdElldS2_S2_EEvT2_20rocsparse_direction_NS_24const_host_device_scalarIT0_EES3_PKS3_PKT1_SC_S9_PKT3_PKT4_S7_PT5_21rocsparse_index_base_b ; -- Begin function _ZN9rocsparseL20bsrxmvn_17_32_kernelILj23E21rocsparse_complex_numIdElldS2_S2_EEvT2_20rocsparse_direction_NS_24const_host_device_scalarIT0_EES3_PKS3_PKT1_SC_S9_PKT3_PKT4_S7_PT5_21rocsparse_index_base_b
	.p2align	8
	.type	_ZN9rocsparseL20bsrxmvn_17_32_kernelILj23E21rocsparse_complex_numIdElldS2_S2_EEvT2_20rocsparse_direction_NS_24const_host_device_scalarIT0_EES3_PKS3_PKT1_SC_S9_PKT3_PKT4_S7_PT5_21rocsparse_index_base_b,@function
_ZN9rocsparseL20bsrxmvn_17_32_kernelILj23E21rocsparse_complex_numIdElldS2_S2_EEvT2_20rocsparse_direction_NS_24const_host_device_scalarIT0_EES3_PKS3_PKT1_SC_S9_PKT3_PKT4_S7_PT5_21rocsparse_index_base_b: ; @_ZN9rocsparseL20bsrxmvn_17_32_kernelILj23E21rocsparse_complex_numIdElldS2_S2_EEvT2_20rocsparse_direction_NS_24const_host_device_scalarIT0_EES3_PKS3_PKT1_SC_S9_PKT3_PKT4_S7_PT5_21rocsparse_index_base_b
; %bb.0:
	s_mov_b32 s12, s15
	s_clause 0x1
	s_load_b64 s[14:15], s[2:3], 0x70
	s_load_b128 s[4:7], s[2:3], 0x10
	s_load_b64 s[16:17], s[0:1], 0x4
	s_mov_b64 s[0:1], src_shared_base
	v_and_b32_e32 v16, 0x3ff, v0
	s_load_b128 s[8:11], s[2:3], 0x58
	v_bfe_u32 v2, v0, 10, 10
	v_bfe_u32 v0, v0, 20, 10
	s_waitcnt lgkmcnt(0)
	s_bitcmp1_b32 s15, 0
	v_mov_b32_e32 v11, s7
	s_cselect_b32 s0, -1, 0
	v_mov_b32_e32 v10, s6
	s_and_b32 vcc_lo, s0, exec_lo
	s_cselect_b32 s13, s1, s5
	s_lshr_b32 s15, s16, 16
	s_xor_b32 s6, s0, -1
	s_mul_i32 s15, s15, s17
	v_mov_b32_e32 v5, s13
	v_mul_lo_u32 v1, s15, v16
	s_delay_alu instid0(VALU_DEP_1) | instskip(SKIP_1) | instid1(VALU_DEP_2)
	v_mad_u32_u24 v1, v2, s17, v1
	v_dual_mov_b32 v2, s8 :: v_dual_mov_b32 v3, s9
	v_add_lshl_u32 v6, v1, v0, 3
	v_dual_mov_b32 v0, s4 :: v_dual_mov_b32 v1, s5
	ds_store_b64 v6, v[0:1] offset:12696
	ds_store_b64 v6, v[2:3] offset:8464
	v_add_nc_u32_e32 v4, 0x3198, v6
	v_add_nc_u32_e32 v0, 0x2110, v6
	s_delay_alu instid0(VALU_DEP_2)
	v_cndmask_b32_e64 v4, s4, v4, s0
	flat_load_b64 v[8:9], v[4:5]
	s_cbranch_vccnz .LBB470_2
; %bb.1:
	v_dual_mov_b32 v1, s4 :: v_dual_mov_b32 v2, s5
	flat_load_b64 v[10:11], v[1:2] offset:8
.LBB470_2:
	s_and_b32 s4, s0, exec_lo
	s_cselect_b32 s1, s1, s9
	v_cndmask_b32_e64 v0, s8, v0, s0
	v_dual_mov_b32 v1, s1 :: v_dual_mov_b32 v6, s10
	v_mov_b32_e32 v7, s11
	s_and_not1_b32 vcc_lo, exec_lo, s6
	flat_load_b64 v[4:5], v[0:1]
	s_cbranch_vccnz .LBB470_4
; %bb.3:
	v_dual_mov_b32 v0, s8 :: v_dual_mov_b32 v1, s9
	flat_load_b64 v[6:7], v[0:1] offset:8
.LBB470_4:
	s_waitcnt vmcnt(1) lgkmcnt(1)
	v_cmp_eq_f64_e32 vcc_lo, 0, v[8:9]
	v_cmp_eq_f64_e64 s0, 0, v[10:11]
	s_delay_alu instid0(VALU_DEP_1)
	s_and_b32 s4, vcc_lo, s0
	s_mov_b32 s0, -1
	s_and_saveexec_b32 s1, s4
	s_cbranch_execz .LBB470_6
; %bb.5:
	s_waitcnt vmcnt(0) lgkmcnt(0)
	v_cmp_neq_f64_e32 vcc_lo, 1.0, v[4:5]
	v_cmp_neq_f64_e64 s0, 0, v[6:7]
	s_delay_alu instid0(VALU_DEP_1) | instskip(NEXT) | instid1(SALU_CYCLE_1)
	s_or_b32 s0, vcc_lo, s0
	s_or_not1_b32 s0, s0, exec_lo
.LBB470_6:
	s_or_b32 exec_lo, exec_lo, s1
	s_and_saveexec_b32 s1, s0
	s_cbranch_execz .LBB470_43
; %bb.7:
	s_clause 0x1
	s_load_b128 s[4:7], s[2:3], 0x28
	s_load_b64 s[8:9], s[2:3], 0x38
	s_mov_b32 s13, 0
	s_delay_alu instid0(SALU_CYCLE_1)
	s_mov_b32 s15, s13
	s_waitcnt lgkmcnt(0)
	s_cmp_eq_u64 s[4:5], 0
	s_cbranch_scc1 .LBB470_9
; %bb.8:
	s_lshl_b64 s[0:1], s[12:13], 3
	s_delay_alu instid0(SALU_CYCLE_1)
	s_add_u32 s0, s4, s0
	s_addc_u32 s1, s5, s1
	s_load_b64 s[0:1], s[0:1], 0x0
	s_waitcnt lgkmcnt(0)
	s_sub_u32 s12, s0, s14
	s_subb_u32 s13, s1, 0
.LBB470_9:
	s_load_b32 s1, s[2:3], 0x8
	v_mul_u32_u24_e32 v0, 0xb22, v16
	v_mov_b32_e32 v2, 0
	v_mov_b32_e32 v3, 0
	s_delay_alu instid0(VALU_DEP_3) | instskip(NEXT) | instid1(VALU_DEP_1)
	v_lshrrev_b32_e32 v12, 16, v0
	v_mul_lo_u16 v0, v12, 23
	s_delay_alu instid0(VALU_DEP_1) | instskip(NEXT) | instid1(VALU_DEP_4)
	v_sub_nc_u16 v18, v16, v0
	v_dual_mov_b32 v0, v2 :: v_dual_mov_b32 v1, v3
	s_waitcnt lgkmcnt(0)
	s_cmp_eq_u32 s1, 1
	s_cselect_b32 s0, -1, 0
	s_cmp_lg_u32 s1, 1
	s_cselect_b32 s18, -1, 0
	s_lshl_b64 s[4:5], s[12:13], 3
	s_delay_alu instid0(SALU_CYCLE_1)
	s_add_u32 s6, s6, s4
	s_addc_u32 s7, s7, s5
	s_add_u32 s1, s6, 8
	s_addc_u32 s10, s7, 0
	s_add_u32 s4, s8, s4
	s_addc_u32 s5, s9, s5
	s_cmp_eq_u64 s[8:9], 0
	s_load_b64 s[8:9], s[2:3], 0x68
	s_cselect_b32 s5, s10, s5
	s_cselect_b32 s4, s1, s4
	s_load_b64 s[10:11], s[6:7], 0x0
	s_load_b64 s[16:17], s[4:5], 0x0
	s_waitcnt lgkmcnt(0)
	v_cmp_ge_i64_e64 s1, s[10:11], s[16:17]
	s_delay_alu instid0(VALU_DEP_1)
	s_and_b32 vcc_lo, exec_lo, s1
	s_cbranch_vccnz .LBB470_14
; %bb.10:
	s_clause 0x1
	s_load_b64 s[20:21], s[2:3], 0x50
	s_load_b128 s[4:7], s[2:3], 0x40
	v_and_b32_e32 v0, 0xffff, v18
	v_dual_mov_b32 v2, 0 :: v_dual_and_b32 v1, 0xffff, v12
	v_mov_b32_e32 v3, 0
	s_sub_u32 s2, s16, s14
	s_subb_u32 s3, s17, 0
	s_delay_alu instid0(VALU_DEP_2)
	v_cndmask_b32_e64 v0, v0, v1, s0
	s_sub_u32 s0, s10, s14
	s_subb_u32 s1, s11, 0
	s_mul_hi_u32 s16, s0, 0x1088
	s_mul_i32 s17, s1, 0x1088
	v_lshlrev_b32_e32 v0, 4, v0
	v_lshlrev_b32_e32 v14, 3, v16
	s_mul_i32 s19, s0, 0x1088
	s_add_i32 s16, s16, s17
	s_waitcnt lgkmcnt(0)
	v_add_co_u32 v12, s17, s20, v0
	s_delay_alu instid0(VALU_DEP_1)
	v_add_co_ci_u32_e64 v13, null, s21, 0, s17
	s_add_u32 s17, s6, s19
	v_dual_mov_b32 v0, v2 :: v_dual_mov_b32 v1, v3
	s_addc_u32 s16, s7, s16
	s_lshl_b64 s[6:7], s[10:11], 3
	s_lshl_b64 s[10:11], s[14:15], 3
	v_add_co_u32 v14, s15, s17, v14
	s_delay_alu instid0(VALU_DEP_1)
	v_add_co_ci_u32_e64 v15, null, s16, 0, s15
	s_sub_u32 s6, s6, s10
	s_subb_u32 s7, s7, s11
	s_add_u32 s4, s4, s6
	s_addc_u32 s5, s5, s7
	s_set_inst_prefetch_distance 0x1
	s_branch .LBB470_12
	.p2align	6
.LBB470_11:                             ;   in Loop: Header=BB470_12 Depth=1
	s_add_u32 s0, s0, 1
	s_addc_u32 s1, s1, 0
	s_add_u32 s4, s4, 8
	v_cmp_lt_i64_e64 s6, s[0:1], s[2:3]
	s_addc_u32 s5, s5, 0
	s_delay_alu instid0(VALU_DEP_1)
	s_and_b32 vcc_lo, exec_lo, s6
	s_cbranch_vccz .LBB470_14
.LBB470_12:                             ; =>This Inner Loop Header: Depth=1
	v_cmp_ge_i64_e64 s6, s[0:1], s[2:3]
	s_delay_alu instid0(VALU_DEP_1)
	s_and_b32 vcc_lo, exec_lo, s6
	s_cbranch_vccnz .LBB470_11
; %bb.13:                               ;   in Loop: Header=BB470_12 Depth=1
	s_load_b64 s[6:7], s[4:5], 0x0
	s_waitcnt lgkmcnt(0)
	s_sub_u32 s6, s6, s14
	s_delay_alu instid0(SALU_CYCLE_1) | instskip(SKIP_1) | instid1(VALU_DEP_1)
	v_mad_u64_u32 v[19:20], null, 0x170, s6, v[12:13]
	s_subb_u32 s6, s7, 0
	v_mov_b32_e32 v17, v20
	s_delay_alu instid0(VALU_DEP_1)
	v_mad_u64_u32 v[20:21], null, 0x170, s6, v[17:18]
	global_load_b64 v[23:24], v[14:15], off
	global_load_b128 v[19:22], v[19:20], off
	v_add_co_u32 v14, vcc_lo, 0x1088, v14
	v_add_co_ci_u32_e32 v15, vcc_lo, 0, v15, vcc_lo
	s_waitcnt vmcnt(0)
	v_fma_f64 v[0:1], v[23:24], v[19:20], v[0:1]
	v_fma_f64 v[2:3], v[19:20], 0, v[2:3]
	s_delay_alu instid0(VALU_DEP_2) | instskip(NEXT) | instid1(VALU_DEP_2)
	v_fma_f64 v[0:1], 0x80000000, v[21:22], v[0:1]
	v_fma_f64 v[2:3], v[23:24], v[21:22], v[2:3]
	s_branch .LBB470_11
.LBB470_14:
	s_set_inst_prefetch_distance 0x2
	v_lshlrev_b32_e32 v17, 4, v16
	s_and_b32 vcc_lo, exec_lo, s18
	ds_store_b128 v17, v[0:3]
	s_waitcnt vmcnt(0) lgkmcnt(0)
	s_barrier
	buffer_gl0_inv
	s_cbranch_vccz .LBB470_26
; %bb.15:
	s_mov_b32 s0, exec_lo
	v_cmpx_gt_u16_e32 7, v18
	s_cbranch_execz .LBB470_17
; %bb.16:
	ds_load_b128 v[12:15], v17 offset:256
	ds_load_b128 v[19:22], v17
	s_waitcnt lgkmcnt(0)
	v_add_f64 v[12:13], v[12:13], v[19:20]
	v_add_f64 v[14:15], v[14:15], v[21:22]
	ds_store_b128 v17, v[12:15]
.LBB470_17:
	s_or_b32 exec_lo, exec_lo, s0
	s_delay_alu instid0(SALU_CYCLE_1)
	s_mov_b32 s0, exec_lo
	s_waitcnt lgkmcnt(0)
	s_barrier
	buffer_gl0_inv
	v_cmpx_gt_u16_e32 8, v18
	s_cbranch_execz .LBB470_19
; %bb.18:
	ds_load_b128 v[12:15], v17 offset:128
	ds_load_b128 v[19:22], v17
	s_waitcnt lgkmcnt(0)
	v_add_f64 v[12:13], v[12:13], v[19:20]
	v_add_f64 v[14:15], v[14:15], v[21:22]
	ds_store_b128 v17, v[12:15]
.LBB470_19:
	s_or_b32 exec_lo, exec_lo, s0
	s_delay_alu instid0(SALU_CYCLE_1)
	s_mov_b32 s0, exec_lo
	s_waitcnt lgkmcnt(0)
	s_barrier
	buffer_gl0_inv
	;; [unrolled: 16-line block ×3, first 2 shown]
	v_cmpx_gt_u16_e32 2, v18
	s_cbranch_execz .LBB470_23
; %bb.22:
	ds_load_b128 v[12:15], v17
	ds_load_b128 v[18:21], v17 offset:32
	s_waitcnt lgkmcnt(0)
	v_add_f64 v[12:13], v[18:19], v[12:13]
	v_add_f64 v[14:15], v[20:21], v[14:15]
	ds_store_b128 v17, v[12:15]
.LBB470_23:
	s_or_b32 exec_lo, exec_lo, s0
	v_dual_mov_b32 v15, v3 :: v_dual_mov_b32 v14, v2
	v_dual_mov_b32 v13, v1 :: v_dual_mov_b32 v12, v0
	s_mov_b32 s0, exec_lo
	s_waitcnt lgkmcnt(0)
	s_barrier
	buffer_gl0_inv
	v_cmpx_gt_u32_e32 23, v16
	s_cbranch_execz .LBB470_25
; %bb.24:
	v_mul_u32_u24_e32 v12, 23, v16
	s_delay_alu instid0(VALU_DEP_1)
	v_lshlrev_b32_e32 v18, 4, v12
	ds_load_b128 v[12:15], v18
	ds_load_b128 v[18:21], v18 offset:16
	s_waitcnt lgkmcnt(0)
	v_add_f64 v[12:13], v[18:19], v[12:13]
	v_add_f64 v[14:15], v[20:21], v[14:15]
.LBB470_25:
	s_or_b32 exec_lo, exec_lo, s0
	s_branch .LBB470_38
.LBB470_26:
                                        ; implicit-def: $vgpr14_vgpr15
                                        ; implicit-def: $vgpr12_vgpr13
	s_cbranch_execz .LBB470_38
; %bb.27:
	s_mov_b32 s0, exec_lo
	v_cmpx_gt_u32_e32 0xa1, v16
	s_cbranch_execz .LBB470_29
; %bb.28:
	ds_load_b128 v[12:15], v17 offset:5888
	ds_load_b128 v[18:21], v17
	s_waitcnt lgkmcnt(0)
	v_add_f64 v[12:13], v[12:13], v[18:19]
	v_add_f64 v[14:15], v[14:15], v[20:21]
	ds_store_b128 v17, v[12:15]
.LBB470_29:
	s_or_b32 exec_lo, exec_lo, s0
	s_delay_alu instid0(SALU_CYCLE_1)
	s_mov_b32 s0, exec_lo
	s_waitcnt lgkmcnt(0)
	s_barrier
	buffer_gl0_inv
	v_cmpx_gt_u32_e32 0xb8, v16
	s_cbranch_execz .LBB470_31
; %bb.30:
	ds_load_b128 v[12:15], v17 offset:2944
	ds_load_b128 v[18:21], v17
	s_waitcnt lgkmcnt(0)
	v_add_f64 v[12:13], v[12:13], v[18:19]
	v_add_f64 v[14:15], v[14:15], v[20:21]
	ds_store_b128 v17, v[12:15]
.LBB470_31:
	s_or_b32 exec_lo, exec_lo, s0
	s_delay_alu instid0(SALU_CYCLE_1)
	s_mov_b32 s0, exec_lo
	s_waitcnt lgkmcnt(0)
	s_barrier
	buffer_gl0_inv
	;; [unrolled: 16-line block ×3, first 2 shown]
	v_cmpx_gt_u32_e32 46, v16
	s_cbranch_execz .LBB470_35
; %bb.34:
	ds_load_b128 v[12:15], v17 offset:736
	ds_load_b128 v[18:21], v17
	s_waitcnt lgkmcnt(0)
	v_add_f64 v[12:13], v[12:13], v[18:19]
	v_add_f64 v[14:15], v[14:15], v[20:21]
	ds_store_b128 v17, v[12:15]
.LBB470_35:
	s_or_b32 exec_lo, exec_lo, s0
	s_delay_alu instid0(SALU_CYCLE_1)
	s_mov_b32 s0, exec_lo
	s_waitcnt lgkmcnt(0)
	buffer_gl0_inv
	v_cmpx_gt_u32_e32 23, v16
	s_cbranch_execz .LBB470_37
; %bb.36:
	ds_load_b128 v[0:3], v17 offset:368
	ds_load_b128 v[12:15], v17
	s_waitcnt lgkmcnt(0)
	v_add_f64 v[0:1], v[0:1], v[12:13]
	v_add_f64 v[2:3], v[2:3], v[14:15]
.LBB470_37:
	s_or_b32 exec_lo, exec_lo, s0
	s_delay_alu instid0(VALU_DEP_1) | instskip(NEXT) | instid1(VALU_DEP_3)
	v_dual_mov_b32 v15, v3 :: v_dual_mov_b32 v14, v2
	v_dual_mov_b32 v13, v1 :: v_dual_mov_b32 v12, v0
.LBB470_38:
	v_cmp_gt_u32_e32 vcc_lo, 23, v16
	s_and_b32 exec_lo, exec_lo, vcc_lo
	s_cbranch_execz .LBB470_43
; %bb.39:
	s_delay_alu instid0(VALU_DEP_2)
	v_mul_f64 v[0:1], v[14:15], -v[10:11]
	v_mul_f64 v[2:3], v[8:9], v[14:15]
	v_cmp_eq_f64_e32 vcc_lo, 0, v[4:5]
	v_cmp_eq_f64_e64 s0, 0, v[6:7]
	s_mul_hi_u32 s1, s12, 0x170
	s_mul_i32 s2, s12, 0x170
	s_delay_alu instid0(VALU_DEP_4) | instskip(NEXT) | instid1(VALU_DEP_4)
	v_fma_f64 v[0:1], v[8:9], v[12:13], v[0:1]
	v_fma_f64 v[2:3], v[10:11], v[12:13], v[2:3]
	s_delay_alu instid0(VALU_DEP_3) | instskip(SKIP_2) | instid1(SALU_CYCLE_1)
	s_and_b32 s3, vcc_lo, s0
	s_mul_i32 s0, s13, 0x170
	s_and_saveexec_b32 s4, s3
	s_xor_b32 s3, exec_lo, s4
	s_cbranch_execz .LBB470_41
; %bb.40:
	s_add_i32 s5, s1, s0
	s_add_u32 s4, s8, s2
	s_addc_u32 s5, s9, s5
                                        ; implicit-def: $vgpr4_vgpr5
                                        ; implicit-def: $vgpr6_vgpr7
	global_store_b128 v17, v[0:3], s[4:5]
                                        ; implicit-def: $vgpr17
                                        ; implicit-def: $vgpr0_vgpr1
.LBB470_41:
	s_and_not1_saveexec_b32 s3, s3
	s_cbranch_execz .LBB470_43
; %bb.42:
	s_add_i32 s1, s1, s0
	s_add_u32 s0, s8, s2
	s_addc_u32 s1, s9, s1
	global_load_b128 v[8:11], v17, s[0:1]
	s_waitcnt vmcnt(0)
	v_fma_f64 v[0:1], v[4:5], v[8:9], v[0:1]
	v_fma_f64 v[2:3], v[6:7], v[8:9], v[2:3]
	s_delay_alu instid0(VALU_DEP_2) | instskip(NEXT) | instid1(VALU_DEP_2)
	v_fma_f64 v[0:1], -v[6:7], v[10:11], v[0:1]
	v_fma_f64 v[2:3], v[4:5], v[10:11], v[2:3]
	global_store_b128 v17, v[0:3], s[0:1]
.LBB470_43:
	s_nop 0
	s_sendmsg sendmsg(MSG_DEALLOC_VGPRS)
	s_endpgm
	.section	.rodata,"a",@progbits
	.p2align	6, 0x0
	.amdhsa_kernel _ZN9rocsparseL20bsrxmvn_17_32_kernelILj23E21rocsparse_complex_numIdElldS2_S2_EEvT2_20rocsparse_direction_NS_24const_host_device_scalarIT0_EES3_PKS3_PKT1_SC_S9_PKT3_PKT4_S7_PT5_21rocsparse_index_base_b
		.amdhsa_group_segment_fixed_size 16928
		.amdhsa_private_segment_fixed_size 0
		.amdhsa_kernarg_size 120
		.amdhsa_user_sgpr_count 15
		.amdhsa_user_sgpr_dispatch_ptr 1
		.amdhsa_user_sgpr_queue_ptr 0
		.amdhsa_user_sgpr_kernarg_segment_ptr 1
		.amdhsa_user_sgpr_dispatch_id 0
		.amdhsa_user_sgpr_private_segment_size 0
		.amdhsa_wavefront_size32 1
		.amdhsa_uses_dynamic_stack 0
		.amdhsa_enable_private_segment 0
		.amdhsa_system_sgpr_workgroup_id_x 1
		.amdhsa_system_sgpr_workgroup_id_y 0
		.amdhsa_system_sgpr_workgroup_id_z 0
		.amdhsa_system_sgpr_workgroup_info 0
		.amdhsa_system_vgpr_workitem_id 2
		.amdhsa_next_free_vgpr 25
		.amdhsa_next_free_sgpr 22
		.amdhsa_reserve_vcc 1
		.amdhsa_float_round_mode_32 0
		.amdhsa_float_round_mode_16_64 0
		.amdhsa_float_denorm_mode_32 3
		.amdhsa_float_denorm_mode_16_64 3
		.amdhsa_dx10_clamp 1
		.amdhsa_ieee_mode 1
		.amdhsa_fp16_overflow 0
		.amdhsa_workgroup_processor_mode 1
		.amdhsa_memory_ordered 1
		.amdhsa_forward_progress 0
		.amdhsa_shared_vgpr_count 0
		.amdhsa_exception_fp_ieee_invalid_op 0
		.amdhsa_exception_fp_denorm_src 0
		.amdhsa_exception_fp_ieee_div_zero 0
		.amdhsa_exception_fp_ieee_overflow 0
		.amdhsa_exception_fp_ieee_underflow 0
		.amdhsa_exception_fp_ieee_inexact 0
		.amdhsa_exception_int_div_zero 0
	.end_amdhsa_kernel
	.section	.text._ZN9rocsparseL20bsrxmvn_17_32_kernelILj23E21rocsparse_complex_numIdElldS2_S2_EEvT2_20rocsparse_direction_NS_24const_host_device_scalarIT0_EES3_PKS3_PKT1_SC_S9_PKT3_PKT4_S7_PT5_21rocsparse_index_base_b,"axG",@progbits,_ZN9rocsparseL20bsrxmvn_17_32_kernelILj23E21rocsparse_complex_numIdElldS2_S2_EEvT2_20rocsparse_direction_NS_24const_host_device_scalarIT0_EES3_PKS3_PKT1_SC_S9_PKT3_PKT4_S7_PT5_21rocsparse_index_base_b,comdat
.Lfunc_end470:
	.size	_ZN9rocsparseL20bsrxmvn_17_32_kernelILj23E21rocsparse_complex_numIdElldS2_S2_EEvT2_20rocsparse_direction_NS_24const_host_device_scalarIT0_EES3_PKS3_PKT1_SC_S9_PKT3_PKT4_S7_PT5_21rocsparse_index_base_b, .Lfunc_end470-_ZN9rocsparseL20bsrxmvn_17_32_kernelILj23E21rocsparse_complex_numIdElldS2_S2_EEvT2_20rocsparse_direction_NS_24const_host_device_scalarIT0_EES3_PKS3_PKT1_SC_S9_PKT3_PKT4_S7_PT5_21rocsparse_index_base_b
                                        ; -- End function
	.section	.AMDGPU.csdata,"",@progbits
; Kernel info:
; codeLenInByte = 2068
; NumSgprs: 24
; NumVgprs: 25
; ScratchSize: 0
; MemoryBound: 1
; FloatMode: 240
; IeeeMode: 1
; LDSByteSize: 16928 bytes/workgroup (compile time only)
; SGPRBlocks: 2
; VGPRBlocks: 3
; NumSGPRsForWavesPerEU: 24
; NumVGPRsForWavesPerEU: 25
; Occupancy: 13
; WaveLimiterHint : 1
; COMPUTE_PGM_RSRC2:SCRATCH_EN: 0
; COMPUTE_PGM_RSRC2:USER_SGPR: 15
; COMPUTE_PGM_RSRC2:TRAP_HANDLER: 0
; COMPUTE_PGM_RSRC2:TGID_X_EN: 1
; COMPUTE_PGM_RSRC2:TGID_Y_EN: 0
; COMPUTE_PGM_RSRC2:TGID_Z_EN: 0
; COMPUTE_PGM_RSRC2:TIDIG_COMP_CNT: 2
	.section	.text._ZN9rocsparseL20bsrxmvn_17_32_kernelILj24E21rocsparse_complex_numIdElldS2_S2_EEvT2_20rocsparse_direction_NS_24const_host_device_scalarIT0_EES3_PKS3_PKT1_SC_S9_PKT3_PKT4_S7_PT5_21rocsparse_index_base_b,"axG",@progbits,_ZN9rocsparseL20bsrxmvn_17_32_kernelILj24E21rocsparse_complex_numIdElldS2_S2_EEvT2_20rocsparse_direction_NS_24const_host_device_scalarIT0_EES3_PKS3_PKT1_SC_S9_PKT3_PKT4_S7_PT5_21rocsparse_index_base_b,comdat
	.globl	_ZN9rocsparseL20bsrxmvn_17_32_kernelILj24E21rocsparse_complex_numIdElldS2_S2_EEvT2_20rocsparse_direction_NS_24const_host_device_scalarIT0_EES3_PKS3_PKT1_SC_S9_PKT3_PKT4_S7_PT5_21rocsparse_index_base_b ; -- Begin function _ZN9rocsparseL20bsrxmvn_17_32_kernelILj24E21rocsparse_complex_numIdElldS2_S2_EEvT2_20rocsparse_direction_NS_24const_host_device_scalarIT0_EES3_PKS3_PKT1_SC_S9_PKT3_PKT4_S7_PT5_21rocsparse_index_base_b
	.p2align	8
	.type	_ZN9rocsparseL20bsrxmvn_17_32_kernelILj24E21rocsparse_complex_numIdElldS2_S2_EEvT2_20rocsparse_direction_NS_24const_host_device_scalarIT0_EES3_PKS3_PKT1_SC_S9_PKT3_PKT4_S7_PT5_21rocsparse_index_base_b,@function
_ZN9rocsparseL20bsrxmvn_17_32_kernelILj24E21rocsparse_complex_numIdElldS2_S2_EEvT2_20rocsparse_direction_NS_24const_host_device_scalarIT0_EES3_PKS3_PKT1_SC_S9_PKT3_PKT4_S7_PT5_21rocsparse_index_base_b: ; @_ZN9rocsparseL20bsrxmvn_17_32_kernelILj24E21rocsparse_complex_numIdElldS2_S2_EEvT2_20rocsparse_direction_NS_24const_host_device_scalarIT0_EES3_PKS3_PKT1_SC_S9_PKT3_PKT4_S7_PT5_21rocsparse_index_base_b
; %bb.0:
	s_mov_b32 s12, s15
	s_clause 0x1
	s_load_b64 s[14:15], s[2:3], 0x70
	s_load_b128 s[4:7], s[2:3], 0x10
	s_load_b64 s[16:17], s[0:1], 0x4
	s_mov_b64 s[0:1], src_shared_base
	v_and_b32_e32 v16, 0x3ff, v0
	s_load_b128 s[8:11], s[2:3], 0x58
	v_bfe_u32 v2, v0, 10, 10
	v_bfe_u32 v0, v0, 20, 10
	s_waitcnt lgkmcnt(0)
	s_bitcmp1_b32 s15, 0
	v_mov_b32_e32 v11, s7
	s_cselect_b32 s0, -1, 0
	v_mov_b32_e32 v10, s6
	s_and_b32 vcc_lo, s0, exec_lo
	s_cselect_b32 s13, s1, s5
	s_lshr_b32 s15, s16, 16
	s_xor_b32 s6, s0, -1
	s_mul_i32 s15, s15, s17
	v_mov_b32_e32 v5, s13
	v_mul_lo_u32 v1, s15, v16
	s_delay_alu instid0(VALU_DEP_1) | instskip(SKIP_1) | instid1(VALU_DEP_2)
	v_mad_u32_u24 v1, v2, s17, v1
	v_dual_mov_b32 v2, s8 :: v_dual_mov_b32 v3, s9
	v_add_lshl_u32 v6, v1, v0, 3
	v_dual_mov_b32 v0, s4 :: v_dual_mov_b32 v1, s5
	s_delay_alu instid0(VALU_DEP_2)
	v_add_nc_u32_e32 v4, 0x3600, v6
	ds_store_2addr_stride64_b64 v6, v[2:3], v[0:1] offset0:18 offset1:27
	v_add_nc_u32_e32 v0, 0x2400, v6
	v_cndmask_b32_e64 v4, s4, v4, s0
	flat_load_b64 v[8:9], v[4:5]
	s_cbranch_vccnz .LBB471_2
; %bb.1:
	v_dual_mov_b32 v1, s4 :: v_dual_mov_b32 v2, s5
	flat_load_b64 v[10:11], v[1:2] offset:8
.LBB471_2:
	s_and_b32 s4, s0, exec_lo
	s_cselect_b32 s1, s1, s9
	v_cndmask_b32_e64 v0, s8, v0, s0
	v_dual_mov_b32 v1, s1 :: v_dual_mov_b32 v6, s10
	v_mov_b32_e32 v7, s11
	s_and_not1_b32 vcc_lo, exec_lo, s6
	flat_load_b64 v[4:5], v[0:1]
	s_cbranch_vccnz .LBB471_4
; %bb.3:
	v_dual_mov_b32 v0, s8 :: v_dual_mov_b32 v1, s9
	flat_load_b64 v[6:7], v[0:1] offset:8
.LBB471_4:
	s_waitcnt vmcnt(1) lgkmcnt(1)
	v_cmp_eq_f64_e32 vcc_lo, 0, v[8:9]
	v_cmp_eq_f64_e64 s0, 0, v[10:11]
	s_delay_alu instid0(VALU_DEP_1)
	s_and_b32 s4, vcc_lo, s0
	s_mov_b32 s0, -1
	s_and_saveexec_b32 s1, s4
	s_cbranch_execz .LBB471_6
; %bb.5:
	s_waitcnt vmcnt(0) lgkmcnt(0)
	v_cmp_neq_f64_e32 vcc_lo, 1.0, v[4:5]
	v_cmp_neq_f64_e64 s0, 0, v[6:7]
	s_delay_alu instid0(VALU_DEP_1) | instskip(NEXT) | instid1(SALU_CYCLE_1)
	s_or_b32 s0, vcc_lo, s0
	s_or_not1_b32 s0, s0, exec_lo
.LBB471_6:
	s_or_b32 exec_lo, exec_lo, s1
	s_and_saveexec_b32 s1, s0
	s_cbranch_execz .LBB471_43
; %bb.7:
	s_clause 0x1
	s_load_b128 s[4:7], s[2:3], 0x28
	s_load_b64 s[8:9], s[2:3], 0x38
	s_mov_b32 s13, 0
	s_delay_alu instid0(SALU_CYCLE_1)
	s_mov_b32 s15, s13
	s_waitcnt lgkmcnt(0)
	s_cmp_eq_u64 s[4:5], 0
	s_cbranch_scc1 .LBB471_9
; %bb.8:
	s_lshl_b64 s[0:1], s[12:13], 3
	s_delay_alu instid0(SALU_CYCLE_1)
	s_add_u32 s0, s4, s0
	s_addc_u32 s1, s5, s1
	s_load_b64 s[0:1], s[0:1], 0x0
	s_waitcnt lgkmcnt(0)
	s_sub_u32 s12, s0, s14
	s_subb_u32 s13, s1, 0
.LBB471_9:
	s_load_b32 s1, s[2:3], 0x8
	v_mul_u32_u24_e32 v0, 0xaab, v16
	v_mov_b32_e32 v2, 0
	v_mov_b32_e32 v3, 0
	s_delay_alu instid0(VALU_DEP_3) | instskip(NEXT) | instid1(VALU_DEP_1)
	v_lshrrev_b32_e32 v12, 16, v0
	v_mul_lo_u16 v0, v12, 24
	s_delay_alu instid0(VALU_DEP_1) | instskip(NEXT) | instid1(VALU_DEP_4)
	v_sub_nc_u16 v18, v16, v0
	v_dual_mov_b32 v0, v2 :: v_dual_mov_b32 v1, v3
	s_waitcnt lgkmcnt(0)
	s_cmp_eq_u32 s1, 1
	s_cselect_b32 s0, -1, 0
	s_cmp_lg_u32 s1, 1
	s_cselect_b32 s18, -1, 0
	s_lshl_b64 s[4:5], s[12:13], 3
	s_delay_alu instid0(SALU_CYCLE_1)
	s_add_u32 s6, s6, s4
	s_addc_u32 s7, s7, s5
	s_add_u32 s1, s6, 8
	s_addc_u32 s10, s7, 0
	;; [unrolled: 2-line block ×3, first 2 shown]
	s_cmp_eq_u64 s[8:9], 0
	s_load_b64 s[8:9], s[2:3], 0x68
	s_cselect_b32 s5, s10, s5
	s_cselect_b32 s4, s1, s4
	s_load_b64 s[10:11], s[6:7], 0x0
	s_load_b64 s[16:17], s[4:5], 0x0
	s_waitcnt lgkmcnt(0)
	v_cmp_ge_i64_e64 s1, s[10:11], s[16:17]
	s_delay_alu instid0(VALU_DEP_1)
	s_and_b32 vcc_lo, exec_lo, s1
	s_cbranch_vccnz .LBB471_14
; %bb.10:
	s_clause 0x1
	s_load_b64 s[20:21], s[2:3], 0x50
	s_load_b128 s[4:7], s[2:3], 0x40
	v_and_b32_e32 v0, 0xffff, v18
	v_dual_mov_b32 v2, 0 :: v_dual_and_b32 v1, 0xffff, v12
	v_mov_b32_e32 v3, 0
	s_sub_u32 s2, s16, s14
	s_subb_u32 s3, s17, 0
	s_delay_alu instid0(VALU_DEP_2)
	v_cndmask_b32_e64 v0, v0, v1, s0
	s_sub_u32 s0, s10, s14
	s_subb_u32 s1, s11, 0
	s_mul_hi_u32 s16, s0, 0x1200
	s_mul_i32 s17, s1, 0x1200
	v_lshlrev_b32_e32 v0, 4, v0
	v_lshlrev_b32_e32 v14, 3, v16
	s_mul_i32 s19, s0, 0x1200
	s_add_i32 s16, s16, s17
	s_waitcnt lgkmcnt(0)
	v_add_co_u32 v12, s17, s20, v0
	s_delay_alu instid0(VALU_DEP_1)
	v_add_co_ci_u32_e64 v13, null, s21, 0, s17
	s_add_u32 s17, s6, s19
	v_dual_mov_b32 v0, v2 :: v_dual_mov_b32 v1, v3
	s_addc_u32 s16, s7, s16
	s_lshl_b64 s[6:7], s[10:11], 3
	s_lshl_b64 s[10:11], s[14:15], 3
	v_add_co_u32 v14, s15, s17, v14
	s_delay_alu instid0(VALU_DEP_1)
	v_add_co_ci_u32_e64 v15, null, s16, 0, s15
	s_sub_u32 s6, s6, s10
	s_subb_u32 s7, s7, s11
	s_add_u32 s4, s4, s6
	s_addc_u32 s5, s5, s7
	s_set_inst_prefetch_distance 0x1
	s_branch .LBB471_12
	.p2align	6
.LBB471_11:                             ;   in Loop: Header=BB471_12 Depth=1
	s_add_u32 s0, s0, 1
	s_addc_u32 s1, s1, 0
	s_add_u32 s4, s4, 8
	v_cmp_lt_i64_e64 s6, s[0:1], s[2:3]
	s_addc_u32 s5, s5, 0
	s_delay_alu instid0(VALU_DEP_1)
	s_and_b32 vcc_lo, exec_lo, s6
	s_cbranch_vccz .LBB471_14
.LBB471_12:                             ; =>This Inner Loop Header: Depth=1
	v_cmp_ge_i64_e64 s6, s[0:1], s[2:3]
	s_delay_alu instid0(VALU_DEP_1)
	s_and_b32 vcc_lo, exec_lo, s6
	s_cbranch_vccnz .LBB471_11
; %bb.13:                               ;   in Loop: Header=BB471_12 Depth=1
	s_load_b64 s[6:7], s[4:5], 0x0
	s_waitcnt lgkmcnt(0)
	s_sub_u32 s6, s6, s14
	s_delay_alu instid0(SALU_CYCLE_1) | instskip(SKIP_1) | instid1(VALU_DEP_1)
	v_mad_u64_u32 v[19:20], null, 0x180, s6, v[12:13]
	s_subb_u32 s6, s7, 0
	v_mov_b32_e32 v17, v20
	s_delay_alu instid0(VALU_DEP_1)
	v_mad_u64_u32 v[20:21], null, 0x180, s6, v[17:18]
	global_load_b64 v[23:24], v[14:15], off
	global_load_b128 v[19:22], v[19:20], off
	v_add_co_u32 v14, vcc_lo, 0x1200, v14
	v_add_co_ci_u32_e32 v15, vcc_lo, 0, v15, vcc_lo
	s_waitcnt vmcnt(0)
	v_fma_f64 v[0:1], v[23:24], v[19:20], v[0:1]
	v_fma_f64 v[2:3], v[19:20], 0, v[2:3]
	s_delay_alu instid0(VALU_DEP_2) | instskip(NEXT) | instid1(VALU_DEP_2)
	v_fma_f64 v[0:1], 0x80000000, v[21:22], v[0:1]
	v_fma_f64 v[2:3], v[23:24], v[21:22], v[2:3]
	s_branch .LBB471_11
.LBB471_14:
	s_set_inst_prefetch_distance 0x2
	v_lshlrev_b32_e32 v17, 4, v16
	s_and_b32 vcc_lo, exec_lo, s18
	ds_store_b128 v17, v[0:3]
	s_waitcnt vmcnt(0) lgkmcnt(0)
	s_barrier
	buffer_gl0_inv
	s_cbranch_vccz .LBB471_26
; %bb.15:
	v_cmp_gt_u16_e32 vcc_lo, 8, v18
	s_and_saveexec_b32 s0, vcc_lo
	s_cbranch_execz .LBB471_17
; %bb.16:
	ds_load_b128 v[12:15], v17 offset:256
	ds_load_b128 v[19:22], v17
	s_waitcnt lgkmcnt(0)
	v_add_f64 v[12:13], v[12:13], v[19:20]
	v_add_f64 v[14:15], v[14:15], v[21:22]
	ds_store_b128 v17, v[12:15]
.LBB471_17:
	s_or_b32 exec_lo, exec_lo, s0
	s_waitcnt lgkmcnt(0)
	s_barrier
	buffer_gl0_inv
	s_and_saveexec_b32 s0, vcc_lo
	s_cbranch_execz .LBB471_19
; %bb.18:
	ds_load_b128 v[12:15], v17 offset:128
	ds_load_b128 v[19:22], v17
	s_waitcnt lgkmcnt(0)
	v_add_f64 v[12:13], v[12:13], v[19:20]
	v_add_f64 v[14:15], v[14:15], v[21:22]
	ds_store_b128 v17, v[12:15]
.LBB471_19:
	s_or_b32 exec_lo, exec_lo, s0
	s_delay_alu instid0(SALU_CYCLE_1)
	s_mov_b32 s0, exec_lo
	s_waitcnt lgkmcnt(0)
	s_barrier
	buffer_gl0_inv
	v_cmpx_gt_u16_e32 4, v18
	s_cbranch_execz .LBB471_21
; %bb.20:
	ds_load_b128 v[12:15], v17 offset:64
	ds_load_b128 v[19:22], v17
	s_waitcnt lgkmcnt(0)
	v_add_f64 v[12:13], v[12:13], v[19:20]
	v_add_f64 v[14:15], v[14:15], v[21:22]
	ds_store_b128 v17, v[12:15]
.LBB471_21:
	s_or_b32 exec_lo, exec_lo, s0
	s_delay_alu instid0(SALU_CYCLE_1)
	s_mov_b32 s0, exec_lo
	s_waitcnt lgkmcnt(0)
	s_barrier
	buffer_gl0_inv
	v_cmpx_gt_u16_e32 2, v18
	s_cbranch_execz .LBB471_23
; %bb.22:
	ds_load_b128 v[12:15], v17
	ds_load_b128 v[18:21], v17 offset:32
	s_waitcnt lgkmcnt(0)
	v_add_f64 v[12:13], v[18:19], v[12:13]
	v_add_f64 v[14:15], v[20:21], v[14:15]
	ds_store_b128 v17, v[12:15]
.LBB471_23:
	s_or_b32 exec_lo, exec_lo, s0
	v_dual_mov_b32 v15, v3 :: v_dual_mov_b32 v14, v2
	v_dual_mov_b32 v13, v1 :: v_dual_mov_b32 v12, v0
	s_mov_b32 s0, exec_lo
	s_waitcnt lgkmcnt(0)
	s_barrier
	buffer_gl0_inv
	v_cmpx_gt_u32_e32 24, v16
	s_cbranch_execz .LBB471_25
; %bb.24:
	v_mul_u32_u24_e32 v12, 24, v16
	s_delay_alu instid0(VALU_DEP_1)
	v_lshlrev_b32_e32 v18, 4, v12
	ds_load_b128 v[12:15], v18
	ds_load_b128 v[18:21], v18 offset:16
	s_waitcnt lgkmcnt(0)
	v_add_f64 v[12:13], v[18:19], v[12:13]
	v_add_f64 v[14:15], v[20:21], v[14:15]
.LBB471_25:
	s_or_b32 exec_lo, exec_lo, s0
	s_branch .LBB471_38
.LBB471_26:
                                        ; implicit-def: $vgpr14_vgpr15
                                        ; implicit-def: $vgpr12_vgpr13
	s_cbranch_execz .LBB471_38
; %bb.27:
	v_cmp_gt_u32_e32 vcc_lo, 0xc0, v16
	s_and_saveexec_b32 s0, vcc_lo
	s_cbranch_execz .LBB471_29
; %bb.28:
	ds_load_b128 v[12:15], v17 offset:6144
	ds_load_b128 v[18:21], v17
	s_waitcnt lgkmcnt(0)
	v_add_f64 v[12:13], v[12:13], v[18:19]
	v_add_f64 v[14:15], v[14:15], v[20:21]
	ds_store_b128 v17, v[12:15]
.LBB471_29:
	s_or_b32 exec_lo, exec_lo, s0
	s_waitcnt lgkmcnt(0)
	s_barrier
	buffer_gl0_inv
	s_and_saveexec_b32 s0, vcc_lo
	s_cbranch_execz .LBB471_31
; %bb.30:
	ds_load_b128 v[12:15], v17 offset:3072
	ds_load_b128 v[18:21], v17
	s_waitcnt lgkmcnt(0)
	v_add_f64 v[12:13], v[12:13], v[18:19]
	v_add_f64 v[14:15], v[14:15], v[20:21]
	ds_store_b128 v17, v[12:15]
.LBB471_31:
	s_or_b32 exec_lo, exec_lo, s0
	s_delay_alu instid0(SALU_CYCLE_1)
	s_mov_b32 s0, exec_lo
	s_waitcnt lgkmcnt(0)
	s_barrier
	buffer_gl0_inv
	v_cmpx_gt_u32_e32 0x60, v16
	s_cbranch_execz .LBB471_33
; %bb.32:
	ds_load_b128 v[12:15], v17 offset:1536
	ds_load_b128 v[18:21], v17
	s_waitcnt lgkmcnt(0)
	v_add_f64 v[12:13], v[12:13], v[18:19]
	v_add_f64 v[14:15], v[14:15], v[20:21]
	ds_store_b128 v17, v[12:15]
.LBB471_33:
	s_or_b32 exec_lo, exec_lo, s0
	s_delay_alu instid0(SALU_CYCLE_1)
	s_mov_b32 s0, exec_lo
	s_waitcnt lgkmcnt(0)
	s_barrier
	buffer_gl0_inv
	v_cmpx_gt_u32_e32 48, v16
	s_cbranch_execz .LBB471_35
; %bb.34:
	ds_load_b128 v[12:15], v17 offset:768
	ds_load_b128 v[18:21], v17
	s_waitcnt lgkmcnt(0)
	v_add_f64 v[12:13], v[12:13], v[18:19]
	v_add_f64 v[14:15], v[14:15], v[20:21]
	ds_store_b128 v17, v[12:15]
.LBB471_35:
	s_or_b32 exec_lo, exec_lo, s0
	s_delay_alu instid0(SALU_CYCLE_1)
	s_mov_b32 s0, exec_lo
	s_waitcnt lgkmcnt(0)
	buffer_gl0_inv
	v_cmpx_gt_u32_e32 24, v16
	s_cbranch_execz .LBB471_37
; %bb.36:
	ds_load_b128 v[0:3], v17 offset:384
	ds_load_b128 v[12:15], v17
	s_waitcnt lgkmcnt(0)
	v_add_f64 v[0:1], v[0:1], v[12:13]
	v_add_f64 v[2:3], v[2:3], v[14:15]
.LBB471_37:
	s_or_b32 exec_lo, exec_lo, s0
	s_delay_alu instid0(VALU_DEP_1) | instskip(NEXT) | instid1(VALU_DEP_3)
	v_dual_mov_b32 v15, v3 :: v_dual_mov_b32 v14, v2
	v_dual_mov_b32 v13, v1 :: v_dual_mov_b32 v12, v0
.LBB471_38:
	v_cmp_gt_u32_e32 vcc_lo, 24, v16
	s_and_b32 exec_lo, exec_lo, vcc_lo
	s_cbranch_execz .LBB471_43
; %bb.39:
	s_delay_alu instid0(VALU_DEP_2)
	v_mul_f64 v[0:1], v[14:15], -v[10:11]
	v_mul_f64 v[2:3], v[8:9], v[14:15]
	v_cmp_eq_f64_e32 vcc_lo, 0, v[4:5]
	v_cmp_eq_f64_e64 s0, 0, v[6:7]
	s_mul_hi_u32 s1, s12, 0x180
	s_mul_i32 s2, s12, 0x180
	s_delay_alu instid0(VALU_DEP_4) | instskip(NEXT) | instid1(VALU_DEP_4)
	v_fma_f64 v[0:1], v[8:9], v[12:13], v[0:1]
	v_fma_f64 v[2:3], v[10:11], v[12:13], v[2:3]
	s_delay_alu instid0(VALU_DEP_3) | instskip(SKIP_2) | instid1(SALU_CYCLE_1)
	s_and_b32 s3, vcc_lo, s0
	s_mul_i32 s0, s13, 0x180
	s_and_saveexec_b32 s4, s3
	s_xor_b32 s3, exec_lo, s4
	s_cbranch_execz .LBB471_41
; %bb.40:
	s_add_i32 s5, s1, s0
	s_add_u32 s4, s8, s2
	s_addc_u32 s5, s9, s5
                                        ; implicit-def: $vgpr4_vgpr5
                                        ; implicit-def: $vgpr6_vgpr7
	global_store_b128 v17, v[0:3], s[4:5]
                                        ; implicit-def: $vgpr17
                                        ; implicit-def: $vgpr0_vgpr1
.LBB471_41:
	s_and_not1_saveexec_b32 s3, s3
	s_cbranch_execz .LBB471_43
; %bb.42:
	s_add_i32 s1, s1, s0
	s_add_u32 s0, s8, s2
	s_addc_u32 s1, s9, s1
	global_load_b128 v[8:11], v17, s[0:1]
	s_waitcnt vmcnt(0)
	v_fma_f64 v[0:1], v[4:5], v[8:9], v[0:1]
	v_fma_f64 v[2:3], v[6:7], v[8:9], v[2:3]
	s_delay_alu instid0(VALU_DEP_2) | instskip(NEXT) | instid1(VALU_DEP_2)
	v_fma_f64 v[0:1], -v[6:7], v[10:11], v[0:1]
	v_fma_f64 v[2:3], v[4:5], v[10:11], v[2:3]
	global_store_b128 v17, v[0:3], s[0:1]
.LBB471_43:
	s_nop 0
	s_sendmsg sendmsg(MSG_DEALLOC_VGPRS)
	s_endpgm
	.section	.rodata,"a",@progbits
	.p2align	6, 0x0
	.amdhsa_kernel _ZN9rocsparseL20bsrxmvn_17_32_kernelILj24E21rocsparse_complex_numIdElldS2_S2_EEvT2_20rocsparse_direction_NS_24const_host_device_scalarIT0_EES3_PKS3_PKT1_SC_S9_PKT3_PKT4_S7_PT5_21rocsparse_index_base_b
		.amdhsa_group_segment_fixed_size 18432
		.amdhsa_private_segment_fixed_size 0
		.amdhsa_kernarg_size 120
		.amdhsa_user_sgpr_count 15
		.amdhsa_user_sgpr_dispatch_ptr 1
		.amdhsa_user_sgpr_queue_ptr 0
		.amdhsa_user_sgpr_kernarg_segment_ptr 1
		.amdhsa_user_sgpr_dispatch_id 0
		.amdhsa_user_sgpr_private_segment_size 0
		.amdhsa_wavefront_size32 1
		.amdhsa_uses_dynamic_stack 0
		.amdhsa_enable_private_segment 0
		.amdhsa_system_sgpr_workgroup_id_x 1
		.amdhsa_system_sgpr_workgroup_id_y 0
		.amdhsa_system_sgpr_workgroup_id_z 0
		.amdhsa_system_sgpr_workgroup_info 0
		.amdhsa_system_vgpr_workitem_id 2
		.amdhsa_next_free_vgpr 25
		.amdhsa_next_free_sgpr 22
		.amdhsa_reserve_vcc 1
		.amdhsa_float_round_mode_32 0
		.amdhsa_float_round_mode_16_64 0
		.amdhsa_float_denorm_mode_32 3
		.amdhsa_float_denorm_mode_16_64 3
		.amdhsa_dx10_clamp 1
		.amdhsa_ieee_mode 1
		.amdhsa_fp16_overflow 0
		.amdhsa_workgroup_processor_mode 1
		.amdhsa_memory_ordered 1
		.amdhsa_forward_progress 0
		.amdhsa_shared_vgpr_count 0
		.amdhsa_exception_fp_ieee_invalid_op 0
		.amdhsa_exception_fp_denorm_src 0
		.amdhsa_exception_fp_ieee_div_zero 0
		.amdhsa_exception_fp_ieee_overflow 0
		.amdhsa_exception_fp_ieee_underflow 0
		.amdhsa_exception_fp_ieee_inexact 0
		.amdhsa_exception_int_div_zero 0
	.end_amdhsa_kernel
	.section	.text._ZN9rocsparseL20bsrxmvn_17_32_kernelILj24E21rocsparse_complex_numIdElldS2_S2_EEvT2_20rocsparse_direction_NS_24const_host_device_scalarIT0_EES3_PKS3_PKT1_SC_S9_PKT3_PKT4_S7_PT5_21rocsparse_index_base_b,"axG",@progbits,_ZN9rocsparseL20bsrxmvn_17_32_kernelILj24E21rocsparse_complex_numIdElldS2_S2_EEvT2_20rocsparse_direction_NS_24const_host_device_scalarIT0_EES3_PKS3_PKT1_SC_S9_PKT3_PKT4_S7_PT5_21rocsparse_index_base_b,comdat
.Lfunc_end471:
	.size	_ZN9rocsparseL20bsrxmvn_17_32_kernelILj24E21rocsparse_complex_numIdElldS2_S2_EEvT2_20rocsparse_direction_NS_24const_host_device_scalarIT0_EES3_PKS3_PKT1_SC_S9_PKT3_PKT4_S7_PT5_21rocsparse_index_base_b, .Lfunc_end471-_ZN9rocsparseL20bsrxmvn_17_32_kernelILj24E21rocsparse_complex_numIdElldS2_S2_EEvT2_20rocsparse_direction_NS_24const_host_device_scalarIT0_EES3_PKS3_PKT1_SC_S9_PKT3_PKT4_S7_PT5_21rocsparse_index_base_b
                                        ; -- End function
	.section	.AMDGPU.csdata,"",@progbits
; Kernel info:
; codeLenInByte = 2040
; NumSgprs: 24
; NumVgprs: 25
; ScratchSize: 0
; MemoryBound: 1
; FloatMode: 240
; IeeeMode: 1
; LDSByteSize: 18432 bytes/workgroup (compile time only)
; SGPRBlocks: 2
; VGPRBlocks: 3
; NumSGPRsForWavesPerEU: 24
; NumVGPRsForWavesPerEU: 25
; Occupancy: 14
; WaveLimiterHint : 1
; COMPUTE_PGM_RSRC2:SCRATCH_EN: 0
; COMPUTE_PGM_RSRC2:USER_SGPR: 15
; COMPUTE_PGM_RSRC2:TRAP_HANDLER: 0
; COMPUTE_PGM_RSRC2:TGID_X_EN: 1
; COMPUTE_PGM_RSRC2:TGID_Y_EN: 0
; COMPUTE_PGM_RSRC2:TGID_Z_EN: 0
; COMPUTE_PGM_RSRC2:TIDIG_COMP_CNT: 2
	.section	.text._ZN9rocsparseL20bsrxmvn_17_32_kernelILj25E21rocsparse_complex_numIdElldS2_S2_EEvT2_20rocsparse_direction_NS_24const_host_device_scalarIT0_EES3_PKS3_PKT1_SC_S9_PKT3_PKT4_S7_PT5_21rocsparse_index_base_b,"axG",@progbits,_ZN9rocsparseL20bsrxmvn_17_32_kernelILj25E21rocsparse_complex_numIdElldS2_S2_EEvT2_20rocsparse_direction_NS_24const_host_device_scalarIT0_EES3_PKS3_PKT1_SC_S9_PKT3_PKT4_S7_PT5_21rocsparse_index_base_b,comdat
	.globl	_ZN9rocsparseL20bsrxmvn_17_32_kernelILj25E21rocsparse_complex_numIdElldS2_S2_EEvT2_20rocsparse_direction_NS_24const_host_device_scalarIT0_EES3_PKS3_PKT1_SC_S9_PKT3_PKT4_S7_PT5_21rocsparse_index_base_b ; -- Begin function _ZN9rocsparseL20bsrxmvn_17_32_kernelILj25E21rocsparse_complex_numIdElldS2_S2_EEvT2_20rocsparse_direction_NS_24const_host_device_scalarIT0_EES3_PKS3_PKT1_SC_S9_PKT3_PKT4_S7_PT5_21rocsparse_index_base_b
	.p2align	8
	.type	_ZN9rocsparseL20bsrxmvn_17_32_kernelILj25E21rocsparse_complex_numIdElldS2_S2_EEvT2_20rocsparse_direction_NS_24const_host_device_scalarIT0_EES3_PKS3_PKT1_SC_S9_PKT3_PKT4_S7_PT5_21rocsparse_index_base_b,@function
_ZN9rocsparseL20bsrxmvn_17_32_kernelILj25E21rocsparse_complex_numIdElldS2_S2_EEvT2_20rocsparse_direction_NS_24const_host_device_scalarIT0_EES3_PKS3_PKT1_SC_S9_PKT3_PKT4_S7_PT5_21rocsparse_index_base_b: ; @_ZN9rocsparseL20bsrxmvn_17_32_kernelILj25E21rocsparse_complex_numIdElldS2_S2_EEvT2_20rocsparse_direction_NS_24const_host_device_scalarIT0_EES3_PKS3_PKT1_SC_S9_PKT3_PKT4_S7_PT5_21rocsparse_index_base_b
; %bb.0:
	s_mov_b32 s12, s15
	s_clause 0x1
	s_load_b64 s[14:15], s[2:3], 0x70
	s_load_b128 s[4:7], s[2:3], 0x10
	s_load_b64 s[16:17], s[0:1], 0x4
	s_mov_b64 s[0:1], src_shared_base
	v_and_b32_e32 v16, 0x3ff, v0
	s_load_b128 s[8:11], s[2:3], 0x58
	v_bfe_u32 v2, v0, 10, 10
	v_bfe_u32 v0, v0, 20, 10
	s_waitcnt lgkmcnt(0)
	s_bitcmp1_b32 s15, 0
	v_mov_b32_e32 v11, s7
	s_cselect_b32 s0, -1, 0
	v_mov_b32_e32 v10, s6
	s_and_b32 vcc_lo, s0, exec_lo
	s_cselect_b32 s13, s1, s5
	s_lshr_b32 s15, s16, 16
	s_xor_b32 s6, s0, -1
	s_mul_i32 s15, s15, s17
	v_mov_b32_e32 v5, s13
	v_mul_lo_u32 v1, s15, v16
	s_delay_alu instid0(VALU_DEP_1) | instskip(SKIP_1) | instid1(VALU_DEP_2)
	v_mad_u32_u24 v1, v2, s17, v1
	v_dual_mov_b32 v2, s8 :: v_dual_mov_b32 v3, s9
	v_add_lshl_u32 v6, v1, v0, 3
	v_dual_mov_b32 v0, s4 :: v_dual_mov_b32 v1, s5
	ds_store_b64 v6, v[0:1] offset:15000
	ds_store_b64 v6, v[2:3] offset:10000
	v_add_nc_u32_e32 v4, 0x3a98, v6
	v_add_nc_u32_e32 v0, 0x2710, v6
	s_delay_alu instid0(VALU_DEP_2)
	v_cndmask_b32_e64 v4, s4, v4, s0
	flat_load_b64 v[8:9], v[4:5]
	s_cbranch_vccnz .LBB472_2
; %bb.1:
	v_dual_mov_b32 v1, s4 :: v_dual_mov_b32 v2, s5
	flat_load_b64 v[10:11], v[1:2] offset:8
.LBB472_2:
	s_and_b32 s4, s0, exec_lo
	s_cselect_b32 s1, s1, s9
	v_cndmask_b32_e64 v0, s8, v0, s0
	v_dual_mov_b32 v1, s1 :: v_dual_mov_b32 v6, s10
	v_mov_b32_e32 v7, s11
	s_and_not1_b32 vcc_lo, exec_lo, s6
	flat_load_b64 v[4:5], v[0:1]
	s_cbranch_vccnz .LBB472_4
; %bb.3:
	v_dual_mov_b32 v0, s8 :: v_dual_mov_b32 v1, s9
	flat_load_b64 v[6:7], v[0:1] offset:8
.LBB472_4:
	s_waitcnt vmcnt(1) lgkmcnt(1)
	v_cmp_eq_f64_e32 vcc_lo, 0, v[8:9]
	v_cmp_eq_f64_e64 s0, 0, v[10:11]
	s_delay_alu instid0(VALU_DEP_1)
	s_and_b32 s4, vcc_lo, s0
	s_mov_b32 s0, -1
	s_and_saveexec_b32 s1, s4
	s_cbranch_execz .LBB472_6
; %bb.5:
	s_waitcnt vmcnt(0) lgkmcnt(0)
	v_cmp_neq_f64_e32 vcc_lo, 1.0, v[4:5]
	v_cmp_neq_f64_e64 s0, 0, v[6:7]
	s_delay_alu instid0(VALU_DEP_1) | instskip(NEXT) | instid1(SALU_CYCLE_1)
	s_or_b32 s0, vcc_lo, s0
	s_or_not1_b32 s0, s0, exec_lo
.LBB472_6:
	s_or_b32 exec_lo, exec_lo, s1
	s_and_saveexec_b32 s1, s0
	s_cbranch_execz .LBB472_43
; %bb.7:
	s_clause 0x1
	s_load_b128 s[4:7], s[2:3], 0x28
	s_load_b64 s[8:9], s[2:3], 0x38
	s_mov_b32 s13, 0
	s_delay_alu instid0(SALU_CYCLE_1)
	s_mov_b32 s15, s13
	s_waitcnt lgkmcnt(0)
	s_cmp_eq_u64 s[4:5], 0
	s_cbranch_scc1 .LBB472_9
; %bb.8:
	s_lshl_b64 s[0:1], s[12:13], 3
	s_delay_alu instid0(SALU_CYCLE_1)
	s_add_u32 s0, s4, s0
	s_addc_u32 s1, s5, s1
	s_load_b64 s[0:1], s[0:1], 0x0
	s_waitcnt lgkmcnt(0)
	s_sub_u32 s12, s0, s14
	s_subb_u32 s13, s1, 0
.LBB472_9:
	s_load_b32 s1, s[2:3], 0x8
	v_mul_u32_u24_e32 v0, 0xa3e, v16
	v_mov_b32_e32 v2, 0
	v_mov_b32_e32 v3, 0
	s_delay_alu instid0(VALU_DEP_3) | instskip(NEXT) | instid1(VALU_DEP_1)
	v_lshrrev_b32_e32 v12, 16, v0
	v_mul_lo_u16 v0, v12, 25
	s_delay_alu instid0(VALU_DEP_1) | instskip(NEXT) | instid1(VALU_DEP_4)
	v_sub_nc_u16 v18, v16, v0
	v_dual_mov_b32 v0, v2 :: v_dual_mov_b32 v1, v3
	s_waitcnt lgkmcnt(0)
	s_cmp_eq_u32 s1, 1
	s_cselect_b32 s0, -1, 0
	s_cmp_lg_u32 s1, 1
	s_cselect_b32 s18, -1, 0
	s_lshl_b64 s[4:5], s[12:13], 3
	s_delay_alu instid0(SALU_CYCLE_1)
	s_add_u32 s6, s6, s4
	s_addc_u32 s7, s7, s5
	s_add_u32 s1, s6, 8
	s_addc_u32 s10, s7, 0
	;; [unrolled: 2-line block ×3, first 2 shown]
	s_cmp_eq_u64 s[8:9], 0
	s_load_b64 s[8:9], s[2:3], 0x68
	s_cselect_b32 s5, s10, s5
	s_cselect_b32 s4, s1, s4
	s_load_b64 s[10:11], s[6:7], 0x0
	s_load_b64 s[16:17], s[4:5], 0x0
	s_waitcnt lgkmcnt(0)
	v_cmp_ge_i64_e64 s1, s[10:11], s[16:17]
	s_delay_alu instid0(VALU_DEP_1)
	s_and_b32 vcc_lo, exec_lo, s1
	s_cbranch_vccnz .LBB472_14
; %bb.10:
	s_clause 0x1
	s_load_b64 s[20:21], s[2:3], 0x50
	s_load_b128 s[4:7], s[2:3], 0x40
	v_and_b32_e32 v0, 0xffff, v18
	v_dual_mov_b32 v2, 0 :: v_dual_and_b32 v1, 0xffff, v12
	v_mov_b32_e32 v3, 0
	s_sub_u32 s2, s16, s14
	s_subb_u32 s3, s17, 0
	s_delay_alu instid0(VALU_DEP_2)
	v_cndmask_b32_e64 v0, v0, v1, s0
	s_sub_u32 s0, s10, s14
	s_subb_u32 s1, s11, 0
	s_mul_hi_u32 s16, s0, 0x1388
	s_mul_i32 s17, s1, 0x1388
	v_lshlrev_b32_e32 v0, 4, v0
	v_lshlrev_b32_e32 v14, 3, v16
	s_mul_i32 s19, s0, 0x1388
	s_add_i32 s16, s16, s17
	s_waitcnt lgkmcnt(0)
	v_add_co_u32 v12, s17, s20, v0
	s_delay_alu instid0(VALU_DEP_1)
	v_add_co_ci_u32_e64 v13, null, s21, 0, s17
	s_add_u32 s17, s6, s19
	v_dual_mov_b32 v0, v2 :: v_dual_mov_b32 v1, v3
	s_addc_u32 s16, s7, s16
	s_lshl_b64 s[6:7], s[10:11], 3
	s_lshl_b64 s[10:11], s[14:15], 3
	v_add_co_u32 v14, s15, s17, v14
	s_delay_alu instid0(VALU_DEP_1)
	v_add_co_ci_u32_e64 v15, null, s16, 0, s15
	s_sub_u32 s6, s6, s10
	s_subb_u32 s7, s7, s11
	s_add_u32 s4, s4, s6
	s_addc_u32 s5, s5, s7
	s_set_inst_prefetch_distance 0x1
	s_branch .LBB472_12
	.p2align	6
.LBB472_11:                             ;   in Loop: Header=BB472_12 Depth=1
	s_add_u32 s0, s0, 1
	s_addc_u32 s1, s1, 0
	s_add_u32 s4, s4, 8
	v_cmp_lt_i64_e64 s6, s[0:1], s[2:3]
	s_addc_u32 s5, s5, 0
	s_delay_alu instid0(VALU_DEP_1)
	s_and_b32 vcc_lo, exec_lo, s6
	s_cbranch_vccz .LBB472_14
.LBB472_12:                             ; =>This Inner Loop Header: Depth=1
	v_cmp_ge_i64_e64 s6, s[0:1], s[2:3]
	s_delay_alu instid0(VALU_DEP_1)
	s_and_b32 vcc_lo, exec_lo, s6
	s_cbranch_vccnz .LBB472_11
; %bb.13:                               ;   in Loop: Header=BB472_12 Depth=1
	s_load_b64 s[6:7], s[4:5], 0x0
	s_waitcnt lgkmcnt(0)
	s_sub_u32 s6, s6, s14
	s_delay_alu instid0(SALU_CYCLE_1) | instskip(SKIP_1) | instid1(VALU_DEP_1)
	v_mad_u64_u32 v[19:20], null, 0x190, s6, v[12:13]
	s_subb_u32 s6, s7, 0
	v_mov_b32_e32 v17, v20
	s_delay_alu instid0(VALU_DEP_1)
	v_mad_u64_u32 v[20:21], null, 0x190, s6, v[17:18]
	global_load_b64 v[23:24], v[14:15], off
	global_load_b128 v[19:22], v[19:20], off
	v_add_co_u32 v14, vcc_lo, 0x1388, v14
	v_add_co_ci_u32_e32 v15, vcc_lo, 0, v15, vcc_lo
	s_waitcnt vmcnt(0)
	v_fma_f64 v[0:1], v[23:24], v[19:20], v[0:1]
	v_fma_f64 v[2:3], v[19:20], 0, v[2:3]
	s_delay_alu instid0(VALU_DEP_2) | instskip(NEXT) | instid1(VALU_DEP_2)
	v_fma_f64 v[0:1], 0x80000000, v[21:22], v[0:1]
	v_fma_f64 v[2:3], v[23:24], v[21:22], v[2:3]
	s_branch .LBB472_11
.LBB472_14:
	s_set_inst_prefetch_distance 0x2
	v_lshlrev_b32_e32 v17, 4, v16
	s_and_b32 vcc_lo, exec_lo, s18
	ds_store_b128 v17, v[0:3]
	s_waitcnt vmcnt(0) lgkmcnt(0)
	s_barrier
	buffer_gl0_inv
	s_cbranch_vccz .LBB472_26
; %bb.15:
	s_mov_b32 s0, exec_lo
	v_cmpx_gt_u16_e32 9, v18
	s_cbranch_execz .LBB472_17
; %bb.16:
	ds_load_b128 v[12:15], v17 offset:256
	ds_load_b128 v[19:22], v17
	s_waitcnt lgkmcnt(0)
	v_add_f64 v[12:13], v[12:13], v[19:20]
	v_add_f64 v[14:15], v[14:15], v[21:22]
	ds_store_b128 v17, v[12:15]
.LBB472_17:
	s_or_b32 exec_lo, exec_lo, s0
	s_delay_alu instid0(SALU_CYCLE_1)
	s_mov_b32 s0, exec_lo
	s_waitcnt lgkmcnt(0)
	s_barrier
	buffer_gl0_inv
	v_cmpx_gt_u16_e32 8, v18
	s_cbranch_execz .LBB472_19
; %bb.18:
	ds_load_b128 v[12:15], v17 offset:128
	ds_load_b128 v[19:22], v17
	s_waitcnt lgkmcnt(0)
	v_add_f64 v[12:13], v[12:13], v[19:20]
	v_add_f64 v[14:15], v[14:15], v[21:22]
	ds_store_b128 v17, v[12:15]
.LBB472_19:
	s_or_b32 exec_lo, exec_lo, s0
	s_delay_alu instid0(SALU_CYCLE_1)
	s_mov_b32 s0, exec_lo
	s_waitcnt lgkmcnt(0)
	s_barrier
	buffer_gl0_inv
	;; [unrolled: 16-line block ×3, first 2 shown]
	v_cmpx_gt_u16_e32 2, v18
	s_cbranch_execz .LBB472_23
; %bb.22:
	ds_load_b128 v[12:15], v17
	ds_load_b128 v[18:21], v17 offset:32
	s_waitcnt lgkmcnt(0)
	v_add_f64 v[12:13], v[18:19], v[12:13]
	v_add_f64 v[14:15], v[20:21], v[14:15]
	ds_store_b128 v17, v[12:15]
.LBB472_23:
	s_or_b32 exec_lo, exec_lo, s0
	v_dual_mov_b32 v15, v3 :: v_dual_mov_b32 v14, v2
	v_dual_mov_b32 v13, v1 :: v_dual_mov_b32 v12, v0
	s_mov_b32 s0, exec_lo
	s_waitcnt lgkmcnt(0)
	s_barrier
	buffer_gl0_inv
	v_cmpx_gt_u32_e32 25, v16
	s_cbranch_execz .LBB472_25
; %bb.24:
	v_mul_u32_u24_e32 v12, 25, v16
	s_delay_alu instid0(VALU_DEP_1)
	v_lshlrev_b32_e32 v18, 4, v12
	ds_load_b128 v[12:15], v18
	ds_load_b128 v[18:21], v18 offset:16
	s_waitcnt lgkmcnt(0)
	v_add_f64 v[12:13], v[18:19], v[12:13]
	v_add_f64 v[14:15], v[20:21], v[14:15]
.LBB472_25:
	s_or_b32 exec_lo, exec_lo, s0
	s_branch .LBB472_38
.LBB472_26:
                                        ; implicit-def: $vgpr14_vgpr15
                                        ; implicit-def: $vgpr12_vgpr13
	s_cbranch_execz .LBB472_38
; %bb.27:
	s_mov_b32 s0, exec_lo
	v_cmpx_gt_u32_e32 0xe1, v16
	s_cbranch_execz .LBB472_29
; %bb.28:
	ds_load_b128 v[12:15], v17 offset:6400
	ds_load_b128 v[18:21], v17
	s_waitcnt lgkmcnt(0)
	v_add_f64 v[12:13], v[12:13], v[18:19]
	v_add_f64 v[14:15], v[14:15], v[20:21]
	ds_store_b128 v17, v[12:15]
.LBB472_29:
	s_or_b32 exec_lo, exec_lo, s0
	s_delay_alu instid0(SALU_CYCLE_1)
	s_mov_b32 s0, exec_lo
	s_waitcnt lgkmcnt(0)
	s_barrier
	buffer_gl0_inv
	v_cmpx_gt_u32_e32 0xc8, v16
	s_cbranch_execz .LBB472_31
; %bb.30:
	ds_load_b128 v[12:15], v17 offset:3200
	ds_load_b128 v[18:21], v17
	s_waitcnt lgkmcnt(0)
	v_add_f64 v[12:13], v[12:13], v[18:19]
	v_add_f64 v[14:15], v[14:15], v[20:21]
	ds_store_b128 v17, v[12:15]
.LBB472_31:
	s_or_b32 exec_lo, exec_lo, s0
	s_delay_alu instid0(SALU_CYCLE_1)
	s_mov_b32 s0, exec_lo
	s_waitcnt lgkmcnt(0)
	s_barrier
	buffer_gl0_inv
	;; [unrolled: 16-line block ×3, first 2 shown]
	v_cmpx_gt_u32_e32 50, v16
	s_cbranch_execz .LBB472_35
; %bb.34:
	ds_load_b128 v[12:15], v17 offset:800
	ds_load_b128 v[18:21], v17
	s_waitcnt lgkmcnt(0)
	v_add_f64 v[12:13], v[12:13], v[18:19]
	v_add_f64 v[14:15], v[14:15], v[20:21]
	ds_store_b128 v17, v[12:15]
.LBB472_35:
	s_or_b32 exec_lo, exec_lo, s0
	s_delay_alu instid0(SALU_CYCLE_1)
	s_mov_b32 s0, exec_lo
	s_waitcnt lgkmcnt(0)
	buffer_gl0_inv
	v_cmpx_gt_u32_e32 25, v16
	s_cbranch_execz .LBB472_37
; %bb.36:
	ds_load_b128 v[0:3], v17 offset:400
	ds_load_b128 v[12:15], v17
	s_waitcnt lgkmcnt(0)
	v_add_f64 v[0:1], v[0:1], v[12:13]
	v_add_f64 v[2:3], v[2:3], v[14:15]
.LBB472_37:
	s_or_b32 exec_lo, exec_lo, s0
	s_delay_alu instid0(VALU_DEP_1) | instskip(NEXT) | instid1(VALU_DEP_3)
	v_dual_mov_b32 v15, v3 :: v_dual_mov_b32 v14, v2
	v_dual_mov_b32 v13, v1 :: v_dual_mov_b32 v12, v0
.LBB472_38:
	v_cmp_gt_u32_e32 vcc_lo, 25, v16
	s_and_b32 exec_lo, exec_lo, vcc_lo
	s_cbranch_execz .LBB472_43
; %bb.39:
	s_delay_alu instid0(VALU_DEP_2)
	v_mul_f64 v[0:1], v[14:15], -v[10:11]
	v_mul_f64 v[2:3], v[8:9], v[14:15]
	v_cmp_eq_f64_e32 vcc_lo, 0, v[4:5]
	v_cmp_eq_f64_e64 s0, 0, v[6:7]
	s_mul_hi_u32 s1, s12, 0x190
	s_mul_i32 s2, s12, 0x190
	s_delay_alu instid0(VALU_DEP_4) | instskip(NEXT) | instid1(VALU_DEP_4)
	v_fma_f64 v[0:1], v[8:9], v[12:13], v[0:1]
	v_fma_f64 v[2:3], v[10:11], v[12:13], v[2:3]
	s_delay_alu instid0(VALU_DEP_3) | instskip(SKIP_2) | instid1(SALU_CYCLE_1)
	s_and_b32 s3, vcc_lo, s0
	s_mul_i32 s0, s13, 0x190
	s_and_saveexec_b32 s4, s3
	s_xor_b32 s3, exec_lo, s4
	s_cbranch_execz .LBB472_41
; %bb.40:
	s_add_i32 s5, s1, s0
	s_add_u32 s4, s8, s2
	s_addc_u32 s5, s9, s5
                                        ; implicit-def: $vgpr4_vgpr5
                                        ; implicit-def: $vgpr6_vgpr7
	global_store_b128 v17, v[0:3], s[4:5]
                                        ; implicit-def: $vgpr17
                                        ; implicit-def: $vgpr0_vgpr1
.LBB472_41:
	s_and_not1_saveexec_b32 s3, s3
	s_cbranch_execz .LBB472_43
; %bb.42:
	s_add_i32 s1, s1, s0
	s_add_u32 s0, s8, s2
	s_addc_u32 s1, s9, s1
	global_load_b128 v[8:11], v17, s[0:1]
	s_waitcnt vmcnt(0)
	v_fma_f64 v[0:1], v[4:5], v[8:9], v[0:1]
	v_fma_f64 v[2:3], v[6:7], v[8:9], v[2:3]
	s_delay_alu instid0(VALU_DEP_2) | instskip(NEXT) | instid1(VALU_DEP_2)
	v_fma_f64 v[0:1], -v[6:7], v[10:11], v[0:1]
	v_fma_f64 v[2:3], v[4:5], v[10:11], v[2:3]
	global_store_b128 v17, v[0:3], s[0:1]
.LBB472_43:
	s_nop 0
	s_sendmsg sendmsg(MSG_DEALLOC_VGPRS)
	s_endpgm
	.section	.rodata,"a",@progbits
	.p2align	6, 0x0
	.amdhsa_kernel _ZN9rocsparseL20bsrxmvn_17_32_kernelILj25E21rocsparse_complex_numIdElldS2_S2_EEvT2_20rocsparse_direction_NS_24const_host_device_scalarIT0_EES3_PKS3_PKT1_SC_S9_PKT3_PKT4_S7_PT5_21rocsparse_index_base_b
		.amdhsa_group_segment_fixed_size 20000
		.amdhsa_private_segment_fixed_size 0
		.amdhsa_kernarg_size 120
		.amdhsa_user_sgpr_count 15
		.amdhsa_user_sgpr_dispatch_ptr 1
		.amdhsa_user_sgpr_queue_ptr 0
		.amdhsa_user_sgpr_kernarg_segment_ptr 1
		.amdhsa_user_sgpr_dispatch_id 0
		.amdhsa_user_sgpr_private_segment_size 0
		.amdhsa_wavefront_size32 1
		.amdhsa_uses_dynamic_stack 0
		.amdhsa_enable_private_segment 0
		.amdhsa_system_sgpr_workgroup_id_x 1
		.amdhsa_system_sgpr_workgroup_id_y 0
		.amdhsa_system_sgpr_workgroup_id_z 0
		.amdhsa_system_sgpr_workgroup_info 0
		.amdhsa_system_vgpr_workitem_id 2
		.amdhsa_next_free_vgpr 25
		.amdhsa_next_free_sgpr 22
		.amdhsa_reserve_vcc 1
		.amdhsa_float_round_mode_32 0
		.amdhsa_float_round_mode_16_64 0
		.amdhsa_float_denorm_mode_32 3
		.amdhsa_float_denorm_mode_16_64 3
		.amdhsa_dx10_clamp 1
		.amdhsa_ieee_mode 1
		.amdhsa_fp16_overflow 0
		.amdhsa_workgroup_processor_mode 1
		.amdhsa_memory_ordered 1
		.amdhsa_forward_progress 0
		.amdhsa_shared_vgpr_count 0
		.amdhsa_exception_fp_ieee_invalid_op 0
		.amdhsa_exception_fp_denorm_src 0
		.amdhsa_exception_fp_ieee_div_zero 0
		.amdhsa_exception_fp_ieee_overflow 0
		.amdhsa_exception_fp_ieee_underflow 0
		.amdhsa_exception_fp_ieee_inexact 0
		.amdhsa_exception_int_div_zero 0
	.end_amdhsa_kernel
	.section	.text._ZN9rocsparseL20bsrxmvn_17_32_kernelILj25E21rocsparse_complex_numIdElldS2_S2_EEvT2_20rocsparse_direction_NS_24const_host_device_scalarIT0_EES3_PKS3_PKT1_SC_S9_PKT3_PKT4_S7_PT5_21rocsparse_index_base_b,"axG",@progbits,_ZN9rocsparseL20bsrxmvn_17_32_kernelILj25E21rocsparse_complex_numIdElldS2_S2_EEvT2_20rocsparse_direction_NS_24const_host_device_scalarIT0_EES3_PKS3_PKT1_SC_S9_PKT3_PKT4_S7_PT5_21rocsparse_index_base_b,comdat
.Lfunc_end472:
	.size	_ZN9rocsparseL20bsrxmvn_17_32_kernelILj25E21rocsparse_complex_numIdElldS2_S2_EEvT2_20rocsparse_direction_NS_24const_host_device_scalarIT0_EES3_PKS3_PKT1_SC_S9_PKT3_PKT4_S7_PT5_21rocsparse_index_base_b, .Lfunc_end472-_ZN9rocsparseL20bsrxmvn_17_32_kernelILj25E21rocsparse_complex_numIdElldS2_S2_EEvT2_20rocsparse_direction_NS_24const_host_device_scalarIT0_EES3_PKS3_PKT1_SC_S9_PKT3_PKT4_S7_PT5_21rocsparse_index_base_b
                                        ; -- End function
	.section	.AMDGPU.csdata,"",@progbits
; Kernel info:
; codeLenInByte = 2068
; NumSgprs: 24
; NumVgprs: 25
; ScratchSize: 0
; MemoryBound: 1
; FloatMode: 240
; IeeeMode: 1
; LDSByteSize: 20000 bytes/workgroup (compile time only)
; SGPRBlocks: 2
; VGPRBlocks: 3
; NumSGPRsForWavesPerEU: 24
; NumVGPRsForWavesPerEU: 25
; Occupancy: 15
; WaveLimiterHint : 1
; COMPUTE_PGM_RSRC2:SCRATCH_EN: 0
; COMPUTE_PGM_RSRC2:USER_SGPR: 15
; COMPUTE_PGM_RSRC2:TRAP_HANDLER: 0
; COMPUTE_PGM_RSRC2:TGID_X_EN: 1
; COMPUTE_PGM_RSRC2:TGID_Y_EN: 0
; COMPUTE_PGM_RSRC2:TGID_Z_EN: 0
; COMPUTE_PGM_RSRC2:TIDIG_COMP_CNT: 2
	.section	.text._ZN9rocsparseL20bsrxmvn_17_32_kernelILj26E21rocsparse_complex_numIdElldS2_S2_EEvT2_20rocsparse_direction_NS_24const_host_device_scalarIT0_EES3_PKS3_PKT1_SC_S9_PKT3_PKT4_S7_PT5_21rocsparse_index_base_b,"axG",@progbits,_ZN9rocsparseL20bsrxmvn_17_32_kernelILj26E21rocsparse_complex_numIdElldS2_S2_EEvT2_20rocsparse_direction_NS_24const_host_device_scalarIT0_EES3_PKS3_PKT1_SC_S9_PKT3_PKT4_S7_PT5_21rocsparse_index_base_b,comdat
	.globl	_ZN9rocsparseL20bsrxmvn_17_32_kernelILj26E21rocsparse_complex_numIdElldS2_S2_EEvT2_20rocsparse_direction_NS_24const_host_device_scalarIT0_EES3_PKS3_PKT1_SC_S9_PKT3_PKT4_S7_PT5_21rocsparse_index_base_b ; -- Begin function _ZN9rocsparseL20bsrxmvn_17_32_kernelILj26E21rocsparse_complex_numIdElldS2_S2_EEvT2_20rocsparse_direction_NS_24const_host_device_scalarIT0_EES3_PKS3_PKT1_SC_S9_PKT3_PKT4_S7_PT5_21rocsparse_index_base_b
	.p2align	8
	.type	_ZN9rocsparseL20bsrxmvn_17_32_kernelILj26E21rocsparse_complex_numIdElldS2_S2_EEvT2_20rocsparse_direction_NS_24const_host_device_scalarIT0_EES3_PKS3_PKT1_SC_S9_PKT3_PKT4_S7_PT5_21rocsparse_index_base_b,@function
_ZN9rocsparseL20bsrxmvn_17_32_kernelILj26E21rocsparse_complex_numIdElldS2_S2_EEvT2_20rocsparse_direction_NS_24const_host_device_scalarIT0_EES3_PKS3_PKT1_SC_S9_PKT3_PKT4_S7_PT5_21rocsparse_index_base_b: ; @_ZN9rocsparseL20bsrxmvn_17_32_kernelILj26E21rocsparse_complex_numIdElldS2_S2_EEvT2_20rocsparse_direction_NS_24const_host_device_scalarIT0_EES3_PKS3_PKT1_SC_S9_PKT3_PKT4_S7_PT5_21rocsparse_index_base_b
; %bb.0:
	s_mov_b32 s12, s15
	s_clause 0x1
	s_load_b64 s[14:15], s[2:3], 0x70
	s_load_b128 s[4:7], s[2:3], 0x10
	s_load_b64 s[16:17], s[0:1], 0x4
	s_mov_b64 s[0:1], src_shared_base
	v_and_b32_e32 v16, 0x3ff, v0
	s_load_b128 s[8:11], s[2:3], 0x58
	v_bfe_u32 v2, v0, 10, 10
	v_bfe_u32 v0, v0, 20, 10
	s_waitcnt lgkmcnt(0)
	s_bitcmp1_b32 s15, 0
	v_mov_b32_e32 v11, s7
	s_cselect_b32 s0, -1, 0
	v_mov_b32_e32 v10, s6
	s_and_b32 vcc_lo, s0, exec_lo
	s_cselect_b32 s13, s1, s5
	s_lshr_b32 s15, s16, 16
	s_xor_b32 s6, s0, -1
	s_mul_i32 s15, s15, s17
	v_mov_b32_e32 v5, s13
	v_mul_lo_u32 v1, s15, v16
	s_delay_alu instid0(VALU_DEP_1) | instskip(SKIP_1) | instid1(VALU_DEP_2)
	v_mad_u32_u24 v1, v2, s17, v1
	v_dual_mov_b32 v2, s8 :: v_dual_mov_b32 v3, s9
	v_add_lshl_u32 v6, v1, v0, 3
	v_dual_mov_b32 v0, s4 :: v_dual_mov_b32 v1, s5
	ds_store_b64 v6, v[0:1] offset:16224
	ds_store_b64 v6, v[2:3] offset:10816
	v_add_nc_u32_e32 v4, 0x3f60, v6
	v_add_nc_u32_e32 v0, 0x2a40, v6
	s_delay_alu instid0(VALU_DEP_2)
	v_cndmask_b32_e64 v4, s4, v4, s0
	flat_load_b64 v[8:9], v[4:5]
	s_cbranch_vccnz .LBB473_2
; %bb.1:
	v_dual_mov_b32 v1, s4 :: v_dual_mov_b32 v2, s5
	flat_load_b64 v[10:11], v[1:2] offset:8
.LBB473_2:
	s_and_b32 s4, s0, exec_lo
	s_cselect_b32 s1, s1, s9
	v_cndmask_b32_e64 v0, s8, v0, s0
	v_dual_mov_b32 v1, s1 :: v_dual_mov_b32 v6, s10
	v_mov_b32_e32 v7, s11
	s_and_not1_b32 vcc_lo, exec_lo, s6
	flat_load_b64 v[4:5], v[0:1]
	s_cbranch_vccnz .LBB473_4
; %bb.3:
	v_dual_mov_b32 v0, s8 :: v_dual_mov_b32 v1, s9
	flat_load_b64 v[6:7], v[0:1] offset:8
.LBB473_4:
	s_waitcnt vmcnt(1) lgkmcnt(1)
	v_cmp_eq_f64_e32 vcc_lo, 0, v[8:9]
	v_cmp_eq_f64_e64 s0, 0, v[10:11]
	s_delay_alu instid0(VALU_DEP_1)
	s_and_b32 s4, vcc_lo, s0
	s_mov_b32 s0, -1
	s_and_saveexec_b32 s1, s4
	s_cbranch_execz .LBB473_6
; %bb.5:
	s_waitcnt vmcnt(0) lgkmcnt(0)
	v_cmp_neq_f64_e32 vcc_lo, 1.0, v[4:5]
	v_cmp_neq_f64_e64 s0, 0, v[6:7]
	s_delay_alu instid0(VALU_DEP_1) | instskip(NEXT) | instid1(SALU_CYCLE_1)
	s_or_b32 s0, vcc_lo, s0
	s_or_not1_b32 s0, s0, exec_lo
.LBB473_6:
	s_or_b32 exec_lo, exec_lo, s1
	s_and_saveexec_b32 s1, s0
	s_cbranch_execz .LBB473_43
; %bb.7:
	s_clause 0x1
	s_load_b128 s[4:7], s[2:3], 0x28
	s_load_b64 s[8:9], s[2:3], 0x38
	s_mov_b32 s13, 0
	s_delay_alu instid0(SALU_CYCLE_1)
	s_mov_b32 s15, s13
	s_waitcnt lgkmcnt(0)
	s_cmp_eq_u64 s[4:5], 0
	s_cbranch_scc1 .LBB473_9
; %bb.8:
	s_lshl_b64 s[0:1], s[12:13], 3
	s_delay_alu instid0(SALU_CYCLE_1)
	s_add_u32 s0, s4, s0
	s_addc_u32 s1, s5, s1
	s_load_b64 s[0:1], s[0:1], 0x0
	s_waitcnt lgkmcnt(0)
	s_sub_u32 s12, s0, s14
	s_subb_u32 s13, s1, 0
.LBB473_9:
	s_load_b32 s1, s[2:3], 0x8
	v_mul_u32_u24_e32 v0, 0x9d9, v16
	v_mov_b32_e32 v2, 0
	v_mov_b32_e32 v3, 0
	s_delay_alu instid0(VALU_DEP_3) | instskip(NEXT) | instid1(VALU_DEP_1)
	v_lshrrev_b32_e32 v12, 16, v0
	v_mul_lo_u16 v0, v12, 26
	s_delay_alu instid0(VALU_DEP_1) | instskip(NEXT) | instid1(VALU_DEP_4)
	v_sub_nc_u16 v18, v16, v0
	v_dual_mov_b32 v0, v2 :: v_dual_mov_b32 v1, v3
	s_waitcnt lgkmcnt(0)
	s_cmp_eq_u32 s1, 1
	s_cselect_b32 s0, -1, 0
	s_cmp_lg_u32 s1, 1
	s_cselect_b32 s18, -1, 0
	s_lshl_b64 s[4:5], s[12:13], 3
	s_delay_alu instid0(SALU_CYCLE_1)
	s_add_u32 s6, s6, s4
	s_addc_u32 s7, s7, s5
	s_add_u32 s1, s6, 8
	s_addc_u32 s10, s7, 0
	;; [unrolled: 2-line block ×3, first 2 shown]
	s_cmp_eq_u64 s[8:9], 0
	s_load_b64 s[8:9], s[2:3], 0x68
	s_cselect_b32 s5, s10, s5
	s_cselect_b32 s4, s1, s4
	s_load_b64 s[10:11], s[6:7], 0x0
	s_load_b64 s[16:17], s[4:5], 0x0
	s_waitcnt lgkmcnt(0)
	v_cmp_ge_i64_e64 s1, s[10:11], s[16:17]
	s_delay_alu instid0(VALU_DEP_1)
	s_and_b32 vcc_lo, exec_lo, s1
	s_cbranch_vccnz .LBB473_14
; %bb.10:
	s_clause 0x1
	s_load_b64 s[20:21], s[2:3], 0x50
	s_load_b128 s[4:7], s[2:3], 0x40
	v_and_b32_e32 v0, 0xffff, v18
	v_dual_mov_b32 v2, 0 :: v_dual_and_b32 v1, 0xffff, v12
	v_mov_b32_e32 v3, 0
	s_sub_u32 s2, s16, s14
	s_subb_u32 s3, s17, 0
	s_delay_alu instid0(VALU_DEP_2)
	v_cndmask_b32_e64 v0, v0, v1, s0
	s_sub_u32 s0, s10, s14
	s_subb_u32 s1, s11, 0
	s_mul_hi_u32 s16, s0, 0x1520
	s_mul_i32 s17, s1, 0x1520
	v_lshlrev_b32_e32 v0, 4, v0
	v_lshlrev_b32_e32 v14, 3, v16
	s_mul_i32 s19, s0, 0x1520
	s_add_i32 s16, s16, s17
	s_waitcnt lgkmcnt(0)
	v_add_co_u32 v12, s17, s20, v0
	s_delay_alu instid0(VALU_DEP_1)
	v_add_co_ci_u32_e64 v13, null, s21, 0, s17
	s_add_u32 s17, s6, s19
	v_dual_mov_b32 v0, v2 :: v_dual_mov_b32 v1, v3
	s_addc_u32 s16, s7, s16
	s_lshl_b64 s[6:7], s[10:11], 3
	s_lshl_b64 s[10:11], s[14:15], 3
	v_add_co_u32 v14, s15, s17, v14
	s_delay_alu instid0(VALU_DEP_1)
	v_add_co_ci_u32_e64 v15, null, s16, 0, s15
	s_sub_u32 s6, s6, s10
	s_subb_u32 s7, s7, s11
	s_add_u32 s4, s4, s6
	s_addc_u32 s5, s5, s7
	s_set_inst_prefetch_distance 0x1
	s_branch .LBB473_12
	.p2align	6
.LBB473_11:                             ;   in Loop: Header=BB473_12 Depth=1
	s_add_u32 s0, s0, 1
	s_addc_u32 s1, s1, 0
	s_add_u32 s4, s4, 8
	v_cmp_lt_i64_e64 s6, s[0:1], s[2:3]
	s_addc_u32 s5, s5, 0
	s_delay_alu instid0(VALU_DEP_1)
	s_and_b32 vcc_lo, exec_lo, s6
	s_cbranch_vccz .LBB473_14
.LBB473_12:                             ; =>This Inner Loop Header: Depth=1
	v_cmp_ge_i64_e64 s6, s[0:1], s[2:3]
	s_delay_alu instid0(VALU_DEP_1)
	s_and_b32 vcc_lo, exec_lo, s6
	s_cbranch_vccnz .LBB473_11
; %bb.13:                               ;   in Loop: Header=BB473_12 Depth=1
	s_load_b64 s[6:7], s[4:5], 0x0
	s_waitcnt lgkmcnt(0)
	s_sub_u32 s6, s6, s14
	s_delay_alu instid0(SALU_CYCLE_1) | instskip(SKIP_1) | instid1(VALU_DEP_1)
	v_mad_u64_u32 v[19:20], null, 0x1a0, s6, v[12:13]
	s_subb_u32 s6, s7, 0
	v_mov_b32_e32 v17, v20
	s_delay_alu instid0(VALU_DEP_1)
	v_mad_u64_u32 v[20:21], null, 0x1a0, s6, v[17:18]
	global_load_b64 v[23:24], v[14:15], off
	global_load_b128 v[19:22], v[19:20], off
	v_add_co_u32 v14, vcc_lo, 0x1520, v14
	v_add_co_ci_u32_e32 v15, vcc_lo, 0, v15, vcc_lo
	s_waitcnt vmcnt(0)
	v_fma_f64 v[0:1], v[23:24], v[19:20], v[0:1]
	v_fma_f64 v[2:3], v[19:20], 0, v[2:3]
	s_delay_alu instid0(VALU_DEP_2) | instskip(NEXT) | instid1(VALU_DEP_2)
	v_fma_f64 v[0:1], 0x80000000, v[21:22], v[0:1]
	v_fma_f64 v[2:3], v[23:24], v[21:22], v[2:3]
	s_branch .LBB473_11
.LBB473_14:
	s_set_inst_prefetch_distance 0x2
	v_lshlrev_b32_e32 v17, 4, v16
	s_and_b32 vcc_lo, exec_lo, s18
	ds_store_b128 v17, v[0:3]
	s_waitcnt vmcnt(0) lgkmcnt(0)
	s_barrier
	buffer_gl0_inv
	s_cbranch_vccz .LBB473_26
; %bb.15:
	s_mov_b32 s0, exec_lo
	v_cmpx_gt_u16_e32 10, v18
	s_cbranch_execz .LBB473_17
; %bb.16:
	ds_load_b128 v[12:15], v17 offset:256
	ds_load_b128 v[19:22], v17
	s_waitcnt lgkmcnt(0)
	v_add_f64 v[12:13], v[12:13], v[19:20]
	v_add_f64 v[14:15], v[14:15], v[21:22]
	ds_store_b128 v17, v[12:15]
.LBB473_17:
	s_or_b32 exec_lo, exec_lo, s0
	s_delay_alu instid0(SALU_CYCLE_1)
	s_mov_b32 s0, exec_lo
	s_waitcnt lgkmcnt(0)
	s_barrier
	buffer_gl0_inv
	v_cmpx_gt_u16_e32 8, v18
	s_cbranch_execz .LBB473_19
; %bb.18:
	ds_load_b128 v[12:15], v17 offset:128
	ds_load_b128 v[19:22], v17
	s_waitcnt lgkmcnt(0)
	v_add_f64 v[12:13], v[12:13], v[19:20]
	v_add_f64 v[14:15], v[14:15], v[21:22]
	ds_store_b128 v17, v[12:15]
.LBB473_19:
	s_or_b32 exec_lo, exec_lo, s0
	s_delay_alu instid0(SALU_CYCLE_1)
	s_mov_b32 s0, exec_lo
	s_waitcnt lgkmcnt(0)
	s_barrier
	buffer_gl0_inv
	;; [unrolled: 16-line block ×3, first 2 shown]
	v_cmpx_gt_u16_e32 2, v18
	s_cbranch_execz .LBB473_23
; %bb.22:
	ds_load_b128 v[12:15], v17
	ds_load_b128 v[18:21], v17 offset:32
	s_waitcnt lgkmcnt(0)
	v_add_f64 v[12:13], v[18:19], v[12:13]
	v_add_f64 v[14:15], v[20:21], v[14:15]
	ds_store_b128 v17, v[12:15]
.LBB473_23:
	s_or_b32 exec_lo, exec_lo, s0
	v_dual_mov_b32 v15, v3 :: v_dual_mov_b32 v14, v2
	v_dual_mov_b32 v13, v1 :: v_dual_mov_b32 v12, v0
	s_mov_b32 s0, exec_lo
	s_waitcnt lgkmcnt(0)
	s_barrier
	buffer_gl0_inv
	v_cmpx_gt_u32_e32 26, v16
	s_cbranch_execz .LBB473_25
; %bb.24:
	v_mul_u32_u24_e32 v12, 26, v16
	s_delay_alu instid0(VALU_DEP_1)
	v_lshlrev_b32_e32 v18, 4, v12
	ds_load_b128 v[12:15], v18
	ds_load_b128 v[18:21], v18 offset:16
	s_waitcnt lgkmcnt(0)
	v_add_f64 v[12:13], v[18:19], v[12:13]
	v_add_f64 v[14:15], v[20:21], v[14:15]
.LBB473_25:
	s_or_b32 exec_lo, exec_lo, s0
	s_branch .LBB473_38
.LBB473_26:
                                        ; implicit-def: $vgpr14_vgpr15
                                        ; implicit-def: $vgpr12_vgpr13
	s_cbranch_execz .LBB473_38
; %bb.27:
	s_mov_b32 s0, exec_lo
	v_cmpx_gt_u32_e32 0x104, v16
	s_cbranch_execz .LBB473_29
; %bb.28:
	ds_load_b128 v[12:15], v17 offset:6656
	ds_load_b128 v[18:21], v17
	s_waitcnt lgkmcnt(0)
	v_add_f64 v[12:13], v[12:13], v[18:19]
	v_add_f64 v[14:15], v[14:15], v[20:21]
	ds_store_b128 v17, v[12:15]
.LBB473_29:
	s_or_b32 exec_lo, exec_lo, s0
	s_delay_alu instid0(SALU_CYCLE_1)
	s_mov_b32 s0, exec_lo
	s_waitcnt lgkmcnt(0)
	s_barrier
	buffer_gl0_inv
	v_cmpx_gt_u32_e32 0xd0, v16
	s_cbranch_execz .LBB473_31
; %bb.30:
	ds_load_b128 v[12:15], v17 offset:3328
	ds_load_b128 v[18:21], v17
	s_waitcnt lgkmcnt(0)
	v_add_f64 v[12:13], v[12:13], v[18:19]
	v_add_f64 v[14:15], v[14:15], v[20:21]
	ds_store_b128 v17, v[12:15]
.LBB473_31:
	s_or_b32 exec_lo, exec_lo, s0
	s_delay_alu instid0(SALU_CYCLE_1)
	s_mov_b32 s0, exec_lo
	s_waitcnt lgkmcnt(0)
	s_barrier
	buffer_gl0_inv
	;; [unrolled: 16-line block ×3, first 2 shown]
	v_cmpx_gt_u32_e32 52, v16
	s_cbranch_execz .LBB473_35
; %bb.34:
	ds_load_b128 v[12:15], v17 offset:832
	ds_load_b128 v[18:21], v17
	s_waitcnt lgkmcnt(0)
	v_add_f64 v[12:13], v[12:13], v[18:19]
	v_add_f64 v[14:15], v[14:15], v[20:21]
	ds_store_b128 v17, v[12:15]
.LBB473_35:
	s_or_b32 exec_lo, exec_lo, s0
	s_delay_alu instid0(SALU_CYCLE_1)
	s_mov_b32 s0, exec_lo
	s_waitcnt lgkmcnt(0)
	buffer_gl0_inv
	v_cmpx_gt_u32_e32 26, v16
	s_cbranch_execz .LBB473_37
; %bb.36:
	ds_load_b128 v[0:3], v17 offset:416
	ds_load_b128 v[12:15], v17
	s_waitcnt lgkmcnt(0)
	v_add_f64 v[0:1], v[0:1], v[12:13]
	v_add_f64 v[2:3], v[2:3], v[14:15]
.LBB473_37:
	s_or_b32 exec_lo, exec_lo, s0
	s_delay_alu instid0(VALU_DEP_1) | instskip(NEXT) | instid1(VALU_DEP_3)
	v_dual_mov_b32 v15, v3 :: v_dual_mov_b32 v14, v2
	v_dual_mov_b32 v13, v1 :: v_dual_mov_b32 v12, v0
.LBB473_38:
	v_cmp_gt_u32_e32 vcc_lo, 26, v16
	s_and_b32 exec_lo, exec_lo, vcc_lo
	s_cbranch_execz .LBB473_43
; %bb.39:
	s_delay_alu instid0(VALU_DEP_2)
	v_mul_f64 v[0:1], v[14:15], -v[10:11]
	v_mul_f64 v[2:3], v[8:9], v[14:15]
	v_cmp_eq_f64_e32 vcc_lo, 0, v[4:5]
	v_cmp_eq_f64_e64 s0, 0, v[6:7]
	s_mul_hi_u32 s1, s12, 0x1a0
	s_mul_i32 s2, s12, 0x1a0
	s_delay_alu instid0(VALU_DEP_4) | instskip(NEXT) | instid1(VALU_DEP_4)
	v_fma_f64 v[0:1], v[8:9], v[12:13], v[0:1]
	v_fma_f64 v[2:3], v[10:11], v[12:13], v[2:3]
	s_delay_alu instid0(VALU_DEP_3) | instskip(SKIP_2) | instid1(SALU_CYCLE_1)
	s_and_b32 s3, vcc_lo, s0
	s_mul_i32 s0, s13, 0x1a0
	s_and_saveexec_b32 s4, s3
	s_xor_b32 s3, exec_lo, s4
	s_cbranch_execz .LBB473_41
; %bb.40:
	s_add_i32 s5, s1, s0
	s_add_u32 s4, s8, s2
	s_addc_u32 s5, s9, s5
                                        ; implicit-def: $vgpr4_vgpr5
                                        ; implicit-def: $vgpr6_vgpr7
	global_store_b128 v17, v[0:3], s[4:5]
                                        ; implicit-def: $vgpr17
                                        ; implicit-def: $vgpr0_vgpr1
.LBB473_41:
	s_and_not1_saveexec_b32 s3, s3
	s_cbranch_execz .LBB473_43
; %bb.42:
	s_add_i32 s1, s1, s0
	s_add_u32 s0, s8, s2
	s_addc_u32 s1, s9, s1
	global_load_b128 v[8:11], v17, s[0:1]
	s_waitcnt vmcnt(0)
	v_fma_f64 v[0:1], v[4:5], v[8:9], v[0:1]
	v_fma_f64 v[2:3], v[6:7], v[8:9], v[2:3]
	s_delay_alu instid0(VALU_DEP_2) | instskip(NEXT) | instid1(VALU_DEP_2)
	v_fma_f64 v[0:1], -v[6:7], v[10:11], v[0:1]
	v_fma_f64 v[2:3], v[4:5], v[10:11], v[2:3]
	global_store_b128 v17, v[0:3], s[0:1]
.LBB473_43:
	s_nop 0
	s_sendmsg sendmsg(MSG_DEALLOC_VGPRS)
	s_endpgm
	.section	.rodata,"a",@progbits
	.p2align	6, 0x0
	.amdhsa_kernel _ZN9rocsparseL20bsrxmvn_17_32_kernelILj26E21rocsparse_complex_numIdElldS2_S2_EEvT2_20rocsparse_direction_NS_24const_host_device_scalarIT0_EES3_PKS3_PKT1_SC_S9_PKT3_PKT4_S7_PT5_21rocsparse_index_base_b
		.amdhsa_group_segment_fixed_size 21632
		.amdhsa_private_segment_fixed_size 0
		.amdhsa_kernarg_size 120
		.amdhsa_user_sgpr_count 15
		.amdhsa_user_sgpr_dispatch_ptr 1
		.amdhsa_user_sgpr_queue_ptr 0
		.amdhsa_user_sgpr_kernarg_segment_ptr 1
		.amdhsa_user_sgpr_dispatch_id 0
		.amdhsa_user_sgpr_private_segment_size 0
		.amdhsa_wavefront_size32 1
		.amdhsa_uses_dynamic_stack 0
		.amdhsa_enable_private_segment 0
		.amdhsa_system_sgpr_workgroup_id_x 1
		.amdhsa_system_sgpr_workgroup_id_y 0
		.amdhsa_system_sgpr_workgroup_id_z 0
		.amdhsa_system_sgpr_workgroup_info 0
		.amdhsa_system_vgpr_workitem_id 2
		.amdhsa_next_free_vgpr 25
		.amdhsa_next_free_sgpr 22
		.amdhsa_reserve_vcc 1
		.amdhsa_float_round_mode_32 0
		.amdhsa_float_round_mode_16_64 0
		.amdhsa_float_denorm_mode_32 3
		.amdhsa_float_denorm_mode_16_64 3
		.amdhsa_dx10_clamp 1
		.amdhsa_ieee_mode 1
		.amdhsa_fp16_overflow 0
		.amdhsa_workgroup_processor_mode 1
		.amdhsa_memory_ordered 1
		.amdhsa_forward_progress 0
		.amdhsa_shared_vgpr_count 0
		.amdhsa_exception_fp_ieee_invalid_op 0
		.amdhsa_exception_fp_denorm_src 0
		.amdhsa_exception_fp_ieee_div_zero 0
		.amdhsa_exception_fp_ieee_overflow 0
		.amdhsa_exception_fp_ieee_underflow 0
		.amdhsa_exception_fp_ieee_inexact 0
		.amdhsa_exception_int_div_zero 0
	.end_amdhsa_kernel
	.section	.text._ZN9rocsparseL20bsrxmvn_17_32_kernelILj26E21rocsparse_complex_numIdElldS2_S2_EEvT2_20rocsparse_direction_NS_24const_host_device_scalarIT0_EES3_PKS3_PKT1_SC_S9_PKT3_PKT4_S7_PT5_21rocsparse_index_base_b,"axG",@progbits,_ZN9rocsparseL20bsrxmvn_17_32_kernelILj26E21rocsparse_complex_numIdElldS2_S2_EEvT2_20rocsparse_direction_NS_24const_host_device_scalarIT0_EES3_PKS3_PKT1_SC_S9_PKT3_PKT4_S7_PT5_21rocsparse_index_base_b,comdat
.Lfunc_end473:
	.size	_ZN9rocsparseL20bsrxmvn_17_32_kernelILj26E21rocsparse_complex_numIdElldS2_S2_EEvT2_20rocsparse_direction_NS_24const_host_device_scalarIT0_EES3_PKS3_PKT1_SC_S9_PKT3_PKT4_S7_PT5_21rocsparse_index_base_b, .Lfunc_end473-_ZN9rocsparseL20bsrxmvn_17_32_kernelILj26E21rocsparse_complex_numIdElldS2_S2_EEvT2_20rocsparse_direction_NS_24const_host_device_scalarIT0_EES3_PKS3_PKT1_SC_S9_PKT3_PKT4_S7_PT5_21rocsparse_index_base_b
                                        ; -- End function
	.section	.AMDGPU.csdata,"",@progbits
; Kernel info:
; codeLenInByte = 2068
; NumSgprs: 24
; NumVgprs: 25
; ScratchSize: 0
; MemoryBound: 1
; FloatMode: 240
; IeeeMode: 1
; LDSByteSize: 21632 bytes/workgroup (compile time only)
; SGPRBlocks: 2
; VGPRBlocks: 3
; NumSGPRsForWavesPerEU: 24
; NumVGPRsForWavesPerEU: 25
; Occupancy: 11
; WaveLimiterHint : 1
; COMPUTE_PGM_RSRC2:SCRATCH_EN: 0
; COMPUTE_PGM_RSRC2:USER_SGPR: 15
; COMPUTE_PGM_RSRC2:TRAP_HANDLER: 0
; COMPUTE_PGM_RSRC2:TGID_X_EN: 1
; COMPUTE_PGM_RSRC2:TGID_Y_EN: 0
; COMPUTE_PGM_RSRC2:TGID_Z_EN: 0
; COMPUTE_PGM_RSRC2:TIDIG_COMP_CNT: 2
	.section	.text._ZN9rocsparseL20bsrxmvn_17_32_kernelILj27E21rocsparse_complex_numIdElldS2_S2_EEvT2_20rocsparse_direction_NS_24const_host_device_scalarIT0_EES3_PKS3_PKT1_SC_S9_PKT3_PKT4_S7_PT5_21rocsparse_index_base_b,"axG",@progbits,_ZN9rocsparseL20bsrxmvn_17_32_kernelILj27E21rocsparse_complex_numIdElldS2_S2_EEvT2_20rocsparse_direction_NS_24const_host_device_scalarIT0_EES3_PKS3_PKT1_SC_S9_PKT3_PKT4_S7_PT5_21rocsparse_index_base_b,comdat
	.globl	_ZN9rocsparseL20bsrxmvn_17_32_kernelILj27E21rocsparse_complex_numIdElldS2_S2_EEvT2_20rocsparse_direction_NS_24const_host_device_scalarIT0_EES3_PKS3_PKT1_SC_S9_PKT3_PKT4_S7_PT5_21rocsparse_index_base_b ; -- Begin function _ZN9rocsparseL20bsrxmvn_17_32_kernelILj27E21rocsparse_complex_numIdElldS2_S2_EEvT2_20rocsparse_direction_NS_24const_host_device_scalarIT0_EES3_PKS3_PKT1_SC_S9_PKT3_PKT4_S7_PT5_21rocsparse_index_base_b
	.p2align	8
	.type	_ZN9rocsparseL20bsrxmvn_17_32_kernelILj27E21rocsparse_complex_numIdElldS2_S2_EEvT2_20rocsparse_direction_NS_24const_host_device_scalarIT0_EES3_PKS3_PKT1_SC_S9_PKT3_PKT4_S7_PT5_21rocsparse_index_base_b,@function
_ZN9rocsparseL20bsrxmvn_17_32_kernelILj27E21rocsparse_complex_numIdElldS2_S2_EEvT2_20rocsparse_direction_NS_24const_host_device_scalarIT0_EES3_PKS3_PKT1_SC_S9_PKT3_PKT4_S7_PT5_21rocsparse_index_base_b: ; @_ZN9rocsparseL20bsrxmvn_17_32_kernelILj27E21rocsparse_complex_numIdElldS2_S2_EEvT2_20rocsparse_direction_NS_24const_host_device_scalarIT0_EES3_PKS3_PKT1_SC_S9_PKT3_PKT4_S7_PT5_21rocsparse_index_base_b
; %bb.0:
	s_mov_b32 s12, s15
	s_clause 0x1
	s_load_b64 s[14:15], s[2:3], 0x70
	s_load_b128 s[4:7], s[2:3], 0x10
	s_load_b64 s[16:17], s[0:1], 0x4
	s_mov_b64 s[0:1], src_shared_base
	v_and_b32_e32 v16, 0x3ff, v0
	s_load_b128 s[8:11], s[2:3], 0x58
	v_bfe_u32 v2, v0, 10, 10
	v_bfe_u32 v0, v0, 20, 10
	s_waitcnt lgkmcnt(0)
	s_bitcmp1_b32 s15, 0
	v_mov_b32_e32 v11, s7
	s_cselect_b32 s0, -1, 0
	v_mov_b32_e32 v10, s6
	s_and_b32 vcc_lo, s0, exec_lo
	s_cselect_b32 s13, s1, s5
	s_lshr_b32 s15, s16, 16
	s_xor_b32 s6, s0, -1
	s_mul_i32 s15, s15, s17
	v_mov_b32_e32 v5, s13
	v_mul_lo_u32 v1, s15, v16
	s_delay_alu instid0(VALU_DEP_1) | instskip(SKIP_1) | instid1(VALU_DEP_2)
	v_mad_u32_u24 v1, v2, s17, v1
	v_dual_mov_b32 v2, s8 :: v_dual_mov_b32 v3, s9
	v_add_lshl_u32 v6, v1, v0, 3
	v_dual_mov_b32 v0, s4 :: v_dual_mov_b32 v1, s5
	ds_store_b64 v6, v[0:1] offset:17496
	ds_store_b64 v6, v[2:3] offset:11664
	v_add_nc_u32_e32 v4, 0x4458, v6
	v_add_nc_u32_e32 v0, 0x2d90, v6
	s_delay_alu instid0(VALU_DEP_2)
	v_cndmask_b32_e64 v4, s4, v4, s0
	flat_load_b64 v[8:9], v[4:5]
	s_cbranch_vccnz .LBB474_2
; %bb.1:
	v_dual_mov_b32 v1, s4 :: v_dual_mov_b32 v2, s5
	flat_load_b64 v[10:11], v[1:2] offset:8
.LBB474_2:
	s_and_b32 s4, s0, exec_lo
	s_cselect_b32 s1, s1, s9
	v_cndmask_b32_e64 v0, s8, v0, s0
	v_dual_mov_b32 v1, s1 :: v_dual_mov_b32 v6, s10
	v_mov_b32_e32 v7, s11
	s_and_not1_b32 vcc_lo, exec_lo, s6
	flat_load_b64 v[4:5], v[0:1]
	s_cbranch_vccnz .LBB474_4
; %bb.3:
	v_dual_mov_b32 v0, s8 :: v_dual_mov_b32 v1, s9
	flat_load_b64 v[6:7], v[0:1] offset:8
.LBB474_4:
	s_waitcnt vmcnt(1) lgkmcnt(1)
	v_cmp_eq_f64_e32 vcc_lo, 0, v[8:9]
	v_cmp_eq_f64_e64 s0, 0, v[10:11]
	s_delay_alu instid0(VALU_DEP_1)
	s_and_b32 s4, vcc_lo, s0
	s_mov_b32 s0, -1
	s_and_saveexec_b32 s1, s4
	s_cbranch_execz .LBB474_6
; %bb.5:
	s_waitcnt vmcnt(0) lgkmcnt(0)
	v_cmp_neq_f64_e32 vcc_lo, 1.0, v[4:5]
	v_cmp_neq_f64_e64 s0, 0, v[6:7]
	s_delay_alu instid0(VALU_DEP_1) | instskip(NEXT) | instid1(SALU_CYCLE_1)
	s_or_b32 s0, vcc_lo, s0
	s_or_not1_b32 s0, s0, exec_lo
.LBB474_6:
	s_or_b32 exec_lo, exec_lo, s1
	s_and_saveexec_b32 s1, s0
	s_cbranch_execz .LBB474_43
; %bb.7:
	s_clause 0x1
	s_load_b128 s[4:7], s[2:3], 0x28
	s_load_b64 s[8:9], s[2:3], 0x38
	s_mov_b32 s13, 0
	s_delay_alu instid0(SALU_CYCLE_1)
	s_mov_b32 s15, s13
	s_waitcnt lgkmcnt(0)
	s_cmp_eq_u64 s[4:5], 0
	s_cbranch_scc1 .LBB474_9
; %bb.8:
	s_lshl_b64 s[0:1], s[12:13], 3
	s_delay_alu instid0(SALU_CYCLE_1)
	s_add_u32 s0, s4, s0
	s_addc_u32 s1, s5, s1
	s_load_b64 s[0:1], s[0:1], 0x0
	s_waitcnt lgkmcnt(0)
	s_sub_u32 s12, s0, s14
	s_subb_u32 s13, s1, 0
.LBB474_9:
	s_load_b32 s1, s[2:3], 0x8
	v_mul_u32_u24_e32 v0, 0x97c, v16
	v_mov_b32_e32 v2, 0
	v_mov_b32_e32 v3, 0
	s_delay_alu instid0(VALU_DEP_3) | instskip(NEXT) | instid1(VALU_DEP_1)
	v_lshrrev_b32_e32 v12, 16, v0
	v_mul_lo_u16 v0, v12, 27
	s_delay_alu instid0(VALU_DEP_1) | instskip(NEXT) | instid1(VALU_DEP_4)
	v_sub_nc_u16 v18, v16, v0
	v_dual_mov_b32 v0, v2 :: v_dual_mov_b32 v1, v3
	s_waitcnt lgkmcnt(0)
	s_cmp_eq_u32 s1, 1
	s_cselect_b32 s0, -1, 0
	s_cmp_lg_u32 s1, 1
	s_cselect_b32 s18, -1, 0
	s_lshl_b64 s[4:5], s[12:13], 3
	s_delay_alu instid0(SALU_CYCLE_1)
	s_add_u32 s6, s6, s4
	s_addc_u32 s7, s7, s5
	s_add_u32 s1, s6, 8
	s_addc_u32 s10, s7, 0
	;; [unrolled: 2-line block ×3, first 2 shown]
	s_cmp_eq_u64 s[8:9], 0
	s_load_b64 s[8:9], s[2:3], 0x68
	s_cselect_b32 s5, s10, s5
	s_cselect_b32 s4, s1, s4
	s_load_b64 s[10:11], s[6:7], 0x0
	s_load_b64 s[16:17], s[4:5], 0x0
	s_waitcnt lgkmcnt(0)
	v_cmp_ge_i64_e64 s1, s[10:11], s[16:17]
	s_delay_alu instid0(VALU_DEP_1)
	s_and_b32 vcc_lo, exec_lo, s1
	s_cbranch_vccnz .LBB474_14
; %bb.10:
	s_clause 0x1
	s_load_b64 s[20:21], s[2:3], 0x50
	s_load_b128 s[4:7], s[2:3], 0x40
	v_and_b32_e32 v0, 0xffff, v18
	v_dual_mov_b32 v2, 0 :: v_dual_and_b32 v1, 0xffff, v12
	v_mov_b32_e32 v3, 0
	s_sub_u32 s2, s16, s14
	s_subb_u32 s3, s17, 0
	s_delay_alu instid0(VALU_DEP_2)
	v_cndmask_b32_e64 v0, v0, v1, s0
	s_sub_u32 s0, s10, s14
	s_subb_u32 s1, s11, 0
	s_mul_hi_u32 s16, s0, 0x16c8
	s_mul_i32 s17, s1, 0x16c8
	v_lshlrev_b32_e32 v0, 4, v0
	v_lshlrev_b32_e32 v14, 3, v16
	s_mul_i32 s19, s0, 0x16c8
	s_add_i32 s16, s16, s17
	s_waitcnt lgkmcnt(0)
	v_add_co_u32 v12, s17, s20, v0
	s_delay_alu instid0(VALU_DEP_1)
	v_add_co_ci_u32_e64 v13, null, s21, 0, s17
	s_add_u32 s17, s6, s19
	v_dual_mov_b32 v0, v2 :: v_dual_mov_b32 v1, v3
	s_addc_u32 s16, s7, s16
	s_lshl_b64 s[6:7], s[10:11], 3
	s_lshl_b64 s[10:11], s[14:15], 3
	v_add_co_u32 v14, s15, s17, v14
	s_delay_alu instid0(VALU_DEP_1)
	v_add_co_ci_u32_e64 v15, null, s16, 0, s15
	s_sub_u32 s6, s6, s10
	s_subb_u32 s7, s7, s11
	s_add_u32 s4, s4, s6
	s_addc_u32 s5, s5, s7
	s_set_inst_prefetch_distance 0x1
	s_branch .LBB474_12
	.p2align	6
.LBB474_11:                             ;   in Loop: Header=BB474_12 Depth=1
	s_add_u32 s0, s0, 1
	s_addc_u32 s1, s1, 0
	s_add_u32 s4, s4, 8
	v_cmp_lt_i64_e64 s6, s[0:1], s[2:3]
	s_addc_u32 s5, s5, 0
	s_delay_alu instid0(VALU_DEP_1)
	s_and_b32 vcc_lo, exec_lo, s6
	s_cbranch_vccz .LBB474_14
.LBB474_12:                             ; =>This Inner Loop Header: Depth=1
	v_cmp_ge_i64_e64 s6, s[0:1], s[2:3]
	s_delay_alu instid0(VALU_DEP_1)
	s_and_b32 vcc_lo, exec_lo, s6
	s_cbranch_vccnz .LBB474_11
; %bb.13:                               ;   in Loop: Header=BB474_12 Depth=1
	s_load_b64 s[6:7], s[4:5], 0x0
	s_waitcnt lgkmcnt(0)
	s_sub_u32 s6, s6, s14
	s_delay_alu instid0(SALU_CYCLE_1) | instskip(SKIP_1) | instid1(VALU_DEP_1)
	v_mad_u64_u32 v[19:20], null, 0x1b0, s6, v[12:13]
	s_subb_u32 s6, s7, 0
	v_mov_b32_e32 v17, v20
	s_delay_alu instid0(VALU_DEP_1)
	v_mad_u64_u32 v[20:21], null, 0x1b0, s6, v[17:18]
	global_load_b64 v[23:24], v[14:15], off
	global_load_b128 v[19:22], v[19:20], off
	v_add_co_u32 v14, vcc_lo, 0x16c8, v14
	v_add_co_ci_u32_e32 v15, vcc_lo, 0, v15, vcc_lo
	s_waitcnt vmcnt(0)
	v_fma_f64 v[0:1], v[23:24], v[19:20], v[0:1]
	v_fma_f64 v[2:3], v[19:20], 0, v[2:3]
	s_delay_alu instid0(VALU_DEP_2) | instskip(NEXT) | instid1(VALU_DEP_2)
	v_fma_f64 v[0:1], 0x80000000, v[21:22], v[0:1]
	v_fma_f64 v[2:3], v[23:24], v[21:22], v[2:3]
	s_branch .LBB474_11
.LBB474_14:
	s_set_inst_prefetch_distance 0x2
	v_lshlrev_b32_e32 v17, 4, v16
	s_and_b32 vcc_lo, exec_lo, s18
	ds_store_b128 v17, v[0:3]
	s_waitcnt vmcnt(0) lgkmcnt(0)
	s_barrier
	buffer_gl0_inv
	s_cbranch_vccz .LBB474_26
; %bb.15:
	s_mov_b32 s0, exec_lo
	v_cmpx_gt_u16_e32 11, v18
	s_cbranch_execz .LBB474_17
; %bb.16:
	ds_load_b128 v[12:15], v17 offset:256
	ds_load_b128 v[19:22], v17
	s_waitcnt lgkmcnt(0)
	v_add_f64 v[12:13], v[12:13], v[19:20]
	v_add_f64 v[14:15], v[14:15], v[21:22]
	ds_store_b128 v17, v[12:15]
.LBB474_17:
	s_or_b32 exec_lo, exec_lo, s0
	s_delay_alu instid0(SALU_CYCLE_1)
	s_mov_b32 s0, exec_lo
	s_waitcnt lgkmcnt(0)
	s_barrier
	buffer_gl0_inv
	v_cmpx_gt_u16_e32 8, v18
	s_cbranch_execz .LBB474_19
; %bb.18:
	ds_load_b128 v[12:15], v17 offset:128
	ds_load_b128 v[19:22], v17
	s_waitcnt lgkmcnt(0)
	v_add_f64 v[12:13], v[12:13], v[19:20]
	v_add_f64 v[14:15], v[14:15], v[21:22]
	ds_store_b128 v17, v[12:15]
.LBB474_19:
	s_or_b32 exec_lo, exec_lo, s0
	s_delay_alu instid0(SALU_CYCLE_1)
	s_mov_b32 s0, exec_lo
	s_waitcnt lgkmcnt(0)
	s_barrier
	buffer_gl0_inv
	;; [unrolled: 16-line block ×3, first 2 shown]
	v_cmpx_gt_u16_e32 2, v18
	s_cbranch_execz .LBB474_23
; %bb.22:
	ds_load_b128 v[12:15], v17
	ds_load_b128 v[18:21], v17 offset:32
	s_waitcnt lgkmcnt(0)
	v_add_f64 v[12:13], v[18:19], v[12:13]
	v_add_f64 v[14:15], v[20:21], v[14:15]
	ds_store_b128 v17, v[12:15]
.LBB474_23:
	s_or_b32 exec_lo, exec_lo, s0
	v_dual_mov_b32 v15, v3 :: v_dual_mov_b32 v14, v2
	v_dual_mov_b32 v13, v1 :: v_dual_mov_b32 v12, v0
	s_mov_b32 s0, exec_lo
	s_waitcnt lgkmcnt(0)
	s_barrier
	buffer_gl0_inv
	v_cmpx_gt_u32_e32 27, v16
	s_cbranch_execz .LBB474_25
; %bb.24:
	v_mul_u32_u24_e32 v12, 27, v16
	s_delay_alu instid0(VALU_DEP_1)
	v_lshlrev_b32_e32 v18, 4, v12
	ds_load_b128 v[12:15], v18
	ds_load_b128 v[18:21], v18 offset:16
	s_waitcnt lgkmcnt(0)
	v_add_f64 v[12:13], v[18:19], v[12:13]
	v_add_f64 v[14:15], v[20:21], v[14:15]
.LBB474_25:
	s_or_b32 exec_lo, exec_lo, s0
	s_branch .LBB474_38
.LBB474_26:
                                        ; implicit-def: $vgpr14_vgpr15
                                        ; implicit-def: $vgpr12_vgpr13
	s_cbranch_execz .LBB474_38
; %bb.27:
	s_mov_b32 s0, exec_lo
	v_cmpx_gt_u32_e32 0x129, v16
	s_cbranch_execz .LBB474_29
; %bb.28:
	ds_load_b128 v[12:15], v17 offset:6912
	ds_load_b128 v[18:21], v17
	s_waitcnt lgkmcnt(0)
	v_add_f64 v[12:13], v[12:13], v[18:19]
	v_add_f64 v[14:15], v[14:15], v[20:21]
	ds_store_b128 v17, v[12:15]
.LBB474_29:
	s_or_b32 exec_lo, exec_lo, s0
	s_delay_alu instid0(SALU_CYCLE_1)
	s_mov_b32 s0, exec_lo
	s_waitcnt lgkmcnt(0)
	s_barrier
	buffer_gl0_inv
	v_cmpx_gt_u32_e32 0xd8, v16
	s_cbranch_execz .LBB474_31
; %bb.30:
	ds_load_b128 v[12:15], v17 offset:3456
	ds_load_b128 v[18:21], v17
	s_waitcnt lgkmcnt(0)
	v_add_f64 v[12:13], v[12:13], v[18:19]
	v_add_f64 v[14:15], v[14:15], v[20:21]
	ds_store_b128 v17, v[12:15]
.LBB474_31:
	s_or_b32 exec_lo, exec_lo, s0
	s_delay_alu instid0(SALU_CYCLE_1)
	s_mov_b32 s0, exec_lo
	s_waitcnt lgkmcnt(0)
	s_barrier
	buffer_gl0_inv
	;; [unrolled: 16-line block ×3, first 2 shown]
	v_cmpx_gt_u32_e32 54, v16
	s_cbranch_execz .LBB474_35
; %bb.34:
	ds_load_b128 v[12:15], v17 offset:864
	ds_load_b128 v[18:21], v17
	s_waitcnt lgkmcnt(0)
	v_add_f64 v[12:13], v[12:13], v[18:19]
	v_add_f64 v[14:15], v[14:15], v[20:21]
	ds_store_b128 v17, v[12:15]
.LBB474_35:
	s_or_b32 exec_lo, exec_lo, s0
	s_delay_alu instid0(SALU_CYCLE_1)
	s_mov_b32 s0, exec_lo
	s_waitcnt lgkmcnt(0)
	buffer_gl0_inv
	v_cmpx_gt_u32_e32 27, v16
	s_cbranch_execz .LBB474_37
; %bb.36:
	ds_load_b128 v[0:3], v17 offset:432
	ds_load_b128 v[12:15], v17
	s_waitcnt lgkmcnt(0)
	v_add_f64 v[0:1], v[0:1], v[12:13]
	v_add_f64 v[2:3], v[2:3], v[14:15]
.LBB474_37:
	s_or_b32 exec_lo, exec_lo, s0
	s_delay_alu instid0(VALU_DEP_1) | instskip(NEXT) | instid1(VALU_DEP_3)
	v_dual_mov_b32 v15, v3 :: v_dual_mov_b32 v14, v2
	v_dual_mov_b32 v13, v1 :: v_dual_mov_b32 v12, v0
.LBB474_38:
	v_cmp_gt_u32_e32 vcc_lo, 27, v16
	s_and_b32 exec_lo, exec_lo, vcc_lo
	s_cbranch_execz .LBB474_43
; %bb.39:
	s_delay_alu instid0(VALU_DEP_2)
	v_mul_f64 v[0:1], v[14:15], -v[10:11]
	v_mul_f64 v[2:3], v[8:9], v[14:15]
	v_cmp_eq_f64_e32 vcc_lo, 0, v[4:5]
	v_cmp_eq_f64_e64 s0, 0, v[6:7]
	s_mul_hi_u32 s1, s12, 0x1b0
	s_mul_i32 s2, s12, 0x1b0
	s_delay_alu instid0(VALU_DEP_4) | instskip(NEXT) | instid1(VALU_DEP_4)
	v_fma_f64 v[0:1], v[8:9], v[12:13], v[0:1]
	v_fma_f64 v[2:3], v[10:11], v[12:13], v[2:3]
	s_delay_alu instid0(VALU_DEP_3) | instskip(SKIP_2) | instid1(SALU_CYCLE_1)
	s_and_b32 s3, vcc_lo, s0
	s_mul_i32 s0, s13, 0x1b0
	s_and_saveexec_b32 s4, s3
	s_xor_b32 s3, exec_lo, s4
	s_cbranch_execz .LBB474_41
; %bb.40:
	s_add_i32 s5, s1, s0
	s_add_u32 s4, s8, s2
	s_addc_u32 s5, s9, s5
                                        ; implicit-def: $vgpr4_vgpr5
                                        ; implicit-def: $vgpr6_vgpr7
	global_store_b128 v17, v[0:3], s[4:5]
                                        ; implicit-def: $vgpr17
                                        ; implicit-def: $vgpr0_vgpr1
.LBB474_41:
	s_and_not1_saveexec_b32 s3, s3
	s_cbranch_execz .LBB474_43
; %bb.42:
	s_add_i32 s1, s1, s0
	s_add_u32 s0, s8, s2
	s_addc_u32 s1, s9, s1
	global_load_b128 v[8:11], v17, s[0:1]
	s_waitcnt vmcnt(0)
	v_fma_f64 v[0:1], v[4:5], v[8:9], v[0:1]
	v_fma_f64 v[2:3], v[6:7], v[8:9], v[2:3]
	s_delay_alu instid0(VALU_DEP_2) | instskip(NEXT) | instid1(VALU_DEP_2)
	v_fma_f64 v[0:1], -v[6:7], v[10:11], v[0:1]
	v_fma_f64 v[2:3], v[4:5], v[10:11], v[2:3]
	global_store_b128 v17, v[0:3], s[0:1]
.LBB474_43:
	s_nop 0
	s_sendmsg sendmsg(MSG_DEALLOC_VGPRS)
	s_endpgm
	.section	.rodata,"a",@progbits
	.p2align	6, 0x0
	.amdhsa_kernel _ZN9rocsparseL20bsrxmvn_17_32_kernelILj27E21rocsparse_complex_numIdElldS2_S2_EEvT2_20rocsparse_direction_NS_24const_host_device_scalarIT0_EES3_PKS3_PKT1_SC_S9_PKT3_PKT4_S7_PT5_21rocsparse_index_base_b
		.amdhsa_group_segment_fixed_size 23328
		.amdhsa_private_segment_fixed_size 0
		.amdhsa_kernarg_size 120
		.amdhsa_user_sgpr_count 15
		.amdhsa_user_sgpr_dispatch_ptr 1
		.amdhsa_user_sgpr_queue_ptr 0
		.amdhsa_user_sgpr_kernarg_segment_ptr 1
		.amdhsa_user_sgpr_dispatch_id 0
		.amdhsa_user_sgpr_private_segment_size 0
		.amdhsa_wavefront_size32 1
		.amdhsa_uses_dynamic_stack 0
		.amdhsa_enable_private_segment 0
		.amdhsa_system_sgpr_workgroup_id_x 1
		.amdhsa_system_sgpr_workgroup_id_y 0
		.amdhsa_system_sgpr_workgroup_id_z 0
		.amdhsa_system_sgpr_workgroup_info 0
		.amdhsa_system_vgpr_workitem_id 2
		.amdhsa_next_free_vgpr 25
		.amdhsa_next_free_sgpr 22
		.amdhsa_reserve_vcc 1
		.amdhsa_float_round_mode_32 0
		.amdhsa_float_round_mode_16_64 0
		.amdhsa_float_denorm_mode_32 3
		.amdhsa_float_denorm_mode_16_64 3
		.amdhsa_dx10_clamp 1
		.amdhsa_ieee_mode 1
		.amdhsa_fp16_overflow 0
		.amdhsa_workgroup_processor_mode 1
		.amdhsa_memory_ordered 1
		.amdhsa_forward_progress 0
		.amdhsa_shared_vgpr_count 0
		.amdhsa_exception_fp_ieee_invalid_op 0
		.amdhsa_exception_fp_denorm_src 0
		.amdhsa_exception_fp_ieee_div_zero 0
		.amdhsa_exception_fp_ieee_overflow 0
		.amdhsa_exception_fp_ieee_underflow 0
		.amdhsa_exception_fp_ieee_inexact 0
		.amdhsa_exception_int_div_zero 0
	.end_amdhsa_kernel
	.section	.text._ZN9rocsparseL20bsrxmvn_17_32_kernelILj27E21rocsparse_complex_numIdElldS2_S2_EEvT2_20rocsparse_direction_NS_24const_host_device_scalarIT0_EES3_PKS3_PKT1_SC_S9_PKT3_PKT4_S7_PT5_21rocsparse_index_base_b,"axG",@progbits,_ZN9rocsparseL20bsrxmvn_17_32_kernelILj27E21rocsparse_complex_numIdElldS2_S2_EEvT2_20rocsparse_direction_NS_24const_host_device_scalarIT0_EES3_PKS3_PKT1_SC_S9_PKT3_PKT4_S7_PT5_21rocsparse_index_base_b,comdat
.Lfunc_end474:
	.size	_ZN9rocsparseL20bsrxmvn_17_32_kernelILj27E21rocsparse_complex_numIdElldS2_S2_EEvT2_20rocsparse_direction_NS_24const_host_device_scalarIT0_EES3_PKS3_PKT1_SC_S9_PKT3_PKT4_S7_PT5_21rocsparse_index_base_b, .Lfunc_end474-_ZN9rocsparseL20bsrxmvn_17_32_kernelILj27E21rocsparse_complex_numIdElldS2_S2_EEvT2_20rocsparse_direction_NS_24const_host_device_scalarIT0_EES3_PKS3_PKT1_SC_S9_PKT3_PKT4_S7_PT5_21rocsparse_index_base_b
                                        ; -- End function
	.section	.AMDGPU.csdata,"",@progbits
; Kernel info:
; codeLenInByte = 2068
; NumSgprs: 24
; NumVgprs: 25
; ScratchSize: 0
; MemoryBound: 1
; FloatMode: 240
; IeeeMode: 1
; LDSByteSize: 23328 bytes/workgroup (compile time only)
; SGPRBlocks: 2
; VGPRBlocks: 3
; NumSGPRsForWavesPerEU: 24
; NumVGPRsForWavesPerEU: 25
; Occupancy: 12
; WaveLimiterHint : 1
; COMPUTE_PGM_RSRC2:SCRATCH_EN: 0
; COMPUTE_PGM_RSRC2:USER_SGPR: 15
; COMPUTE_PGM_RSRC2:TRAP_HANDLER: 0
; COMPUTE_PGM_RSRC2:TGID_X_EN: 1
; COMPUTE_PGM_RSRC2:TGID_Y_EN: 0
; COMPUTE_PGM_RSRC2:TGID_Z_EN: 0
; COMPUTE_PGM_RSRC2:TIDIG_COMP_CNT: 2
	.section	.text._ZN9rocsparseL20bsrxmvn_17_32_kernelILj28E21rocsparse_complex_numIdElldS2_S2_EEvT2_20rocsparse_direction_NS_24const_host_device_scalarIT0_EES3_PKS3_PKT1_SC_S9_PKT3_PKT4_S7_PT5_21rocsparse_index_base_b,"axG",@progbits,_ZN9rocsparseL20bsrxmvn_17_32_kernelILj28E21rocsparse_complex_numIdElldS2_S2_EEvT2_20rocsparse_direction_NS_24const_host_device_scalarIT0_EES3_PKS3_PKT1_SC_S9_PKT3_PKT4_S7_PT5_21rocsparse_index_base_b,comdat
	.globl	_ZN9rocsparseL20bsrxmvn_17_32_kernelILj28E21rocsparse_complex_numIdElldS2_S2_EEvT2_20rocsparse_direction_NS_24const_host_device_scalarIT0_EES3_PKS3_PKT1_SC_S9_PKT3_PKT4_S7_PT5_21rocsparse_index_base_b ; -- Begin function _ZN9rocsparseL20bsrxmvn_17_32_kernelILj28E21rocsparse_complex_numIdElldS2_S2_EEvT2_20rocsparse_direction_NS_24const_host_device_scalarIT0_EES3_PKS3_PKT1_SC_S9_PKT3_PKT4_S7_PT5_21rocsparse_index_base_b
	.p2align	8
	.type	_ZN9rocsparseL20bsrxmvn_17_32_kernelILj28E21rocsparse_complex_numIdElldS2_S2_EEvT2_20rocsparse_direction_NS_24const_host_device_scalarIT0_EES3_PKS3_PKT1_SC_S9_PKT3_PKT4_S7_PT5_21rocsparse_index_base_b,@function
_ZN9rocsparseL20bsrxmvn_17_32_kernelILj28E21rocsparse_complex_numIdElldS2_S2_EEvT2_20rocsparse_direction_NS_24const_host_device_scalarIT0_EES3_PKS3_PKT1_SC_S9_PKT3_PKT4_S7_PT5_21rocsparse_index_base_b: ; @_ZN9rocsparseL20bsrxmvn_17_32_kernelILj28E21rocsparse_complex_numIdElldS2_S2_EEvT2_20rocsparse_direction_NS_24const_host_device_scalarIT0_EES3_PKS3_PKT1_SC_S9_PKT3_PKT4_S7_PT5_21rocsparse_index_base_b
; %bb.0:
	s_mov_b32 s12, s15
	s_clause 0x1
	s_load_b64 s[14:15], s[2:3], 0x70
	s_load_b128 s[4:7], s[2:3], 0x10
	s_load_b64 s[16:17], s[0:1], 0x4
	s_mov_b64 s[0:1], src_shared_base
	v_and_b32_e32 v16, 0x3ff, v0
	s_load_b128 s[8:11], s[2:3], 0x58
	v_bfe_u32 v2, v0, 10, 10
	v_bfe_u32 v0, v0, 20, 10
	s_waitcnt lgkmcnt(0)
	s_bitcmp1_b32 s15, 0
	v_mov_b32_e32 v11, s7
	s_cselect_b32 s0, -1, 0
	v_mov_b32_e32 v10, s6
	s_and_b32 vcc_lo, s0, exec_lo
	s_cselect_b32 s13, s1, s5
	s_lshr_b32 s15, s16, 16
	s_xor_b32 s6, s0, -1
	s_mul_i32 s15, s15, s17
	v_mov_b32_e32 v5, s13
	v_mul_lo_u32 v1, s15, v16
	s_delay_alu instid0(VALU_DEP_1) | instskip(SKIP_1) | instid1(VALU_DEP_2)
	v_mad_u32_u24 v1, v2, s17, v1
	v_dual_mov_b32 v2, s8 :: v_dual_mov_b32 v3, s9
	v_add_lshl_u32 v6, v1, v0, 3
	v_dual_mov_b32 v0, s4 :: v_dual_mov_b32 v1, s5
	ds_store_b64 v6, v[0:1] offset:18816
	ds_store_b64 v6, v[2:3] offset:12544
	v_add_nc_u32_e32 v4, 0x4980, v6
	v_add_nc_u32_e32 v0, 0x3100, v6
	s_delay_alu instid0(VALU_DEP_2)
	v_cndmask_b32_e64 v4, s4, v4, s0
	flat_load_b64 v[8:9], v[4:5]
	s_cbranch_vccnz .LBB475_2
; %bb.1:
	v_dual_mov_b32 v1, s4 :: v_dual_mov_b32 v2, s5
	flat_load_b64 v[10:11], v[1:2] offset:8
.LBB475_2:
	s_and_b32 s4, s0, exec_lo
	s_cselect_b32 s1, s1, s9
	v_cndmask_b32_e64 v0, s8, v0, s0
	v_dual_mov_b32 v1, s1 :: v_dual_mov_b32 v6, s10
	v_mov_b32_e32 v7, s11
	s_and_not1_b32 vcc_lo, exec_lo, s6
	flat_load_b64 v[4:5], v[0:1]
	s_cbranch_vccnz .LBB475_4
; %bb.3:
	v_dual_mov_b32 v0, s8 :: v_dual_mov_b32 v1, s9
	flat_load_b64 v[6:7], v[0:1] offset:8
.LBB475_4:
	s_waitcnt vmcnt(1) lgkmcnt(1)
	v_cmp_eq_f64_e32 vcc_lo, 0, v[8:9]
	v_cmp_eq_f64_e64 s0, 0, v[10:11]
	s_delay_alu instid0(VALU_DEP_1)
	s_and_b32 s4, vcc_lo, s0
	s_mov_b32 s0, -1
	s_and_saveexec_b32 s1, s4
	s_cbranch_execz .LBB475_6
; %bb.5:
	s_waitcnt vmcnt(0) lgkmcnt(0)
	v_cmp_neq_f64_e32 vcc_lo, 1.0, v[4:5]
	v_cmp_neq_f64_e64 s0, 0, v[6:7]
	s_delay_alu instid0(VALU_DEP_1) | instskip(NEXT) | instid1(SALU_CYCLE_1)
	s_or_b32 s0, vcc_lo, s0
	s_or_not1_b32 s0, s0, exec_lo
.LBB475_6:
	s_or_b32 exec_lo, exec_lo, s1
	s_and_saveexec_b32 s1, s0
	s_cbranch_execz .LBB475_43
; %bb.7:
	s_clause 0x1
	s_load_b128 s[4:7], s[2:3], 0x28
	s_load_b64 s[8:9], s[2:3], 0x38
	s_mov_b32 s13, 0
	s_delay_alu instid0(SALU_CYCLE_1)
	s_mov_b32 s15, s13
	s_waitcnt lgkmcnt(0)
	s_cmp_eq_u64 s[4:5], 0
	s_cbranch_scc1 .LBB475_9
; %bb.8:
	s_lshl_b64 s[0:1], s[12:13], 3
	s_delay_alu instid0(SALU_CYCLE_1)
	s_add_u32 s0, s4, s0
	s_addc_u32 s1, s5, s1
	s_load_b64 s[0:1], s[0:1], 0x0
	s_waitcnt lgkmcnt(0)
	s_sub_u32 s12, s0, s14
	s_subb_u32 s13, s1, 0
.LBB475_9:
	s_load_b32 s1, s[2:3], 0x8
	v_mul_u32_u24_e32 v0, 0x925, v16
	v_mov_b32_e32 v2, 0
	v_mov_b32_e32 v3, 0
	s_delay_alu instid0(VALU_DEP_3) | instskip(NEXT) | instid1(VALU_DEP_1)
	v_lshrrev_b32_e32 v12, 16, v0
	v_mul_lo_u16 v0, v12, 28
	s_delay_alu instid0(VALU_DEP_1) | instskip(NEXT) | instid1(VALU_DEP_4)
	v_sub_nc_u16 v18, v16, v0
	v_dual_mov_b32 v0, v2 :: v_dual_mov_b32 v1, v3
	s_waitcnt lgkmcnt(0)
	s_cmp_eq_u32 s1, 1
	s_cselect_b32 s0, -1, 0
	s_cmp_lg_u32 s1, 1
	s_cselect_b32 s18, -1, 0
	s_lshl_b64 s[4:5], s[12:13], 3
	s_delay_alu instid0(SALU_CYCLE_1)
	s_add_u32 s6, s6, s4
	s_addc_u32 s7, s7, s5
	s_add_u32 s1, s6, 8
	s_addc_u32 s10, s7, 0
	;; [unrolled: 2-line block ×3, first 2 shown]
	s_cmp_eq_u64 s[8:9], 0
	s_load_b64 s[8:9], s[2:3], 0x68
	s_cselect_b32 s5, s10, s5
	s_cselect_b32 s4, s1, s4
	s_load_b64 s[10:11], s[6:7], 0x0
	s_load_b64 s[16:17], s[4:5], 0x0
	s_waitcnt lgkmcnt(0)
	v_cmp_ge_i64_e64 s1, s[10:11], s[16:17]
	s_delay_alu instid0(VALU_DEP_1)
	s_and_b32 vcc_lo, exec_lo, s1
	s_cbranch_vccnz .LBB475_14
; %bb.10:
	s_clause 0x1
	s_load_b64 s[20:21], s[2:3], 0x50
	s_load_b128 s[4:7], s[2:3], 0x40
	v_and_b32_e32 v0, 0xffff, v18
	v_dual_mov_b32 v2, 0 :: v_dual_and_b32 v1, 0xffff, v12
	v_mov_b32_e32 v3, 0
	s_sub_u32 s2, s16, s14
	s_subb_u32 s3, s17, 0
	s_delay_alu instid0(VALU_DEP_2)
	v_cndmask_b32_e64 v0, v0, v1, s0
	s_sub_u32 s0, s10, s14
	s_subb_u32 s1, s11, 0
	s_mul_hi_u32 s16, s0, 0x1880
	s_mul_i32 s17, s1, 0x1880
	v_lshlrev_b32_e32 v0, 4, v0
	v_lshlrev_b32_e32 v14, 3, v16
	s_mul_i32 s19, s0, 0x1880
	s_add_i32 s16, s16, s17
	s_waitcnt lgkmcnt(0)
	v_add_co_u32 v12, s17, s20, v0
	s_delay_alu instid0(VALU_DEP_1)
	v_add_co_ci_u32_e64 v13, null, s21, 0, s17
	s_add_u32 s17, s6, s19
	v_dual_mov_b32 v0, v2 :: v_dual_mov_b32 v1, v3
	s_addc_u32 s16, s7, s16
	s_lshl_b64 s[6:7], s[10:11], 3
	s_lshl_b64 s[10:11], s[14:15], 3
	v_add_co_u32 v14, s15, s17, v14
	s_delay_alu instid0(VALU_DEP_1)
	v_add_co_ci_u32_e64 v15, null, s16, 0, s15
	s_sub_u32 s6, s6, s10
	s_subb_u32 s7, s7, s11
	s_add_u32 s4, s4, s6
	s_addc_u32 s5, s5, s7
	s_set_inst_prefetch_distance 0x1
	s_branch .LBB475_12
	.p2align	6
.LBB475_11:                             ;   in Loop: Header=BB475_12 Depth=1
	s_add_u32 s0, s0, 1
	s_addc_u32 s1, s1, 0
	s_add_u32 s4, s4, 8
	v_cmp_lt_i64_e64 s6, s[0:1], s[2:3]
	s_addc_u32 s5, s5, 0
	s_delay_alu instid0(VALU_DEP_1)
	s_and_b32 vcc_lo, exec_lo, s6
	s_cbranch_vccz .LBB475_14
.LBB475_12:                             ; =>This Inner Loop Header: Depth=1
	v_cmp_ge_i64_e64 s6, s[0:1], s[2:3]
	s_delay_alu instid0(VALU_DEP_1)
	s_and_b32 vcc_lo, exec_lo, s6
	s_cbranch_vccnz .LBB475_11
; %bb.13:                               ;   in Loop: Header=BB475_12 Depth=1
	s_load_b64 s[6:7], s[4:5], 0x0
	s_waitcnt lgkmcnt(0)
	s_sub_u32 s6, s6, s14
	s_delay_alu instid0(SALU_CYCLE_1) | instskip(SKIP_1) | instid1(VALU_DEP_1)
	v_mad_u64_u32 v[19:20], null, 0x1c0, s6, v[12:13]
	s_subb_u32 s6, s7, 0
	v_mov_b32_e32 v17, v20
	s_delay_alu instid0(VALU_DEP_1)
	v_mad_u64_u32 v[20:21], null, 0x1c0, s6, v[17:18]
	global_load_b64 v[23:24], v[14:15], off
	global_load_b128 v[19:22], v[19:20], off
	v_add_co_u32 v14, vcc_lo, 0x1880, v14
	v_add_co_ci_u32_e32 v15, vcc_lo, 0, v15, vcc_lo
	s_waitcnt vmcnt(0)
	v_fma_f64 v[0:1], v[23:24], v[19:20], v[0:1]
	v_fma_f64 v[2:3], v[19:20], 0, v[2:3]
	s_delay_alu instid0(VALU_DEP_2) | instskip(NEXT) | instid1(VALU_DEP_2)
	v_fma_f64 v[0:1], 0x80000000, v[21:22], v[0:1]
	v_fma_f64 v[2:3], v[23:24], v[21:22], v[2:3]
	s_branch .LBB475_11
.LBB475_14:
	s_set_inst_prefetch_distance 0x2
	v_lshlrev_b32_e32 v17, 4, v16
	s_and_b32 vcc_lo, exec_lo, s18
	ds_store_b128 v17, v[0:3]
	s_waitcnt vmcnt(0) lgkmcnt(0)
	s_barrier
	buffer_gl0_inv
	s_cbranch_vccz .LBB475_26
; %bb.15:
	s_mov_b32 s0, exec_lo
	v_cmpx_gt_u16_e32 12, v18
	s_cbranch_execz .LBB475_17
; %bb.16:
	ds_load_b128 v[12:15], v17 offset:256
	ds_load_b128 v[19:22], v17
	s_waitcnt lgkmcnt(0)
	v_add_f64 v[12:13], v[12:13], v[19:20]
	v_add_f64 v[14:15], v[14:15], v[21:22]
	ds_store_b128 v17, v[12:15]
.LBB475_17:
	s_or_b32 exec_lo, exec_lo, s0
	s_delay_alu instid0(SALU_CYCLE_1)
	s_mov_b32 s0, exec_lo
	s_waitcnt lgkmcnt(0)
	s_barrier
	buffer_gl0_inv
	v_cmpx_gt_u16_e32 8, v18
	s_cbranch_execz .LBB475_19
; %bb.18:
	ds_load_b128 v[12:15], v17 offset:128
	ds_load_b128 v[19:22], v17
	s_waitcnt lgkmcnt(0)
	v_add_f64 v[12:13], v[12:13], v[19:20]
	v_add_f64 v[14:15], v[14:15], v[21:22]
	ds_store_b128 v17, v[12:15]
.LBB475_19:
	s_or_b32 exec_lo, exec_lo, s0
	s_delay_alu instid0(SALU_CYCLE_1)
	s_mov_b32 s0, exec_lo
	s_waitcnt lgkmcnt(0)
	s_barrier
	buffer_gl0_inv
	;; [unrolled: 16-line block ×3, first 2 shown]
	v_cmpx_gt_u16_e32 2, v18
	s_cbranch_execz .LBB475_23
; %bb.22:
	ds_load_b128 v[12:15], v17
	ds_load_b128 v[18:21], v17 offset:32
	s_waitcnt lgkmcnt(0)
	v_add_f64 v[12:13], v[18:19], v[12:13]
	v_add_f64 v[14:15], v[20:21], v[14:15]
	ds_store_b128 v17, v[12:15]
.LBB475_23:
	s_or_b32 exec_lo, exec_lo, s0
	v_dual_mov_b32 v15, v3 :: v_dual_mov_b32 v14, v2
	v_dual_mov_b32 v13, v1 :: v_dual_mov_b32 v12, v0
	s_mov_b32 s0, exec_lo
	s_waitcnt lgkmcnt(0)
	s_barrier
	buffer_gl0_inv
	v_cmpx_gt_u32_e32 28, v16
	s_cbranch_execz .LBB475_25
; %bb.24:
	v_mul_u32_u24_e32 v12, 28, v16
	s_delay_alu instid0(VALU_DEP_1)
	v_lshlrev_b32_e32 v18, 4, v12
	ds_load_b128 v[12:15], v18
	ds_load_b128 v[18:21], v18 offset:16
	s_waitcnt lgkmcnt(0)
	v_add_f64 v[12:13], v[18:19], v[12:13]
	v_add_f64 v[14:15], v[20:21], v[14:15]
.LBB475_25:
	s_or_b32 exec_lo, exec_lo, s0
	s_branch .LBB475_38
.LBB475_26:
                                        ; implicit-def: $vgpr14_vgpr15
                                        ; implicit-def: $vgpr12_vgpr13
	s_cbranch_execz .LBB475_38
; %bb.27:
	s_mov_b32 s0, exec_lo
	v_cmpx_gt_u32_e32 0x150, v16
	s_cbranch_execz .LBB475_29
; %bb.28:
	ds_load_b128 v[12:15], v17 offset:7168
	ds_load_b128 v[18:21], v17
	s_waitcnt lgkmcnt(0)
	v_add_f64 v[12:13], v[12:13], v[18:19]
	v_add_f64 v[14:15], v[14:15], v[20:21]
	ds_store_b128 v17, v[12:15]
.LBB475_29:
	s_or_b32 exec_lo, exec_lo, s0
	s_delay_alu instid0(SALU_CYCLE_1)
	s_mov_b32 s0, exec_lo
	s_waitcnt lgkmcnt(0)
	s_barrier
	buffer_gl0_inv
	v_cmpx_gt_u32_e32 0xe0, v16
	s_cbranch_execz .LBB475_31
; %bb.30:
	ds_load_b128 v[12:15], v17 offset:3584
	ds_load_b128 v[18:21], v17
	s_waitcnt lgkmcnt(0)
	v_add_f64 v[12:13], v[12:13], v[18:19]
	v_add_f64 v[14:15], v[14:15], v[20:21]
	ds_store_b128 v17, v[12:15]
.LBB475_31:
	s_or_b32 exec_lo, exec_lo, s0
	s_delay_alu instid0(SALU_CYCLE_1)
	s_mov_b32 s0, exec_lo
	s_waitcnt lgkmcnt(0)
	s_barrier
	buffer_gl0_inv
	;; [unrolled: 16-line block ×3, first 2 shown]
	v_cmpx_gt_u32_e32 56, v16
	s_cbranch_execz .LBB475_35
; %bb.34:
	ds_load_b128 v[12:15], v17 offset:896
	ds_load_b128 v[18:21], v17
	s_waitcnt lgkmcnt(0)
	v_add_f64 v[12:13], v[12:13], v[18:19]
	v_add_f64 v[14:15], v[14:15], v[20:21]
	ds_store_b128 v17, v[12:15]
.LBB475_35:
	s_or_b32 exec_lo, exec_lo, s0
	s_delay_alu instid0(SALU_CYCLE_1)
	s_mov_b32 s0, exec_lo
	s_waitcnt lgkmcnt(0)
	buffer_gl0_inv
	v_cmpx_gt_u32_e32 28, v16
	s_cbranch_execz .LBB475_37
; %bb.36:
	ds_load_b128 v[0:3], v17 offset:448
	ds_load_b128 v[12:15], v17
	s_waitcnt lgkmcnt(0)
	v_add_f64 v[0:1], v[0:1], v[12:13]
	v_add_f64 v[2:3], v[2:3], v[14:15]
.LBB475_37:
	s_or_b32 exec_lo, exec_lo, s0
	s_delay_alu instid0(VALU_DEP_1) | instskip(NEXT) | instid1(VALU_DEP_3)
	v_dual_mov_b32 v15, v3 :: v_dual_mov_b32 v14, v2
	v_dual_mov_b32 v13, v1 :: v_dual_mov_b32 v12, v0
.LBB475_38:
	v_cmp_gt_u32_e32 vcc_lo, 28, v16
	s_and_b32 exec_lo, exec_lo, vcc_lo
	s_cbranch_execz .LBB475_43
; %bb.39:
	s_delay_alu instid0(VALU_DEP_2)
	v_mul_f64 v[0:1], v[14:15], -v[10:11]
	v_mul_f64 v[2:3], v[8:9], v[14:15]
	v_cmp_eq_f64_e32 vcc_lo, 0, v[4:5]
	v_cmp_eq_f64_e64 s0, 0, v[6:7]
	s_mul_hi_u32 s1, s12, 0x1c0
	s_mul_i32 s2, s12, 0x1c0
	s_delay_alu instid0(VALU_DEP_4) | instskip(NEXT) | instid1(VALU_DEP_4)
	v_fma_f64 v[0:1], v[8:9], v[12:13], v[0:1]
	v_fma_f64 v[2:3], v[10:11], v[12:13], v[2:3]
	s_delay_alu instid0(VALU_DEP_3) | instskip(SKIP_2) | instid1(SALU_CYCLE_1)
	s_and_b32 s3, vcc_lo, s0
	s_mul_i32 s0, s13, 0x1c0
	s_and_saveexec_b32 s4, s3
	s_xor_b32 s3, exec_lo, s4
	s_cbranch_execz .LBB475_41
; %bb.40:
	s_add_i32 s5, s1, s0
	s_add_u32 s4, s8, s2
	s_addc_u32 s5, s9, s5
                                        ; implicit-def: $vgpr4_vgpr5
                                        ; implicit-def: $vgpr6_vgpr7
	global_store_b128 v17, v[0:3], s[4:5]
                                        ; implicit-def: $vgpr17
                                        ; implicit-def: $vgpr0_vgpr1
.LBB475_41:
	s_and_not1_saveexec_b32 s3, s3
	s_cbranch_execz .LBB475_43
; %bb.42:
	s_add_i32 s1, s1, s0
	s_add_u32 s0, s8, s2
	s_addc_u32 s1, s9, s1
	global_load_b128 v[8:11], v17, s[0:1]
	s_waitcnt vmcnt(0)
	v_fma_f64 v[0:1], v[4:5], v[8:9], v[0:1]
	v_fma_f64 v[2:3], v[6:7], v[8:9], v[2:3]
	s_delay_alu instid0(VALU_DEP_2) | instskip(NEXT) | instid1(VALU_DEP_2)
	v_fma_f64 v[0:1], -v[6:7], v[10:11], v[0:1]
	v_fma_f64 v[2:3], v[4:5], v[10:11], v[2:3]
	global_store_b128 v17, v[0:3], s[0:1]
.LBB475_43:
	s_nop 0
	s_sendmsg sendmsg(MSG_DEALLOC_VGPRS)
	s_endpgm
	.section	.rodata,"a",@progbits
	.p2align	6, 0x0
	.amdhsa_kernel _ZN9rocsparseL20bsrxmvn_17_32_kernelILj28E21rocsparse_complex_numIdElldS2_S2_EEvT2_20rocsparse_direction_NS_24const_host_device_scalarIT0_EES3_PKS3_PKT1_SC_S9_PKT3_PKT4_S7_PT5_21rocsparse_index_base_b
		.amdhsa_group_segment_fixed_size 25088
		.amdhsa_private_segment_fixed_size 0
		.amdhsa_kernarg_size 120
		.amdhsa_user_sgpr_count 15
		.amdhsa_user_sgpr_dispatch_ptr 1
		.amdhsa_user_sgpr_queue_ptr 0
		.amdhsa_user_sgpr_kernarg_segment_ptr 1
		.amdhsa_user_sgpr_dispatch_id 0
		.amdhsa_user_sgpr_private_segment_size 0
		.amdhsa_wavefront_size32 1
		.amdhsa_uses_dynamic_stack 0
		.amdhsa_enable_private_segment 0
		.amdhsa_system_sgpr_workgroup_id_x 1
		.amdhsa_system_sgpr_workgroup_id_y 0
		.amdhsa_system_sgpr_workgroup_id_z 0
		.amdhsa_system_sgpr_workgroup_info 0
		.amdhsa_system_vgpr_workitem_id 2
		.amdhsa_next_free_vgpr 25
		.amdhsa_next_free_sgpr 22
		.amdhsa_reserve_vcc 1
		.amdhsa_float_round_mode_32 0
		.amdhsa_float_round_mode_16_64 0
		.amdhsa_float_denorm_mode_32 3
		.amdhsa_float_denorm_mode_16_64 3
		.amdhsa_dx10_clamp 1
		.amdhsa_ieee_mode 1
		.amdhsa_fp16_overflow 0
		.amdhsa_workgroup_processor_mode 1
		.amdhsa_memory_ordered 1
		.amdhsa_forward_progress 0
		.amdhsa_shared_vgpr_count 0
		.amdhsa_exception_fp_ieee_invalid_op 0
		.amdhsa_exception_fp_denorm_src 0
		.amdhsa_exception_fp_ieee_div_zero 0
		.amdhsa_exception_fp_ieee_overflow 0
		.amdhsa_exception_fp_ieee_underflow 0
		.amdhsa_exception_fp_ieee_inexact 0
		.amdhsa_exception_int_div_zero 0
	.end_amdhsa_kernel
	.section	.text._ZN9rocsparseL20bsrxmvn_17_32_kernelILj28E21rocsparse_complex_numIdElldS2_S2_EEvT2_20rocsparse_direction_NS_24const_host_device_scalarIT0_EES3_PKS3_PKT1_SC_S9_PKT3_PKT4_S7_PT5_21rocsparse_index_base_b,"axG",@progbits,_ZN9rocsparseL20bsrxmvn_17_32_kernelILj28E21rocsparse_complex_numIdElldS2_S2_EEvT2_20rocsparse_direction_NS_24const_host_device_scalarIT0_EES3_PKS3_PKT1_SC_S9_PKT3_PKT4_S7_PT5_21rocsparse_index_base_b,comdat
.Lfunc_end475:
	.size	_ZN9rocsparseL20bsrxmvn_17_32_kernelILj28E21rocsparse_complex_numIdElldS2_S2_EEvT2_20rocsparse_direction_NS_24const_host_device_scalarIT0_EES3_PKS3_PKT1_SC_S9_PKT3_PKT4_S7_PT5_21rocsparse_index_base_b, .Lfunc_end475-_ZN9rocsparseL20bsrxmvn_17_32_kernelILj28E21rocsparse_complex_numIdElldS2_S2_EEvT2_20rocsparse_direction_NS_24const_host_device_scalarIT0_EES3_PKS3_PKT1_SC_S9_PKT3_PKT4_S7_PT5_21rocsparse_index_base_b
                                        ; -- End function
	.section	.AMDGPU.csdata,"",@progbits
; Kernel info:
; codeLenInByte = 2068
; NumSgprs: 24
; NumVgprs: 25
; ScratchSize: 0
; MemoryBound: 1
; FloatMode: 240
; IeeeMode: 1
; LDSByteSize: 25088 bytes/workgroup (compile time only)
; SGPRBlocks: 2
; VGPRBlocks: 3
; NumSGPRsForWavesPerEU: 24
; NumVGPRsForWavesPerEU: 25
; Occupancy: 13
; WaveLimiterHint : 1
; COMPUTE_PGM_RSRC2:SCRATCH_EN: 0
; COMPUTE_PGM_RSRC2:USER_SGPR: 15
; COMPUTE_PGM_RSRC2:TRAP_HANDLER: 0
; COMPUTE_PGM_RSRC2:TGID_X_EN: 1
; COMPUTE_PGM_RSRC2:TGID_Y_EN: 0
; COMPUTE_PGM_RSRC2:TGID_Z_EN: 0
; COMPUTE_PGM_RSRC2:TIDIG_COMP_CNT: 2
	.section	.text._ZN9rocsparseL20bsrxmvn_17_32_kernelILj29E21rocsparse_complex_numIdElldS2_S2_EEvT2_20rocsparse_direction_NS_24const_host_device_scalarIT0_EES3_PKS3_PKT1_SC_S9_PKT3_PKT4_S7_PT5_21rocsparse_index_base_b,"axG",@progbits,_ZN9rocsparseL20bsrxmvn_17_32_kernelILj29E21rocsparse_complex_numIdElldS2_S2_EEvT2_20rocsparse_direction_NS_24const_host_device_scalarIT0_EES3_PKS3_PKT1_SC_S9_PKT3_PKT4_S7_PT5_21rocsparse_index_base_b,comdat
	.globl	_ZN9rocsparseL20bsrxmvn_17_32_kernelILj29E21rocsparse_complex_numIdElldS2_S2_EEvT2_20rocsparse_direction_NS_24const_host_device_scalarIT0_EES3_PKS3_PKT1_SC_S9_PKT3_PKT4_S7_PT5_21rocsparse_index_base_b ; -- Begin function _ZN9rocsparseL20bsrxmvn_17_32_kernelILj29E21rocsparse_complex_numIdElldS2_S2_EEvT2_20rocsparse_direction_NS_24const_host_device_scalarIT0_EES3_PKS3_PKT1_SC_S9_PKT3_PKT4_S7_PT5_21rocsparse_index_base_b
	.p2align	8
	.type	_ZN9rocsparseL20bsrxmvn_17_32_kernelILj29E21rocsparse_complex_numIdElldS2_S2_EEvT2_20rocsparse_direction_NS_24const_host_device_scalarIT0_EES3_PKS3_PKT1_SC_S9_PKT3_PKT4_S7_PT5_21rocsparse_index_base_b,@function
_ZN9rocsparseL20bsrxmvn_17_32_kernelILj29E21rocsparse_complex_numIdElldS2_S2_EEvT2_20rocsparse_direction_NS_24const_host_device_scalarIT0_EES3_PKS3_PKT1_SC_S9_PKT3_PKT4_S7_PT5_21rocsparse_index_base_b: ; @_ZN9rocsparseL20bsrxmvn_17_32_kernelILj29E21rocsparse_complex_numIdElldS2_S2_EEvT2_20rocsparse_direction_NS_24const_host_device_scalarIT0_EES3_PKS3_PKT1_SC_S9_PKT3_PKT4_S7_PT5_21rocsparse_index_base_b
; %bb.0:
	s_mov_b32 s12, s15
	s_clause 0x1
	s_load_b64 s[14:15], s[2:3], 0x70
	s_load_b128 s[4:7], s[2:3], 0x10
	s_load_b64 s[16:17], s[0:1], 0x4
	s_mov_b64 s[0:1], src_shared_base
	v_and_b32_e32 v16, 0x3ff, v0
	s_load_b128 s[8:11], s[2:3], 0x58
	v_bfe_u32 v2, v0, 10, 10
	v_bfe_u32 v0, v0, 20, 10
	s_waitcnt lgkmcnt(0)
	s_bitcmp1_b32 s15, 0
	v_mov_b32_e32 v11, s7
	s_cselect_b32 s0, -1, 0
	v_mov_b32_e32 v10, s6
	s_and_b32 vcc_lo, s0, exec_lo
	s_cselect_b32 s13, s1, s5
	s_lshr_b32 s15, s16, 16
	s_xor_b32 s6, s0, -1
	s_mul_i32 s15, s15, s17
	v_mov_b32_e32 v5, s13
	v_mul_lo_u32 v1, s15, v16
	s_delay_alu instid0(VALU_DEP_1) | instskip(SKIP_1) | instid1(VALU_DEP_2)
	v_mad_u32_u24 v1, v2, s17, v1
	v_dual_mov_b32 v2, s8 :: v_dual_mov_b32 v3, s9
	v_add_lshl_u32 v6, v1, v0, 3
	v_dual_mov_b32 v0, s4 :: v_dual_mov_b32 v1, s5
	ds_store_b64 v6, v[0:1] offset:20184
	ds_store_b64 v6, v[2:3] offset:13456
	v_add_nc_u32_e32 v4, 0x4ed8, v6
	v_add_nc_u32_e32 v0, 0x3490, v6
	s_delay_alu instid0(VALU_DEP_2)
	v_cndmask_b32_e64 v4, s4, v4, s0
	flat_load_b64 v[8:9], v[4:5]
	s_cbranch_vccnz .LBB476_2
; %bb.1:
	v_dual_mov_b32 v1, s4 :: v_dual_mov_b32 v2, s5
	flat_load_b64 v[10:11], v[1:2] offset:8
.LBB476_2:
	s_and_b32 s4, s0, exec_lo
	s_cselect_b32 s1, s1, s9
	v_cndmask_b32_e64 v0, s8, v0, s0
	v_dual_mov_b32 v1, s1 :: v_dual_mov_b32 v6, s10
	v_mov_b32_e32 v7, s11
	s_and_not1_b32 vcc_lo, exec_lo, s6
	flat_load_b64 v[4:5], v[0:1]
	s_cbranch_vccnz .LBB476_4
; %bb.3:
	v_dual_mov_b32 v0, s8 :: v_dual_mov_b32 v1, s9
	flat_load_b64 v[6:7], v[0:1] offset:8
.LBB476_4:
	s_waitcnt vmcnt(1) lgkmcnt(1)
	v_cmp_eq_f64_e32 vcc_lo, 0, v[8:9]
	v_cmp_eq_f64_e64 s0, 0, v[10:11]
	s_delay_alu instid0(VALU_DEP_1)
	s_and_b32 s4, vcc_lo, s0
	s_mov_b32 s0, -1
	s_and_saveexec_b32 s1, s4
	s_cbranch_execz .LBB476_6
; %bb.5:
	s_waitcnt vmcnt(0) lgkmcnt(0)
	v_cmp_neq_f64_e32 vcc_lo, 1.0, v[4:5]
	v_cmp_neq_f64_e64 s0, 0, v[6:7]
	s_delay_alu instid0(VALU_DEP_1) | instskip(NEXT) | instid1(SALU_CYCLE_1)
	s_or_b32 s0, vcc_lo, s0
	s_or_not1_b32 s0, s0, exec_lo
.LBB476_6:
	s_or_b32 exec_lo, exec_lo, s1
	s_and_saveexec_b32 s1, s0
	s_cbranch_execz .LBB476_43
; %bb.7:
	s_clause 0x1
	s_load_b128 s[4:7], s[2:3], 0x28
	s_load_b64 s[8:9], s[2:3], 0x38
	s_mov_b32 s13, 0
	s_delay_alu instid0(SALU_CYCLE_1)
	s_mov_b32 s15, s13
	s_waitcnt lgkmcnt(0)
	s_cmp_eq_u64 s[4:5], 0
	s_cbranch_scc1 .LBB476_9
; %bb.8:
	s_lshl_b64 s[0:1], s[12:13], 3
	s_delay_alu instid0(SALU_CYCLE_1)
	s_add_u32 s0, s4, s0
	s_addc_u32 s1, s5, s1
	s_load_b64 s[0:1], s[0:1], 0x0
	s_waitcnt lgkmcnt(0)
	s_sub_u32 s12, s0, s14
	s_subb_u32 s13, s1, 0
.LBB476_9:
	s_load_b32 s1, s[2:3], 0x8
	v_mul_u32_u24_e32 v0, 0x8d4, v16
	v_mov_b32_e32 v2, 0
	v_mov_b32_e32 v3, 0
	s_delay_alu instid0(VALU_DEP_3) | instskip(NEXT) | instid1(VALU_DEP_1)
	v_lshrrev_b32_e32 v12, 16, v0
	v_mul_lo_u16 v0, v12, 29
	s_delay_alu instid0(VALU_DEP_1) | instskip(NEXT) | instid1(VALU_DEP_4)
	v_sub_nc_u16 v18, v16, v0
	v_dual_mov_b32 v0, v2 :: v_dual_mov_b32 v1, v3
	s_waitcnt lgkmcnt(0)
	s_cmp_eq_u32 s1, 1
	s_cselect_b32 s0, -1, 0
	s_cmp_lg_u32 s1, 1
	s_cselect_b32 s18, -1, 0
	s_lshl_b64 s[4:5], s[12:13], 3
	s_delay_alu instid0(SALU_CYCLE_1)
	s_add_u32 s6, s6, s4
	s_addc_u32 s7, s7, s5
	s_add_u32 s1, s6, 8
	s_addc_u32 s10, s7, 0
	;; [unrolled: 2-line block ×3, first 2 shown]
	s_cmp_eq_u64 s[8:9], 0
	s_load_b64 s[8:9], s[2:3], 0x68
	s_cselect_b32 s5, s10, s5
	s_cselect_b32 s4, s1, s4
	s_load_b64 s[10:11], s[6:7], 0x0
	s_load_b64 s[16:17], s[4:5], 0x0
	s_waitcnt lgkmcnt(0)
	v_cmp_ge_i64_e64 s1, s[10:11], s[16:17]
	s_delay_alu instid0(VALU_DEP_1)
	s_and_b32 vcc_lo, exec_lo, s1
	s_cbranch_vccnz .LBB476_14
; %bb.10:
	s_clause 0x1
	s_load_b64 s[20:21], s[2:3], 0x50
	s_load_b128 s[4:7], s[2:3], 0x40
	v_and_b32_e32 v0, 0xffff, v18
	v_dual_mov_b32 v2, 0 :: v_dual_and_b32 v1, 0xffff, v12
	v_mov_b32_e32 v3, 0
	s_sub_u32 s2, s16, s14
	s_subb_u32 s3, s17, 0
	s_delay_alu instid0(VALU_DEP_2)
	v_cndmask_b32_e64 v0, v0, v1, s0
	s_sub_u32 s0, s10, s14
	s_subb_u32 s1, s11, 0
	s_mul_hi_u32 s16, s0, 0x1a48
	s_mul_i32 s17, s1, 0x1a48
	v_lshlrev_b32_e32 v0, 4, v0
	v_lshlrev_b32_e32 v14, 3, v16
	s_mul_i32 s19, s0, 0x1a48
	s_add_i32 s16, s16, s17
	s_waitcnt lgkmcnt(0)
	v_add_co_u32 v12, s17, s20, v0
	s_delay_alu instid0(VALU_DEP_1)
	v_add_co_ci_u32_e64 v13, null, s21, 0, s17
	s_add_u32 s17, s6, s19
	v_dual_mov_b32 v0, v2 :: v_dual_mov_b32 v1, v3
	s_addc_u32 s16, s7, s16
	s_lshl_b64 s[6:7], s[10:11], 3
	s_lshl_b64 s[10:11], s[14:15], 3
	v_add_co_u32 v14, s15, s17, v14
	s_delay_alu instid0(VALU_DEP_1)
	v_add_co_ci_u32_e64 v15, null, s16, 0, s15
	s_sub_u32 s6, s6, s10
	s_subb_u32 s7, s7, s11
	s_add_u32 s4, s4, s6
	s_addc_u32 s5, s5, s7
	s_set_inst_prefetch_distance 0x1
	s_branch .LBB476_12
	.p2align	6
.LBB476_11:                             ;   in Loop: Header=BB476_12 Depth=1
	s_add_u32 s0, s0, 1
	s_addc_u32 s1, s1, 0
	s_add_u32 s4, s4, 8
	v_cmp_lt_i64_e64 s6, s[0:1], s[2:3]
	s_addc_u32 s5, s5, 0
	s_delay_alu instid0(VALU_DEP_1)
	s_and_b32 vcc_lo, exec_lo, s6
	s_cbranch_vccz .LBB476_14
.LBB476_12:                             ; =>This Inner Loop Header: Depth=1
	v_cmp_ge_i64_e64 s6, s[0:1], s[2:3]
	s_delay_alu instid0(VALU_DEP_1)
	s_and_b32 vcc_lo, exec_lo, s6
	s_cbranch_vccnz .LBB476_11
; %bb.13:                               ;   in Loop: Header=BB476_12 Depth=1
	s_load_b64 s[6:7], s[4:5], 0x0
	s_waitcnt lgkmcnt(0)
	s_sub_u32 s6, s6, s14
	s_delay_alu instid0(SALU_CYCLE_1) | instskip(SKIP_1) | instid1(VALU_DEP_1)
	v_mad_u64_u32 v[19:20], null, 0x1d0, s6, v[12:13]
	s_subb_u32 s6, s7, 0
	v_mov_b32_e32 v17, v20
	s_delay_alu instid0(VALU_DEP_1)
	v_mad_u64_u32 v[20:21], null, 0x1d0, s6, v[17:18]
	global_load_b64 v[23:24], v[14:15], off
	global_load_b128 v[19:22], v[19:20], off
	v_add_co_u32 v14, vcc_lo, 0x1a48, v14
	v_add_co_ci_u32_e32 v15, vcc_lo, 0, v15, vcc_lo
	s_waitcnt vmcnt(0)
	v_fma_f64 v[0:1], v[23:24], v[19:20], v[0:1]
	v_fma_f64 v[2:3], v[19:20], 0, v[2:3]
	s_delay_alu instid0(VALU_DEP_2) | instskip(NEXT) | instid1(VALU_DEP_2)
	v_fma_f64 v[0:1], 0x80000000, v[21:22], v[0:1]
	v_fma_f64 v[2:3], v[23:24], v[21:22], v[2:3]
	s_branch .LBB476_11
.LBB476_14:
	s_set_inst_prefetch_distance 0x2
	v_lshlrev_b32_e32 v17, 4, v16
	s_and_b32 vcc_lo, exec_lo, s18
	ds_store_b128 v17, v[0:3]
	s_waitcnt vmcnt(0) lgkmcnt(0)
	s_barrier
	buffer_gl0_inv
	s_cbranch_vccz .LBB476_26
; %bb.15:
	s_mov_b32 s0, exec_lo
	v_cmpx_gt_u16_e32 13, v18
	s_cbranch_execz .LBB476_17
; %bb.16:
	ds_load_b128 v[12:15], v17 offset:256
	ds_load_b128 v[19:22], v17
	s_waitcnt lgkmcnt(0)
	v_add_f64 v[12:13], v[12:13], v[19:20]
	v_add_f64 v[14:15], v[14:15], v[21:22]
	ds_store_b128 v17, v[12:15]
.LBB476_17:
	s_or_b32 exec_lo, exec_lo, s0
	s_delay_alu instid0(SALU_CYCLE_1)
	s_mov_b32 s0, exec_lo
	s_waitcnt lgkmcnt(0)
	s_barrier
	buffer_gl0_inv
	v_cmpx_gt_u16_e32 8, v18
	s_cbranch_execz .LBB476_19
; %bb.18:
	ds_load_b128 v[12:15], v17 offset:128
	ds_load_b128 v[19:22], v17
	s_waitcnt lgkmcnt(0)
	v_add_f64 v[12:13], v[12:13], v[19:20]
	v_add_f64 v[14:15], v[14:15], v[21:22]
	ds_store_b128 v17, v[12:15]
.LBB476_19:
	s_or_b32 exec_lo, exec_lo, s0
	s_delay_alu instid0(SALU_CYCLE_1)
	s_mov_b32 s0, exec_lo
	s_waitcnt lgkmcnt(0)
	s_barrier
	buffer_gl0_inv
	v_cmpx_gt_u16_e32 4, v18
	s_cbranch_execz .LBB476_21
; %bb.20:
	ds_load_b128 v[12:15], v17 offset:64
	ds_load_b128 v[19:22], v17
	s_waitcnt lgkmcnt(0)
	v_add_f64 v[12:13], v[12:13], v[19:20]
	v_add_f64 v[14:15], v[14:15], v[21:22]
	ds_store_b128 v17, v[12:15]
.LBB476_21:
	s_or_b32 exec_lo, exec_lo, s0
	s_delay_alu instid0(SALU_CYCLE_1)
	s_mov_b32 s0, exec_lo
	s_waitcnt lgkmcnt(0)
	s_barrier
	buffer_gl0_inv
	v_cmpx_gt_u16_e32 2, v18
	s_cbranch_execz .LBB476_23
; %bb.22:
	ds_load_b128 v[12:15], v17
	ds_load_b128 v[18:21], v17 offset:32
	s_waitcnt lgkmcnt(0)
	v_add_f64 v[12:13], v[18:19], v[12:13]
	v_add_f64 v[14:15], v[20:21], v[14:15]
	ds_store_b128 v17, v[12:15]
.LBB476_23:
	s_or_b32 exec_lo, exec_lo, s0
	v_dual_mov_b32 v15, v3 :: v_dual_mov_b32 v14, v2
	v_dual_mov_b32 v13, v1 :: v_dual_mov_b32 v12, v0
	s_mov_b32 s0, exec_lo
	s_waitcnt lgkmcnt(0)
	s_barrier
	buffer_gl0_inv
	v_cmpx_gt_u32_e32 29, v16
	s_cbranch_execz .LBB476_25
; %bb.24:
	v_mul_u32_u24_e32 v12, 29, v16
	s_delay_alu instid0(VALU_DEP_1)
	v_lshlrev_b32_e32 v18, 4, v12
	ds_load_b128 v[12:15], v18
	ds_load_b128 v[18:21], v18 offset:16
	s_waitcnt lgkmcnt(0)
	v_add_f64 v[12:13], v[18:19], v[12:13]
	v_add_f64 v[14:15], v[20:21], v[14:15]
.LBB476_25:
	s_or_b32 exec_lo, exec_lo, s0
	s_branch .LBB476_38
.LBB476_26:
                                        ; implicit-def: $vgpr14_vgpr15
                                        ; implicit-def: $vgpr12_vgpr13
	s_cbranch_execz .LBB476_38
; %bb.27:
	s_mov_b32 s0, exec_lo
	v_cmpx_gt_u32_e32 0x179, v16
	s_cbranch_execz .LBB476_29
; %bb.28:
	ds_load_b128 v[12:15], v17 offset:7424
	ds_load_b128 v[18:21], v17
	s_waitcnt lgkmcnt(0)
	v_add_f64 v[12:13], v[12:13], v[18:19]
	v_add_f64 v[14:15], v[14:15], v[20:21]
	ds_store_b128 v17, v[12:15]
.LBB476_29:
	s_or_b32 exec_lo, exec_lo, s0
	s_delay_alu instid0(SALU_CYCLE_1)
	s_mov_b32 s0, exec_lo
	s_waitcnt lgkmcnt(0)
	s_barrier
	buffer_gl0_inv
	v_cmpx_gt_u32_e32 0xe8, v16
	s_cbranch_execz .LBB476_31
; %bb.30:
	ds_load_b128 v[12:15], v17 offset:3712
	ds_load_b128 v[18:21], v17
	s_waitcnt lgkmcnt(0)
	v_add_f64 v[12:13], v[12:13], v[18:19]
	v_add_f64 v[14:15], v[14:15], v[20:21]
	ds_store_b128 v17, v[12:15]
.LBB476_31:
	s_or_b32 exec_lo, exec_lo, s0
	s_delay_alu instid0(SALU_CYCLE_1)
	s_mov_b32 s0, exec_lo
	s_waitcnt lgkmcnt(0)
	s_barrier
	buffer_gl0_inv
	;; [unrolled: 16-line block ×3, first 2 shown]
	v_cmpx_gt_u32_e32 58, v16
	s_cbranch_execz .LBB476_35
; %bb.34:
	ds_load_b128 v[12:15], v17 offset:928
	ds_load_b128 v[18:21], v17
	s_waitcnt lgkmcnt(0)
	v_add_f64 v[12:13], v[12:13], v[18:19]
	v_add_f64 v[14:15], v[14:15], v[20:21]
	ds_store_b128 v17, v[12:15]
.LBB476_35:
	s_or_b32 exec_lo, exec_lo, s0
	s_delay_alu instid0(SALU_CYCLE_1)
	s_mov_b32 s0, exec_lo
	s_waitcnt lgkmcnt(0)
	buffer_gl0_inv
	v_cmpx_gt_u32_e32 29, v16
	s_cbranch_execz .LBB476_37
; %bb.36:
	ds_load_b128 v[0:3], v17 offset:464
	ds_load_b128 v[12:15], v17
	s_waitcnt lgkmcnt(0)
	v_add_f64 v[0:1], v[0:1], v[12:13]
	v_add_f64 v[2:3], v[2:3], v[14:15]
.LBB476_37:
	s_or_b32 exec_lo, exec_lo, s0
	s_delay_alu instid0(VALU_DEP_1) | instskip(NEXT) | instid1(VALU_DEP_3)
	v_dual_mov_b32 v15, v3 :: v_dual_mov_b32 v14, v2
	v_dual_mov_b32 v13, v1 :: v_dual_mov_b32 v12, v0
.LBB476_38:
	v_cmp_gt_u32_e32 vcc_lo, 29, v16
	s_and_b32 exec_lo, exec_lo, vcc_lo
	s_cbranch_execz .LBB476_43
; %bb.39:
	s_delay_alu instid0(VALU_DEP_2)
	v_mul_f64 v[0:1], v[14:15], -v[10:11]
	v_mul_f64 v[2:3], v[8:9], v[14:15]
	v_cmp_eq_f64_e32 vcc_lo, 0, v[4:5]
	v_cmp_eq_f64_e64 s0, 0, v[6:7]
	s_mul_hi_u32 s1, s12, 0x1d0
	s_mul_i32 s2, s12, 0x1d0
	s_delay_alu instid0(VALU_DEP_4) | instskip(NEXT) | instid1(VALU_DEP_4)
	v_fma_f64 v[0:1], v[8:9], v[12:13], v[0:1]
	v_fma_f64 v[2:3], v[10:11], v[12:13], v[2:3]
	s_delay_alu instid0(VALU_DEP_3) | instskip(SKIP_2) | instid1(SALU_CYCLE_1)
	s_and_b32 s3, vcc_lo, s0
	s_mul_i32 s0, s13, 0x1d0
	s_and_saveexec_b32 s4, s3
	s_xor_b32 s3, exec_lo, s4
	s_cbranch_execz .LBB476_41
; %bb.40:
	s_add_i32 s5, s1, s0
	s_add_u32 s4, s8, s2
	s_addc_u32 s5, s9, s5
                                        ; implicit-def: $vgpr4_vgpr5
                                        ; implicit-def: $vgpr6_vgpr7
	global_store_b128 v17, v[0:3], s[4:5]
                                        ; implicit-def: $vgpr17
                                        ; implicit-def: $vgpr0_vgpr1
.LBB476_41:
	s_and_not1_saveexec_b32 s3, s3
	s_cbranch_execz .LBB476_43
; %bb.42:
	s_add_i32 s1, s1, s0
	s_add_u32 s0, s8, s2
	s_addc_u32 s1, s9, s1
	global_load_b128 v[8:11], v17, s[0:1]
	s_waitcnt vmcnt(0)
	v_fma_f64 v[0:1], v[4:5], v[8:9], v[0:1]
	v_fma_f64 v[2:3], v[6:7], v[8:9], v[2:3]
	s_delay_alu instid0(VALU_DEP_2) | instskip(NEXT) | instid1(VALU_DEP_2)
	v_fma_f64 v[0:1], -v[6:7], v[10:11], v[0:1]
	v_fma_f64 v[2:3], v[4:5], v[10:11], v[2:3]
	global_store_b128 v17, v[0:3], s[0:1]
.LBB476_43:
	s_nop 0
	s_sendmsg sendmsg(MSG_DEALLOC_VGPRS)
	s_endpgm
	.section	.rodata,"a",@progbits
	.p2align	6, 0x0
	.amdhsa_kernel _ZN9rocsparseL20bsrxmvn_17_32_kernelILj29E21rocsparse_complex_numIdElldS2_S2_EEvT2_20rocsparse_direction_NS_24const_host_device_scalarIT0_EES3_PKS3_PKT1_SC_S9_PKT3_PKT4_S7_PT5_21rocsparse_index_base_b
		.amdhsa_group_segment_fixed_size 26912
		.amdhsa_private_segment_fixed_size 0
		.amdhsa_kernarg_size 120
		.amdhsa_user_sgpr_count 15
		.amdhsa_user_sgpr_dispatch_ptr 1
		.amdhsa_user_sgpr_queue_ptr 0
		.amdhsa_user_sgpr_kernarg_segment_ptr 1
		.amdhsa_user_sgpr_dispatch_id 0
		.amdhsa_user_sgpr_private_segment_size 0
		.amdhsa_wavefront_size32 1
		.amdhsa_uses_dynamic_stack 0
		.amdhsa_enable_private_segment 0
		.amdhsa_system_sgpr_workgroup_id_x 1
		.amdhsa_system_sgpr_workgroup_id_y 0
		.amdhsa_system_sgpr_workgroup_id_z 0
		.amdhsa_system_sgpr_workgroup_info 0
		.amdhsa_system_vgpr_workitem_id 2
		.amdhsa_next_free_vgpr 25
		.amdhsa_next_free_sgpr 22
		.amdhsa_reserve_vcc 1
		.amdhsa_float_round_mode_32 0
		.amdhsa_float_round_mode_16_64 0
		.amdhsa_float_denorm_mode_32 3
		.amdhsa_float_denorm_mode_16_64 3
		.amdhsa_dx10_clamp 1
		.amdhsa_ieee_mode 1
		.amdhsa_fp16_overflow 0
		.amdhsa_workgroup_processor_mode 1
		.amdhsa_memory_ordered 1
		.amdhsa_forward_progress 0
		.amdhsa_shared_vgpr_count 0
		.amdhsa_exception_fp_ieee_invalid_op 0
		.amdhsa_exception_fp_denorm_src 0
		.amdhsa_exception_fp_ieee_div_zero 0
		.amdhsa_exception_fp_ieee_overflow 0
		.amdhsa_exception_fp_ieee_underflow 0
		.amdhsa_exception_fp_ieee_inexact 0
		.amdhsa_exception_int_div_zero 0
	.end_amdhsa_kernel
	.section	.text._ZN9rocsparseL20bsrxmvn_17_32_kernelILj29E21rocsparse_complex_numIdElldS2_S2_EEvT2_20rocsparse_direction_NS_24const_host_device_scalarIT0_EES3_PKS3_PKT1_SC_S9_PKT3_PKT4_S7_PT5_21rocsparse_index_base_b,"axG",@progbits,_ZN9rocsparseL20bsrxmvn_17_32_kernelILj29E21rocsparse_complex_numIdElldS2_S2_EEvT2_20rocsparse_direction_NS_24const_host_device_scalarIT0_EES3_PKS3_PKT1_SC_S9_PKT3_PKT4_S7_PT5_21rocsparse_index_base_b,comdat
.Lfunc_end476:
	.size	_ZN9rocsparseL20bsrxmvn_17_32_kernelILj29E21rocsparse_complex_numIdElldS2_S2_EEvT2_20rocsparse_direction_NS_24const_host_device_scalarIT0_EES3_PKS3_PKT1_SC_S9_PKT3_PKT4_S7_PT5_21rocsparse_index_base_b, .Lfunc_end476-_ZN9rocsparseL20bsrxmvn_17_32_kernelILj29E21rocsparse_complex_numIdElldS2_S2_EEvT2_20rocsparse_direction_NS_24const_host_device_scalarIT0_EES3_PKS3_PKT1_SC_S9_PKT3_PKT4_S7_PT5_21rocsparse_index_base_b
                                        ; -- End function
	.section	.AMDGPU.csdata,"",@progbits
; Kernel info:
; codeLenInByte = 2068
; NumSgprs: 24
; NumVgprs: 25
; ScratchSize: 0
; MemoryBound: 1
; FloatMode: 240
; IeeeMode: 1
; LDSByteSize: 26912 bytes/workgroup (compile time only)
; SGPRBlocks: 2
; VGPRBlocks: 3
; NumSGPRsForWavesPerEU: 24
; NumVGPRsForWavesPerEU: 25
; Occupancy: 14
; WaveLimiterHint : 1
; COMPUTE_PGM_RSRC2:SCRATCH_EN: 0
; COMPUTE_PGM_RSRC2:USER_SGPR: 15
; COMPUTE_PGM_RSRC2:TRAP_HANDLER: 0
; COMPUTE_PGM_RSRC2:TGID_X_EN: 1
; COMPUTE_PGM_RSRC2:TGID_Y_EN: 0
; COMPUTE_PGM_RSRC2:TGID_Z_EN: 0
; COMPUTE_PGM_RSRC2:TIDIG_COMP_CNT: 2
	.section	.text._ZN9rocsparseL20bsrxmvn_17_32_kernelILj30E21rocsparse_complex_numIdElldS2_S2_EEvT2_20rocsparse_direction_NS_24const_host_device_scalarIT0_EES3_PKS3_PKT1_SC_S9_PKT3_PKT4_S7_PT5_21rocsparse_index_base_b,"axG",@progbits,_ZN9rocsparseL20bsrxmvn_17_32_kernelILj30E21rocsparse_complex_numIdElldS2_S2_EEvT2_20rocsparse_direction_NS_24const_host_device_scalarIT0_EES3_PKS3_PKT1_SC_S9_PKT3_PKT4_S7_PT5_21rocsparse_index_base_b,comdat
	.globl	_ZN9rocsparseL20bsrxmvn_17_32_kernelILj30E21rocsparse_complex_numIdElldS2_S2_EEvT2_20rocsparse_direction_NS_24const_host_device_scalarIT0_EES3_PKS3_PKT1_SC_S9_PKT3_PKT4_S7_PT5_21rocsparse_index_base_b ; -- Begin function _ZN9rocsparseL20bsrxmvn_17_32_kernelILj30E21rocsparse_complex_numIdElldS2_S2_EEvT2_20rocsparse_direction_NS_24const_host_device_scalarIT0_EES3_PKS3_PKT1_SC_S9_PKT3_PKT4_S7_PT5_21rocsparse_index_base_b
	.p2align	8
	.type	_ZN9rocsparseL20bsrxmvn_17_32_kernelILj30E21rocsparse_complex_numIdElldS2_S2_EEvT2_20rocsparse_direction_NS_24const_host_device_scalarIT0_EES3_PKS3_PKT1_SC_S9_PKT3_PKT4_S7_PT5_21rocsparse_index_base_b,@function
_ZN9rocsparseL20bsrxmvn_17_32_kernelILj30E21rocsparse_complex_numIdElldS2_S2_EEvT2_20rocsparse_direction_NS_24const_host_device_scalarIT0_EES3_PKS3_PKT1_SC_S9_PKT3_PKT4_S7_PT5_21rocsparse_index_base_b: ; @_ZN9rocsparseL20bsrxmvn_17_32_kernelILj30E21rocsparse_complex_numIdElldS2_S2_EEvT2_20rocsparse_direction_NS_24const_host_device_scalarIT0_EES3_PKS3_PKT1_SC_S9_PKT3_PKT4_S7_PT5_21rocsparse_index_base_b
; %bb.0:
	s_mov_b32 s12, s15
	s_clause 0x1
	s_load_b64 s[14:15], s[2:3], 0x70
	s_load_b128 s[4:7], s[2:3], 0x10
	s_load_b64 s[16:17], s[0:1], 0x4
	s_mov_b64 s[0:1], src_shared_base
	v_and_b32_e32 v16, 0x3ff, v0
	s_load_b128 s[8:11], s[2:3], 0x58
	v_bfe_u32 v2, v0, 10, 10
	v_bfe_u32 v0, v0, 20, 10
	s_waitcnt lgkmcnt(0)
	s_bitcmp1_b32 s15, 0
	v_mov_b32_e32 v11, s7
	s_cselect_b32 s0, -1, 0
	v_mov_b32_e32 v10, s6
	s_and_b32 vcc_lo, s0, exec_lo
	s_cselect_b32 s13, s1, s5
	s_lshr_b32 s15, s16, 16
	s_xor_b32 s6, s0, -1
	s_mul_i32 s15, s15, s17
	v_mov_b32_e32 v5, s13
	v_mul_lo_u32 v1, s15, v16
	s_delay_alu instid0(VALU_DEP_1) | instskip(SKIP_1) | instid1(VALU_DEP_2)
	v_mad_u32_u24 v1, v2, s17, v1
	v_dual_mov_b32 v2, s8 :: v_dual_mov_b32 v3, s9
	v_add_lshl_u32 v6, v1, v0, 3
	v_dual_mov_b32 v0, s4 :: v_dual_mov_b32 v1, s5
	ds_store_b64 v6, v[0:1] offset:21600
	ds_store_b64 v6, v[2:3] offset:14400
	v_add_nc_u32_e32 v4, 0x5460, v6
	v_add_nc_u32_e32 v0, 0x3840, v6
	s_delay_alu instid0(VALU_DEP_2)
	v_cndmask_b32_e64 v4, s4, v4, s0
	flat_load_b64 v[8:9], v[4:5]
	s_cbranch_vccnz .LBB477_2
; %bb.1:
	v_dual_mov_b32 v1, s4 :: v_dual_mov_b32 v2, s5
	flat_load_b64 v[10:11], v[1:2] offset:8
.LBB477_2:
	s_and_b32 s4, s0, exec_lo
	s_cselect_b32 s1, s1, s9
	v_cndmask_b32_e64 v0, s8, v0, s0
	v_dual_mov_b32 v1, s1 :: v_dual_mov_b32 v6, s10
	v_mov_b32_e32 v7, s11
	s_and_not1_b32 vcc_lo, exec_lo, s6
	flat_load_b64 v[4:5], v[0:1]
	s_cbranch_vccnz .LBB477_4
; %bb.3:
	v_dual_mov_b32 v0, s8 :: v_dual_mov_b32 v1, s9
	flat_load_b64 v[6:7], v[0:1] offset:8
.LBB477_4:
	s_waitcnt vmcnt(1) lgkmcnt(1)
	v_cmp_eq_f64_e32 vcc_lo, 0, v[8:9]
	v_cmp_eq_f64_e64 s0, 0, v[10:11]
	s_delay_alu instid0(VALU_DEP_1)
	s_and_b32 s4, vcc_lo, s0
	s_mov_b32 s0, -1
	s_and_saveexec_b32 s1, s4
	s_cbranch_execz .LBB477_6
; %bb.5:
	s_waitcnt vmcnt(0) lgkmcnt(0)
	v_cmp_neq_f64_e32 vcc_lo, 1.0, v[4:5]
	v_cmp_neq_f64_e64 s0, 0, v[6:7]
	s_delay_alu instid0(VALU_DEP_1) | instskip(NEXT) | instid1(SALU_CYCLE_1)
	s_or_b32 s0, vcc_lo, s0
	s_or_not1_b32 s0, s0, exec_lo
.LBB477_6:
	s_or_b32 exec_lo, exec_lo, s1
	s_and_saveexec_b32 s1, s0
	s_cbranch_execz .LBB477_43
; %bb.7:
	s_clause 0x1
	s_load_b128 s[4:7], s[2:3], 0x28
	s_load_b64 s[8:9], s[2:3], 0x38
	s_mov_b32 s13, 0
	s_delay_alu instid0(SALU_CYCLE_1)
	s_mov_b32 s15, s13
	s_waitcnt lgkmcnt(0)
	s_cmp_eq_u64 s[4:5], 0
	s_cbranch_scc1 .LBB477_9
; %bb.8:
	s_lshl_b64 s[0:1], s[12:13], 3
	s_delay_alu instid0(SALU_CYCLE_1)
	s_add_u32 s0, s4, s0
	s_addc_u32 s1, s5, s1
	s_load_b64 s[0:1], s[0:1], 0x0
	s_waitcnt lgkmcnt(0)
	s_sub_u32 s12, s0, s14
	s_subb_u32 s13, s1, 0
.LBB477_9:
	s_load_b32 s1, s[2:3], 0x8
	v_mul_u32_u24_e32 v0, 0x889, v16
	v_mov_b32_e32 v2, 0
	v_mov_b32_e32 v3, 0
	s_delay_alu instid0(VALU_DEP_3) | instskip(NEXT) | instid1(VALU_DEP_1)
	v_lshrrev_b32_e32 v12, 16, v0
	v_mul_lo_u16 v0, v12, 30
	s_delay_alu instid0(VALU_DEP_1) | instskip(NEXT) | instid1(VALU_DEP_4)
	v_sub_nc_u16 v18, v16, v0
	v_dual_mov_b32 v0, v2 :: v_dual_mov_b32 v1, v3
	s_waitcnt lgkmcnt(0)
	s_cmp_eq_u32 s1, 1
	s_cselect_b32 s0, -1, 0
	s_cmp_lg_u32 s1, 1
	s_cselect_b32 s18, -1, 0
	s_lshl_b64 s[4:5], s[12:13], 3
	s_delay_alu instid0(SALU_CYCLE_1)
	s_add_u32 s6, s6, s4
	s_addc_u32 s7, s7, s5
	s_add_u32 s1, s6, 8
	s_addc_u32 s10, s7, 0
	;; [unrolled: 2-line block ×3, first 2 shown]
	s_cmp_eq_u64 s[8:9], 0
	s_load_b64 s[8:9], s[2:3], 0x68
	s_cselect_b32 s5, s10, s5
	s_cselect_b32 s4, s1, s4
	s_load_b64 s[10:11], s[6:7], 0x0
	s_load_b64 s[16:17], s[4:5], 0x0
	s_waitcnt lgkmcnt(0)
	v_cmp_ge_i64_e64 s1, s[10:11], s[16:17]
	s_delay_alu instid0(VALU_DEP_1)
	s_and_b32 vcc_lo, exec_lo, s1
	s_cbranch_vccnz .LBB477_14
; %bb.10:
	s_clause 0x1
	s_load_b64 s[20:21], s[2:3], 0x50
	s_load_b128 s[4:7], s[2:3], 0x40
	v_and_b32_e32 v0, 0xffff, v18
	v_dual_mov_b32 v2, 0 :: v_dual_and_b32 v1, 0xffff, v12
	v_mov_b32_e32 v3, 0
	s_sub_u32 s2, s16, s14
	s_subb_u32 s3, s17, 0
	s_delay_alu instid0(VALU_DEP_2)
	v_cndmask_b32_e64 v0, v0, v1, s0
	s_sub_u32 s0, s10, s14
	s_subb_u32 s1, s11, 0
	s_mul_hi_u32 s16, s0, 0x1c20
	s_mul_i32 s17, s1, 0x1c20
	v_lshlrev_b32_e32 v0, 4, v0
	v_lshlrev_b32_e32 v14, 3, v16
	s_mul_i32 s19, s0, 0x1c20
	s_add_i32 s16, s16, s17
	s_waitcnt lgkmcnt(0)
	v_add_co_u32 v12, s17, s20, v0
	s_delay_alu instid0(VALU_DEP_1)
	v_add_co_ci_u32_e64 v13, null, s21, 0, s17
	s_add_u32 s17, s6, s19
	v_dual_mov_b32 v0, v2 :: v_dual_mov_b32 v1, v3
	s_addc_u32 s16, s7, s16
	s_lshl_b64 s[6:7], s[10:11], 3
	s_lshl_b64 s[10:11], s[14:15], 3
	v_add_co_u32 v14, s15, s17, v14
	s_delay_alu instid0(VALU_DEP_1)
	v_add_co_ci_u32_e64 v15, null, s16, 0, s15
	s_sub_u32 s6, s6, s10
	s_subb_u32 s7, s7, s11
	s_add_u32 s4, s4, s6
	s_addc_u32 s5, s5, s7
	s_set_inst_prefetch_distance 0x1
	s_branch .LBB477_12
	.p2align	6
.LBB477_11:                             ;   in Loop: Header=BB477_12 Depth=1
	s_add_u32 s0, s0, 1
	s_addc_u32 s1, s1, 0
	s_add_u32 s4, s4, 8
	v_cmp_lt_i64_e64 s6, s[0:1], s[2:3]
	s_addc_u32 s5, s5, 0
	s_delay_alu instid0(VALU_DEP_1)
	s_and_b32 vcc_lo, exec_lo, s6
	s_cbranch_vccz .LBB477_14
.LBB477_12:                             ; =>This Inner Loop Header: Depth=1
	v_cmp_ge_i64_e64 s6, s[0:1], s[2:3]
	s_delay_alu instid0(VALU_DEP_1)
	s_and_b32 vcc_lo, exec_lo, s6
	s_cbranch_vccnz .LBB477_11
; %bb.13:                               ;   in Loop: Header=BB477_12 Depth=1
	s_load_b64 s[6:7], s[4:5], 0x0
	s_waitcnt lgkmcnt(0)
	s_sub_u32 s6, s6, s14
	s_delay_alu instid0(SALU_CYCLE_1) | instskip(SKIP_1) | instid1(VALU_DEP_1)
	v_mad_u64_u32 v[19:20], null, 0x1e0, s6, v[12:13]
	s_subb_u32 s6, s7, 0
	v_mov_b32_e32 v17, v20
	s_delay_alu instid0(VALU_DEP_1)
	v_mad_u64_u32 v[20:21], null, 0x1e0, s6, v[17:18]
	global_load_b64 v[23:24], v[14:15], off
	global_load_b128 v[19:22], v[19:20], off
	v_add_co_u32 v14, vcc_lo, 0x1c20, v14
	v_add_co_ci_u32_e32 v15, vcc_lo, 0, v15, vcc_lo
	s_waitcnt vmcnt(0)
	v_fma_f64 v[0:1], v[23:24], v[19:20], v[0:1]
	v_fma_f64 v[2:3], v[19:20], 0, v[2:3]
	s_delay_alu instid0(VALU_DEP_2) | instskip(NEXT) | instid1(VALU_DEP_2)
	v_fma_f64 v[0:1], 0x80000000, v[21:22], v[0:1]
	v_fma_f64 v[2:3], v[23:24], v[21:22], v[2:3]
	s_branch .LBB477_11
.LBB477_14:
	s_set_inst_prefetch_distance 0x2
	v_lshlrev_b32_e32 v17, 4, v16
	s_and_b32 vcc_lo, exec_lo, s18
	ds_store_b128 v17, v[0:3]
	s_waitcnt vmcnt(0) lgkmcnt(0)
	s_barrier
	buffer_gl0_inv
	s_cbranch_vccz .LBB477_26
; %bb.15:
	s_mov_b32 s0, exec_lo
	v_cmpx_gt_u16_e32 14, v18
	s_cbranch_execz .LBB477_17
; %bb.16:
	ds_load_b128 v[12:15], v17 offset:256
	ds_load_b128 v[19:22], v17
	s_waitcnt lgkmcnt(0)
	v_add_f64 v[12:13], v[12:13], v[19:20]
	v_add_f64 v[14:15], v[14:15], v[21:22]
	ds_store_b128 v17, v[12:15]
.LBB477_17:
	s_or_b32 exec_lo, exec_lo, s0
	s_delay_alu instid0(SALU_CYCLE_1)
	s_mov_b32 s0, exec_lo
	s_waitcnt lgkmcnt(0)
	s_barrier
	buffer_gl0_inv
	v_cmpx_gt_u16_e32 8, v18
	s_cbranch_execz .LBB477_19
; %bb.18:
	ds_load_b128 v[12:15], v17 offset:128
	ds_load_b128 v[19:22], v17
	s_waitcnt lgkmcnt(0)
	v_add_f64 v[12:13], v[12:13], v[19:20]
	v_add_f64 v[14:15], v[14:15], v[21:22]
	ds_store_b128 v17, v[12:15]
.LBB477_19:
	s_or_b32 exec_lo, exec_lo, s0
	s_delay_alu instid0(SALU_CYCLE_1)
	s_mov_b32 s0, exec_lo
	s_waitcnt lgkmcnt(0)
	s_barrier
	buffer_gl0_inv
	;; [unrolled: 16-line block ×3, first 2 shown]
	v_cmpx_gt_u16_e32 2, v18
	s_cbranch_execz .LBB477_23
; %bb.22:
	ds_load_b128 v[12:15], v17
	ds_load_b128 v[18:21], v17 offset:32
	s_waitcnt lgkmcnt(0)
	v_add_f64 v[12:13], v[18:19], v[12:13]
	v_add_f64 v[14:15], v[20:21], v[14:15]
	ds_store_b128 v17, v[12:15]
.LBB477_23:
	s_or_b32 exec_lo, exec_lo, s0
	v_dual_mov_b32 v15, v3 :: v_dual_mov_b32 v14, v2
	v_dual_mov_b32 v13, v1 :: v_dual_mov_b32 v12, v0
	s_mov_b32 s0, exec_lo
	s_waitcnt lgkmcnt(0)
	s_barrier
	buffer_gl0_inv
	v_cmpx_gt_u32_e32 30, v16
	s_cbranch_execz .LBB477_25
; %bb.24:
	v_mul_u32_u24_e32 v12, 30, v16
	s_delay_alu instid0(VALU_DEP_1)
	v_lshlrev_b32_e32 v18, 4, v12
	ds_load_b128 v[12:15], v18
	ds_load_b128 v[18:21], v18 offset:16
	s_waitcnt lgkmcnt(0)
	v_add_f64 v[12:13], v[18:19], v[12:13]
	v_add_f64 v[14:15], v[20:21], v[14:15]
.LBB477_25:
	s_or_b32 exec_lo, exec_lo, s0
	s_branch .LBB477_38
.LBB477_26:
                                        ; implicit-def: $vgpr14_vgpr15
                                        ; implicit-def: $vgpr12_vgpr13
	s_cbranch_execz .LBB477_38
; %bb.27:
	s_mov_b32 s0, exec_lo
	v_cmpx_gt_u32_e32 0x1a4, v16
	s_cbranch_execz .LBB477_29
; %bb.28:
	ds_load_b128 v[12:15], v17 offset:7680
	ds_load_b128 v[18:21], v17
	s_waitcnt lgkmcnt(0)
	v_add_f64 v[12:13], v[12:13], v[18:19]
	v_add_f64 v[14:15], v[14:15], v[20:21]
	ds_store_b128 v17, v[12:15]
.LBB477_29:
	s_or_b32 exec_lo, exec_lo, s0
	s_delay_alu instid0(SALU_CYCLE_1)
	s_mov_b32 s0, exec_lo
	s_waitcnt lgkmcnt(0)
	s_barrier
	buffer_gl0_inv
	v_cmpx_gt_u32_e32 0xf0, v16
	s_cbranch_execz .LBB477_31
; %bb.30:
	ds_load_b128 v[12:15], v17 offset:3840
	ds_load_b128 v[18:21], v17
	s_waitcnt lgkmcnt(0)
	v_add_f64 v[12:13], v[12:13], v[18:19]
	v_add_f64 v[14:15], v[14:15], v[20:21]
	ds_store_b128 v17, v[12:15]
.LBB477_31:
	s_or_b32 exec_lo, exec_lo, s0
	s_delay_alu instid0(SALU_CYCLE_1)
	s_mov_b32 s0, exec_lo
	s_waitcnt lgkmcnt(0)
	s_barrier
	buffer_gl0_inv
	;; [unrolled: 16-line block ×3, first 2 shown]
	v_cmpx_gt_u32_e32 60, v16
	s_cbranch_execz .LBB477_35
; %bb.34:
	ds_load_b128 v[12:15], v17 offset:960
	ds_load_b128 v[18:21], v17
	s_waitcnt lgkmcnt(0)
	v_add_f64 v[12:13], v[12:13], v[18:19]
	v_add_f64 v[14:15], v[14:15], v[20:21]
	ds_store_b128 v17, v[12:15]
.LBB477_35:
	s_or_b32 exec_lo, exec_lo, s0
	s_delay_alu instid0(SALU_CYCLE_1)
	s_mov_b32 s0, exec_lo
	s_waitcnt lgkmcnt(0)
	buffer_gl0_inv
	v_cmpx_gt_u32_e32 30, v16
	s_cbranch_execz .LBB477_37
; %bb.36:
	ds_load_b128 v[0:3], v17 offset:480
	ds_load_b128 v[12:15], v17
	s_waitcnt lgkmcnt(0)
	v_add_f64 v[0:1], v[0:1], v[12:13]
	v_add_f64 v[2:3], v[2:3], v[14:15]
.LBB477_37:
	s_or_b32 exec_lo, exec_lo, s0
	s_delay_alu instid0(VALU_DEP_1) | instskip(NEXT) | instid1(VALU_DEP_3)
	v_dual_mov_b32 v15, v3 :: v_dual_mov_b32 v14, v2
	v_dual_mov_b32 v13, v1 :: v_dual_mov_b32 v12, v0
.LBB477_38:
	v_cmp_gt_u32_e32 vcc_lo, 30, v16
	s_and_b32 exec_lo, exec_lo, vcc_lo
	s_cbranch_execz .LBB477_43
; %bb.39:
	s_delay_alu instid0(VALU_DEP_2)
	v_mul_f64 v[0:1], v[14:15], -v[10:11]
	v_mul_f64 v[2:3], v[8:9], v[14:15]
	v_cmp_eq_f64_e32 vcc_lo, 0, v[4:5]
	v_cmp_eq_f64_e64 s0, 0, v[6:7]
	s_mul_hi_u32 s1, s12, 0x1e0
	s_mul_i32 s2, s12, 0x1e0
	s_delay_alu instid0(VALU_DEP_4) | instskip(NEXT) | instid1(VALU_DEP_4)
	v_fma_f64 v[0:1], v[8:9], v[12:13], v[0:1]
	v_fma_f64 v[2:3], v[10:11], v[12:13], v[2:3]
	s_delay_alu instid0(VALU_DEP_3) | instskip(SKIP_2) | instid1(SALU_CYCLE_1)
	s_and_b32 s3, vcc_lo, s0
	s_mul_i32 s0, s13, 0x1e0
	s_and_saveexec_b32 s4, s3
	s_xor_b32 s3, exec_lo, s4
	s_cbranch_execz .LBB477_41
; %bb.40:
	s_add_i32 s5, s1, s0
	s_add_u32 s4, s8, s2
	s_addc_u32 s5, s9, s5
                                        ; implicit-def: $vgpr4_vgpr5
                                        ; implicit-def: $vgpr6_vgpr7
	global_store_b128 v17, v[0:3], s[4:5]
                                        ; implicit-def: $vgpr17
                                        ; implicit-def: $vgpr0_vgpr1
.LBB477_41:
	s_and_not1_saveexec_b32 s3, s3
	s_cbranch_execz .LBB477_43
; %bb.42:
	s_add_i32 s1, s1, s0
	s_add_u32 s0, s8, s2
	s_addc_u32 s1, s9, s1
	global_load_b128 v[8:11], v17, s[0:1]
	s_waitcnt vmcnt(0)
	v_fma_f64 v[0:1], v[4:5], v[8:9], v[0:1]
	v_fma_f64 v[2:3], v[6:7], v[8:9], v[2:3]
	s_delay_alu instid0(VALU_DEP_2) | instskip(NEXT) | instid1(VALU_DEP_2)
	v_fma_f64 v[0:1], -v[6:7], v[10:11], v[0:1]
	v_fma_f64 v[2:3], v[4:5], v[10:11], v[2:3]
	global_store_b128 v17, v[0:3], s[0:1]
.LBB477_43:
	s_nop 0
	s_sendmsg sendmsg(MSG_DEALLOC_VGPRS)
	s_endpgm
	.section	.rodata,"a",@progbits
	.p2align	6, 0x0
	.amdhsa_kernel _ZN9rocsparseL20bsrxmvn_17_32_kernelILj30E21rocsparse_complex_numIdElldS2_S2_EEvT2_20rocsparse_direction_NS_24const_host_device_scalarIT0_EES3_PKS3_PKT1_SC_S9_PKT3_PKT4_S7_PT5_21rocsparse_index_base_b
		.amdhsa_group_segment_fixed_size 28800
		.amdhsa_private_segment_fixed_size 0
		.amdhsa_kernarg_size 120
		.amdhsa_user_sgpr_count 15
		.amdhsa_user_sgpr_dispatch_ptr 1
		.amdhsa_user_sgpr_queue_ptr 0
		.amdhsa_user_sgpr_kernarg_segment_ptr 1
		.amdhsa_user_sgpr_dispatch_id 0
		.amdhsa_user_sgpr_private_segment_size 0
		.amdhsa_wavefront_size32 1
		.amdhsa_uses_dynamic_stack 0
		.amdhsa_enable_private_segment 0
		.amdhsa_system_sgpr_workgroup_id_x 1
		.amdhsa_system_sgpr_workgroup_id_y 0
		.amdhsa_system_sgpr_workgroup_id_z 0
		.amdhsa_system_sgpr_workgroup_info 0
		.amdhsa_system_vgpr_workitem_id 2
		.amdhsa_next_free_vgpr 25
		.amdhsa_next_free_sgpr 22
		.amdhsa_reserve_vcc 1
		.amdhsa_float_round_mode_32 0
		.amdhsa_float_round_mode_16_64 0
		.amdhsa_float_denorm_mode_32 3
		.amdhsa_float_denorm_mode_16_64 3
		.amdhsa_dx10_clamp 1
		.amdhsa_ieee_mode 1
		.amdhsa_fp16_overflow 0
		.amdhsa_workgroup_processor_mode 1
		.amdhsa_memory_ordered 1
		.amdhsa_forward_progress 0
		.amdhsa_shared_vgpr_count 0
		.amdhsa_exception_fp_ieee_invalid_op 0
		.amdhsa_exception_fp_denorm_src 0
		.amdhsa_exception_fp_ieee_div_zero 0
		.amdhsa_exception_fp_ieee_overflow 0
		.amdhsa_exception_fp_ieee_underflow 0
		.amdhsa_exception_fp_ieee_inexact 0
		.amdhsa_exception_int_div_zero 0
	.end_amdhsa_kernel
	.section	.text._ZN9rocsparseL20bsrxmvn_17_32_kernelILj30E21rocsparse_complex_numIdElldS2_S2_EEvT2_20rocsparse_direction_NS_24const_host_device_scalarIT0_EES3_PKS3_PKT1_SC_S9_PKT3_PKT4_S7_PT5_21rocsparse_index_base_b,"axG",@progbits,_ZN9rocsparseL20bsrxmvn_17_32_kernelILj30E21rocsparse_complex_numIdElldS2_S2_EEvT2_20rocsparse_direction_NS_24const_host_device_scalarIT0_EES3_PKS3_PKT1_SC_S9_PKT3_PKT4_S7_PT5_21rocsparse_index_base_b,comdat
.Lfunc_end477:
	.size	_ZN9rocsparseL20bsrxmvn_17_32_kernelILj30E21rocsparse_complex_numIdElldS2_S2_EEvT2_20rocsparse_direction_NS_24const_host_device_scalarIT0_EES3_PKS3_PKT1_SC_S9_PKT3_PKT4_S7_PT5_21rocsparse_index_base_b, .Lfunc_end477-_ZN9rocsparseL20bsrxmvn_17_32_kernelILj30E21rocsparse_complex_numIdElldS2_S2_EEvT2_20rocsparse_direction_NS_24const_host_device_scalarIT0_EES3_PKS3_PKT1_SC_S9_PKT3_PKT4_S7_PT5_21rocsparse_index_base_b
                                        ; -- End function
	.section	.AMDGPU.csdata,"",@progbits
; Kernel info:
; codeLenInByte = 2068
; NumSgprs: 24
; NumVgprs: 25
; ScratchSize: 0
; MemoryBound: 1
; FloatMode: 240
; IeeeMode: 1
; LDSByteSize: 28800 bytes/workgroup (compile time only)
; SGPRBlocks: 2
; VGPRBlocks: 3
; NumSGPRsForWavesPerEU: 24
; NumVGPRsForWavesPerEU: 25
; Occupancy: 15
; WaveLimiterHint : 1
; COMPUTE_PGM_RSRC2:SCRATCH_EN: 0
; COMPUTE_PGM_RSRC2:USER_SGPR: 15
; COMPUTE_PGM_RSRC2:TRAP_HANDLER: 0
; COMPUTE_PGM_RSRC2:TGID_X_EN: 1
; COMPUTE_PGM_RSRC2:TGID_Y_EN: 0
; COMPUTE_PGM_RSRC2:TGID_Z_EN: 0
; COMPUTE_PGM_RSRC2:TIDIG_COMP_CNT: 2
	.section	.text._ZN9rocsparseL20bsrxmvn_17_32_kernelILj31E21rocsparse_complex_numIdElldS2_S2_EEvT2_20rocsparse_direction_NS_24const_host_device_scalarIT0_EES3_PKS3_PKT1_SC_S9_PKT3_PKT4_S7_PT5_21rocsparse_index_base_b,"axG",@progbits,_ZN9rocsparseL20bsrxmvn_17_32_kernelILj31E21rocsparse_complex_numIdElldS2_S2_EEvT2_20rocsparse_direction_NS_24const_host_device_scalarIT0_EES3_PKS3_PKT1_SC_S9_PKT3_PKT4_S7_PT5_21rocsparse_index_base_b,comdat
	.globl	_ZN9rocsparseL20bsrxmvn_17_32_kernelILj31E21rocsparse_complex_numIdElldS2_S2_EEvT2_20rocsparse_direction_NS_24const_host_device_scalarIT0_EES3_PKS3_PKT1_SC_S9_PKT3_PKT4_S7_PT5_21rocsparse_index_base_b ; -- Begin function _ZN9rocsparseL20bsrxmvn_17_32_kernelILj31E21rocsparse_complex_numIdElldS2_S2_EEvT2_20rocsparse_direction_NS_24const_host_device_scalarIT0_EES3_PKS3_PKT1_SC_S9_PKT3_PKT4_S7_PT5_21rocsparse_index_base_b
	.p2align	8
	.type	_ZN9rocsparseL20bsrxmvn_17_32_kernelILj31E21rocsparse_complex_numIdElldS2_S2_EEvT2_20rocsparse_direction_NS_24const_host_device_scalarIT0_EES3_PKS3_PKT1_SC_S9_PKT3_PKT4_S7_PT5_21rocsparse_index_base_b,@function
_ZN9rocsparseL20bsrxmvn_17_32_kernelILj31E21rocsparse_complex_numIdElldS2_S2_EEvT2_20rocsparse_direction_NS_24const_host_device_scalarIT0_EES3_PKS3_PKT1_SC_S9_PKT3_PKT4_S7_PT5_21rocsparse_index_base_b: ; @_ZN9rocsparseL20bsrxmvn_17_32_kernelILj31E21rocsparse_complex_numIdElldS2_S2_EEvT2_20rocsparse_direction_NS_24const_host_device_scalarIT0_EES3_PKS3_PKT1_SC_S9_PKT3_PKT4_S7_PT5_21rocsparse_index_base_b
; %bb.0:
	s_mov_b32 s12, s15
	s_clause 0x1
	s_load_b64 s[14:15], s[2:3], 0x70
	s_load_b128 s[4:7], s[2:3], 0x10
	s_load_b64 s[16:17], s[0:1], 0x4
	s_mov_b64 s[0:1], src_shared_base
	v_and_b32_e32 v16, 0x3ff, v0
	s_load_b128 s[8:11], s[2:3], 0x58
	v_bfe_u32 v2, v0, 10, 10
	v_bfe_u32 v0, v0, 20, 10
	s_waitcnt lgkmcnt(0)
	s_bitcmp1_b32 s15, 0
	v_mov_b32_e32 v11, s7
	s_cselect_b32 s0, -1, 0
	v_mov_b32_e32 v10, s6
	s_and_b32 vcc_lo, s0, exec_lo
	s_cselect_b32 s13, s1, s5
	s_lshr_b32 s15, s16, 16
	s_xor_b32 s6, s0, -1
	s_mul_i32 s15, s15, s17
	v_mov_b32_e32 v5, s13
	v_mul_lo_u32 v1, s15, v16
	s_delay_alu instid0(VALU_DEP_1) | instskip(SKIP_1) | instid1(VALU_DEP_2)
	v_mad_u32_u24 v1, v2, s17, v1
	v_dual_mov_b32 v2, s8 :: v_dual_mov_b32 v3, s9
	v_add_lshl_u32 v6, v1, v0, 3
	v_dual_mov_b32 v0, s4 :: v_dual_mov_b32 v1, s5
	ds_store_b64 v6, v[0:1] offset:23064
	ds_store_b64 v6, v[2:3] offset:15376
	v_add_nc_u32_e32 v4, 0x5a18, v6
	v_add_nc_u32_e32 v0, 0x3c10, v6
	s_delay_alu instid0(VALU_DEP_2)
	v_cndmask_b32_e64 v4, s4, v4, s0
	flat_load_b64 v[8:9], v[4:5]
	s_cbranch_vccnz .LBB478_2
; %bb.1:
	v_dual_mov_b32 v1, s4 :: v_dual_mov_b32 v2, s5
	flat_load_b64 v[10:11], v[1:2] offset:8
.LBB478_2:
	s_and_b32 s4, s0, exec_lo
	s_cselect_b32 s1, s1, s9
	v_cndmask_b32_e64 v0, s8, v0, s0
	v_dual_mov_b32 v1, s1 :: v_dual_mov_b32 v6, s10
	v_mov_b32_e32 v7, s11
	s_and_not1_b32 vcc_lo, exec_lo, s6
	flat_load_b64 v[4:5], v[0:1]
	s_cbranch_vccnz .LBB478_4
; %bb.3:
	v_dual_mov_b32 v0, s8 :: v_dual_mov_b32 v1, s9
	flat_load_b64 v[6:7], v[0:1] offset:8
.LBB478_4:
	s_waitcnt vmcnt(1) lgkmcnt(1)
	v_cmp_eq_f64_e32 vcc_lo, 0, v[8:9]
	v_cmp_eq_f64_e64 s0, 0, v[10:11]
	s_delay_alu instid0(VALU_DEP_1)
	s_and_b32 s4, vcc_lo, s0
	s_mov_b32 s0, -1
	s_and_saveexec_b32 s1, s4
	s_cbranch_execz .LBB478_6
; %bb.5:
	s_waitcnt vmcnt(0) lgkmcnt(0)
	v_cmp_neq_f64_e32 vcc_lo, 1.0, v[4:5]
	v_cmp_neq_f64_e64 s0, 0, v[6:7]
	s_delay_alu instid0(VALU_DEP_1) | instskip(NEXT) | instid1(SALU_CYCLE_1)
	s_or_b32 s0, vcc_lo, s0
	s_or_not1_b32 s0, s0, exec_lo
.LBB478_6:
	s_or_b32 exec_lo, exec_lo, s1
	s_and_saveexec_b32 s1, s0
	s_cbranch_execz .LBB478_43
; %bb.7:
	s_clause 0x1
	s_load_b128 s[4:7], s[2:3], 0x28
	s_load_b64 s[8:9], s[2:3], 0x38
	s_mov_b32 s13, 0
	s_delay_alu instid0(SALU_CYCLE_1)
	s_mov_b32 s15, s13
	s_waitcnt lgkmcnt(0)
	s_cmp_eq_u64 s[4:5], 0
	s_cbranch_scc1 .LBB478_9
; %bb.8:
	s_lshl_b64 s[0:1], s[12:13], 3
	s_delay_alu instid0(SALU_CYCLE_1)
	s_add_u32 s0, s4, s0
	s_addc_u32 s1, s5, s1
	s_load_b64 s[0:1], s[0:1], 0x0
	s_waitcnt lgkmcnt(0)
	s_sub_u32 s12, s0, s14
	s_subb_u32 s13, s1, 0
.LBB478_9:
	s_load_b32 s1, s[2:3], 0x8
	v_mul_u32_u24_e32 v0, 0x843, v16
	v_mov_b32_e32 v2, 0
	v_mov_b32_e32 v3, 0
	s_delay_alu instid0(VALU_DEP_3) | instskip(NEXT) | instid1(VALU_DEP_1)
	v_lshrrev_b32_e32 v12, 16, v0
	v_mul_lo_u16 v0, v12, 31
	s_delay_alu instid0(VALU_DEP_1) | instskip(NEXT) | instid1(VALU_DEP_4)
	v_sub_nc_u16 v18, v16, v0
	v_dual_mov_b32 v0, v2 :: v_dual_mov_b32 v1, v3
	s_waitcnt lgkmcnt(0)
	s_cmp_eq_u32 s1, 1
	s_cselect_b32 s0, -1, 0
	s_cmp_lg_u32 s1, 1
	s_cselect_b32 s18, -1, 0
	s_lshl_b64 s[4:5], s[12:13], 3
	s_delay_alu instid0(SALU_CYCLE_1)
	s_add_u32 s6, s6, s4
	s_addc_u32 s7, s7, s5
	s_add_u32 s1, s6, 8
	s_addc_u32 s10, s7, 0
	;; [unrolled: 2-line block ×3, first 2 shown]
	s_cmp_eq_u64 s[8:9], 0
	s_load_b64 s[8:9], s[2:3], 0x68
	s_cselect_b32 s5, s10, s5
	s_cselect_b32 s4, s1, s4
	s_load_b64 s[10:11], s[6:7], 0x0
	s_load_b64 s[16:17], s[4:5], 0x0
	s_waitcnt lgkmcnt(0)
	v_cmp_ge_i64_e64 s1, s[10:11], s[16:17]
	s_delay_alu instid0(VALU_DEP_1)
	s_and_b32 vcc_lo, exec_lo, s1
	s_cbranch_vccnz .LBB478_14
; %bb.10:
	s_clause 0x1
	s_load_b64 s[20:21], s[2:3], 0x50
	s_load_b128 s[4:7], s[2:3], 0x40
	v_and_b32_e32 v0, 0xffff, v18
	v_dual_mov_b32 v2, 0 :: v_dual_and_b32 v1, 0xffff, v12
	v_mov_b32_e32 v3, 0
	s_sub_u32 s2, s16, s14
	s_subb_u32 s3, s17, 0
	s_delay_alu instid0(VALU_DEP_2)
	v_cndmask_b32_e64 v0, v0, v1, s0
	s_sub_u32 s0, s10, s14
	s_subb_u32 s1, s11, 0
	s_mul_hi_u32 s16, s0, 0x1e08
	s_mul_i32 s17, s1, 0x1e08
	v_lshlrev_b32_e32 v0, 4, v0
	v_lshlrev_b32_e32 v14, 3, v16
	s_mul_i32 s19, s0, 0x1e08
	s_add_i32 s16, s16, s17
	s_waitcnt lgkmcnt(0)
	v_add_co_u32 v12, s17, s20, v0
	s_delay_alu instid0(VALU_DEP_1)
	v_add_co_ci_u32_e64 v13, null, s21, 0, s17
	s_add_u32 s17, s6, s19
	v_dual_mov_b32 v0, v2 :: v_dual_mov_b32 v1, v3
	s_addc_u32 s16, s7, s16
	s_lshl_b64 s[6:7], s[10:11], 3
	s_lshl_b64 s[10:11], s[14:15], 3
	v_add_co_u32 v14, s15, s17, v14
	s_delay_alu instid0(VALU_DEP_1)
	v_add_co_ci_u32_e64 v15, null, s16, 0, s15
	s_sub_u32 s6, s6, s10
	s_subb_u32 s7, s7, s11
	s_add_u32 s4, s4, s6
	s_addc_u32 s5, s5, s7
	s_set_inst_prefetch_distance 0x1
	s_branch .LBB478_12
	.p2align	6
.LBB478_11:                             ;   in Loop: Header=BB478_12 Depth=1
	s_add_u32 s0, s0, 1
	s_addc_u32 s1, s1, 0
	s_add_u32 s4, s4, 8
	v_cmp_lt_i64_e64 s6, s[0:1], s[2:3]
	s_addc_u32 s5, s5, 0
	s_delay_alu instid0(VALU_DEP_1)
	s_and_b32 vcc_lo, exec_lo, s6
	s_cbranch_vccz .LBB478_14
.LBB478_12:                             ; =>This Inner Loop Header: Depth=1
	v_cmp_ge_i64_e64 s6, s[0:1], s[2:3]
	s_delay_alu instid0(VALU_DEP_1)
	s_and_b32 vcc_lo, exec_lo, s6
	s_cbranch_vccnz .LBB478_11
; %bb.13:                               ;   in Loop: Header=BB478_12 Depth=1
	s_load_b64 s[6:7], s[4:5], 0x0
	s_waitcnt lgkmcnt(0)
	s_sub_u32 s6, s6, s14
	s_delay_alu instid0(SALU_CYCLE_1) | instskip(SKIP_1) | instid1(VALU_DEP_1)
	v_mad_u64_u32 v[19:20], null, 0x1f0, s6, v[12:13]
	s_subb_u32 s6, s7, 0
	v_mov_b32_e32 v17, v20
	s_delay_alu instid0(VALU_DEP_1)
	v_mad_u64_u32 v[20:21], null, 0x1f0, s6, v[17:18]
	global_load_b64 v[23:24], v[14:15], off
	global_load_b128 v[19:22], v[19:20], off
	v_add_co_u32 v14, vcc_lo, 0x1e08, v14
	v_add_co_ci_u32_e32 v15, vcc_lo, 0, v15, vcc_lo
	s_waitcnt vmcnt(0)
	v_fma_f64 v[0:1], v[23:24], v[19:20], v[0:1]
	v_fma_f64 v[2:3], v[19:20], 0, v[2:3]
	s_delay_alu instid0(VALU_DEP_2) | instskip(NEXT) | instid1(VALU_DEP_2)
	v_fma_f64 v[0:1], 0x80000000, v[21:22], v[0:1]
	v_fma_f64 v[2:3], v[23:24], v[21:22], v[2:3]
	s_branch .LBB478_11
.LBB478_14:
	s_set_inst_prefetch_distance 0x2
	v_lshlrev_b32_e32 v17, 4, v16
	s_and_b32 vcc_lo, exec_lo, s18
	ds_store_b128 v17, v[0:3]
	s_waitcnt vmcnt(0) lgkmcnt(0)
	s_barrier
	buffer_gl0_inv
	s_cbranch_vccz .LBB478_26
; %bb.15:
	s_mov_b32 s0, exec_lo
	v_cmpx_gt_u16_e32 15, v18
	s_cbranch_execz .LBB478_17
; %bb.16:
	ds_load_b128 v[12:15], v17 offset:256
	ds_load_b128 v[19:22], v17
	s_waitcnt lgkmcnt(0)
	v_add_f64 v[12:13], v[12:13], v[19:20]
	v_add_f64 v[14:15], v[14:15], v[21:22]
	ds_store_b128 v17, v[12:15]
.LBB478_17:
	s_or_b32 exec_lo, exec_lo, s0
	s_delay_alu instid0(SALU_CYCLE_1)
	s_mov_b32 s0, exec_lo
	s_waitcnt lgkmcnt(0)
	s_barrier
	buffer_gl0_inv
	v_cmpx_gt_u16_e32 8, v18
	s_cbranch_execz .LBB478_19
; %bb.18:
	ds_load_b128 v[12:15], v17 offset:128
	ds_load_b128 v[19:22], v17
	s_waitcnt lgkmcnt(0)
	v_add_f64 v[12:13], v[12:13], v[19:20]
	v_add_f64 v[14:15], v[14:15], v[21:22]
	ds_store_b128 v17, v[12:15]
.LBB478_19:
	s_or_b32 exec_lo, exec_lo, s0
	s_delay_alu instid0(SALU_CYCLE_1)
	s_mov_b32 s0, exec_lo
	s_waitcnt lgkmcnt(0)
	s_barrier
	buffer_gl0_inv
	;; [unrolled: 16-line block ×3, first 2 shown]
	v_cmpx_gt_u16_e32 2, v18
	s_cbranch_execz .LBB478_23
; %bb.22:
	ds_load_b128 v[12:15], v17
	ds_load_b128 v[18:21], v17 offset:32
	s_waitcnt lgkmcnt(0)
	v_add_f64 v[12:13], v[18:19], v[12:13]
	v_add_f64 v[14:15], v[20:21], v[14:15]
	ds_store_b128 v17, v[12:15]
.LBB478_23:
	s_or_b32 exec_lo, exec_lo, s0
	v_dual_mov_b32 v15, v3 :: v_dual_mov_b32 v14, v2
	v_dual_mov_b32 v13, v1 :: v_dual_mov_b32 v12, v0
	s_mov_b32 s0, exec_lo
	s_waitcnt lgkmcnt(0)
	s_barrier
	buffer_gl0_inv
	v_cmpx_gt_u32_e32 31, v16
	s_cbranch_execz .LBB478_25
; %bb.24:
	v_mul_u32_u24_e32 v12, 31, v16
	s_delay_alu instid0(VALU_DEP_1)
	v_lshlrev_b32_e32 v18, 4, v12
	ds_load_b128 v[12:15], v18
	ds_load_b128 v[18:21], v18 offset:16
	s_waitcnt lgkmcnt(0)
	v_add_f64 v[12:13], v[18:19], v[12:13]
	v_add_f64 v[14:15], v[20:21], v[14:15]
.LBB478_25:
	s_or_b32 exec_lo, exec_lo, s0
	s_branch .LBB478_38
.LBB478_26:
                                        ; implicit-def: $vgpr14_vgpr15
                                        ; implicit-def: $vgpr12_vgpr13
	s_cbranch_execz .LBB478_38
; %bb.27:
	s_mov_b32 s0, exec_lo
	v_cmpx_gt_u32_e32 0x1d1, v16
	s_cbranch_execz .LBB478_29
; %bb.28:
	ds_load_b128 v[12:15], v17 offset:7936
	ds_load_b128 v[18:21], v17
	s_waitcnt lgkmcnt(0)
	v_add_f64 v[12:13], v[12:13], v[18:19]
	v_add_f64 v[14:15], v[14:15], v[20:21]
	ds_store_b128 v17, v[12:15]
.LBB478_29:
	s_or_b32 exec_lo, exec_lo, s0
	s_delay_alu instid0(SALU_CYCLE_1)
	s_mov_b32 s0, exec_lo
	s_waitcnt lgkmcnt(0)
	s_barrier
	buffer_gl0_inv
	v_cmpx_gt_u32_e32 0xf8, v16
	s_cbranch_execz .LBB478_31
; %bb.30:
	ds_load_b128 v[12:15], v17 offset:3968
	ds_load_b128 v[18:21], v17
	s_waitcnt lgkmcnt(0)
	v_add_f64 v[12:13], v[12:13], v[18:19]
	v_add_f64 v[14:15], v[14:15], v[20:21]
	ds_store_b128 v17, v[12:15]
.LBB478_31:
	s_or_b32 exec_lo, exec_lo, s0
	s_delay_alu instid0(SALU_CYCLE_1)
	s_mov_b32 s0, exec_lo
	s_waitcnt lgkmcnt(0)
	s_barrier
	buffer_gl0_inv
	;; [unrolled: 16-line block ×3, first 2 shown]
	v_cmpx_gt_u32_e32 62, v16
	s_cbranch_execz .LBB478_35
; %bb.34:
	ds_load_b128 v[12:15], v17 offset:992
	ds_load_b128 v[18:21], v17
	s_waitcnt lgkmcnt(0)
	v_add_f64 v[12:13], v[12:13], v[18:19]
	v_add_f64 v[14:15], v[14:15], v[20:21]
	ds_store_b128 v17, v[12:15]
.LBB478_35:
	s_or_b32 exec_lo, exec_lo, s0
	s_delay_alu instid0(SALU_CYCLE_1)
	s_mov_b32 s0, exec_lo
	s_waitcnt lgkmcnt(0)
	buffer_gl0_inv
	v_cmpx_gt_u32_e32 31, v16
	s_cbranch_execz .LBB478_37
; %bb.36:
	ds_load_b128 v[0:3], v17 offset:496
	ds_load_b128 v[12:15], v17
	s_waitcnt lgkmcnt(0)
	v_add_f64 v[0:1], v[0:1], v[12:13]
	v_add_f64 v[2:3], v[2:3], v[14:15]
.LBB478_37:
	s_or_b32 exec_lo, exec_lo, s0
	s_delay_alu instid0(VALU_DEP_1) | instskip(NEXT) | instid1(VALU_DEP_3)
	v_dual_mov_b32 v15, v3 :: v_dual_mov_b32 v14, v2
	v_dual_mov_b32 v13, v1 :: v_dual_mov_b32 v12, v0
.LBB478_38:
	v_cmp_gt_u32_e32 vcc_lo, 31, v16
	s_and_b32 exec_lo, exec_lo, vcc_lo
	s_cbranch_execz .LBB478_43
; %bb.39:
	s_delay_alu instid0(VALU_DEP_2)
	v_mul_f64 v[0:1], v[14:15], -v[10:11]
	v_mul_f64 v[2:3], v[8:9], v[14:15]
	v_cmp_eq_f64_e32 vcc_lo, 0, v[4:5]
	v_cmp_eq_f64_e64 s0, 0, v[6:7]
	s_mul_hi_u32 s1, s12, 0x1f0
	s_mul_i32 s2, s12, 0x1f0
	s_delay_alu instid0(VALU_DEP_4) | instskip(NEXT) | instid1(VALU_DEP_4)
	v_fma_f64 v[0:1], v[8:9], v[12:13], v[0:1]
	v_fma_f64 v[2:3], v[10:11], v[12:13], v[2:3]
	s_delay_alu instid0(VALU_DEP_3) | instskip(SKIP_2) | instid1(SALU_CYCLE_1)
	s_and_b32 s3, vcc_lo, s0
	s_mul_i32 s0, s13, 0x1f0
	s_and_saveexec_b32 s4, s3
	s_xor_b32 s3, exec_lo, s4
	s_cbranch_execz .LBB478_41
; %bb.40:
	s_add_i32 s5, s1, s0
	s_add_u32 s4, s8, s2
	s_addc_u32 s5, s9, s5
                                        ; implicit-def: $vgpr4_vgpr5
                                        ; implicit-def: $vgpr6_vgpr7
	global_store_b128 v17, v[0:3], s[4:5]
                                        ; implicit-def: $vgpr17
                                        ; implicit-def: $vgpr0_vgpr1
.LBB478_41:
	s_and_not1_saveexec_b32 s3, s3
	s_cbranch_execz .LBB478_43
; %bb.42:
	s_add_i32 s1, s1, s0
	s_add_u32 s0, s8, s2
	s_addc_u32 s1, s9, s1
	global_load_b128 v[8:11], v17, s[0:1]
	s_waitcnt vmcnt(0)
	v_fma_f64 v[0:1], v[4:5], v[8:9], v[0:1]
	v_fma_f64 v[2:3], v[6:7], v[8:9], v[2:3]
	s_delay_alu instid0(VALU_DEP_2) | instskip(NEXT) | instid1(VALU_DEP_2)
	v_fma_f64 v[0:1], -v[6:7], v[10:11], v[0:1]
	v_fma_f64 v[2:3], v[4:5], v[10:11], v[2:3]
	global_store_b128 v17, v[0:3], s[0:1]
.LBB478_43:
	s_nop 0
	s_sendmsg sendmsg(MSG_DEALLOC_VGPRS)
	s_endpgm
	.section	.rodata,"a",@progbits
	.p2align	6, 0x0
	.amdhsa_kernel _ZN9rocsparseL20bsrxmvn_17_32_kernelILj31E21rocsparse_complex_numIdElldS2_S2_EEvT2_20rocsparse_direction_NS_24const_host_device_scalarIT0_EES3_PKS3_PKT1_SC_S9_PKT3_PKT4_S7_PT5_21rocsparse_index_base_b
		.amdhsa_group_segment_fixed_size 30752
		.amdhsa_private_segment_fixed_size 0
		.amdhsa_kernarg_size 120
		.amdhsa_user_sgpr_count 15
		.amdhsa_user_sgpr_dispatch_ptr 1
		.amdhsa_user_sgpr_queue_ptr 0
		.amdhsa_user_sgpr_kernarg_segment_ptr 1
		.amdhsa_user_sgpr_dispatch_id 0
		.amdhsa_user_sgpr_private_segment_size 0
		.amdhsa_wavefront_size32 1
		.amdhsa_uses_dynamic_stack 0
		.amdhsa_enable_private_segment 0
		.amdhsa_system_sgpr_workgroup_id_x 1
		.amdhsa_system_sgpr_workgroup_id_y 0
		.amdhsa_system_sgpr_workgroup_id_z 0
		.amdhsa_system_sgpr_workgroup_info 0
		.amdhsa_system_vgpr_workitem_id 2
		.amdhsa_next_free_vgpr 25
		.amdhsa_next_free_sgpr 22
		.amdhsa_reserve_vcc 1
		.amdhsa_float_round_mode_32 0
		.amdhsa_float_round_mode_16_64 0
		.amdhsa_float_denorm_mode_32 3
		.amdhsa_float_denorm_mode_16_64 3
		.amdhsa_dx10_clamp 1
		.amdhsa_ieee_mode 1
		.amdhsa_fp16_overflow 0
		.amdhsa_workgroup_processor_mode 1
		.amdhsa_memory_ordered 1
		.amdhsa_forward_progress 0
		.amdhsa_shared_vgpr_count 0
		.amdhsa_exception_fp_ieee_invalid_op 0
		.amdhsa_exception_fp_denorm_src 0
		.amdhsa_exception_fp_ieee_div_zero 0
		.amdhsa_exception_fp_ieee_overflow 0
		.amdhsa_exception_fp_ieee_underflow 0
		.amdhsa_exception_fp_ieee_inexact 0
		.amdhsa_exception_int_div_zero 0
	.end_amdhsa_kernel
	.section	.text._ZN9rocsparseL20bsrxmvn_17_32_kernelILj31E21rocsparse_complex_numIdElldS2_S2_EEvT2_20rocsparse_direction_NS_24const_host_device_scalarIT0_EES3_PKS3_PKT1_SC_S9_PKT3_PKT4_S7_PT5_21rocsparse_index_base_b,"axG",@progbits,_ZN9rocsparseL20bsrxmvn_17_32_kernelILj31E21rocsparse_complex_numIdElldS2_S2_EEvT2_20rocsparse_direction_NS_24const_host_device_scalarIT0_EES3_PKS3_PKT1_SC_S9_PKT3_PKT4_S7_PT5_21rocsparse_index_base_b,comdat
.Lfunc_end478:
	.size	_ZN9rocsparseL20bsrxmvn_17_32_kernelILj31E21rocsparse_complex_numIdElldS2_S2_EEvT2_20rocsparse_direction_NS_24const_host_device_scalarIT0_EES3_PKS3_PKT1_SC_S9_PKT3_PKT4_S7_PT5_21rocsparse_index_base_b, .Lfunc_end478-_ZN9rocsparseL20bsrxmvn_17_32_kernelILj31E21rocsparse_complex_numIdElldS2_S2_EEvT2_20rocsparse_direction_NS_24const_host_device_scalarIT0_EES3_PKS3_PKT1_SC_S9_PKT3_PKT4_S7_PT5_21rocsparse_index_base_b
                                        ; -- End function
	.section	.AMDGPU.csdata,"",@progbits
; Kernel info:
; codeLenInByte = 2068
; NumSgprs: 24
; NumVgprs: 25
; ScratchSize: 0
; MemoryBound: 1
; FloatMode: 240
; IeeeMode: 1
; LDSByteSize: 30752 bytes/workgroup (compile time only)
; SGPRBlocks: 2
; VGPRBlocks: 3
; NumSGPRsForWavesPerEU: 24
; NumVGPRsForWavesPerEU: 25
; Occupancy: 16
; WaveLimiterHint : 1
; COMPUTE_PGM_RSRC2:SCRATCH_EN: 0
; COMPUTE_PGM_RSRC2:USER_SGPR: 15
; COMPUTE_PGM_RSRC2:TRAP_HANDLER: 0
; COMPUTE_PGM_RSRC2:TGID_X_EN: 1
; COMPUTE_PGM_RSRC2:TGID_Y_EN: 0
; COMPUTE_PGM_RSRC2:TGID_Z_EN: 0
; COMPUTE_PGM_RSRC2:TIDIG_COMP_CNT: 2
	.section	.text._ZN9rocsparseL20bsrxmvn_17_32_kernelILj32E21rocsparse_complex_numIdElldS2_S2_EEvT2_20rocsparse_direction_NS_24const_host_device_scalarIT0_EES3_PKS3_PKT1_SC_S9_PKT3_PKT4_S7_PT5_21rocsparse_index_base_b,"axG",@progbits,_ZN9rocsparseL20bsrxmvn_17_32_kernelILj32E21rocsparse_complex_numIdElldS2_S2_EEvT2_20rocsparse_direction_NS_24const_host_device_scalarIT0_EES3_PKS3_PKT1_SC_S9_PKT3_PKT4_S7_PT5_21rocsparse_index_base_b,comdat
	.globl	_ZN9rocsparseL20bsrxmvn_17_32_kernelILj32E21rocsparse_complex_numIdElldS2_S2_EEvT2_20rocsparse_direction_NS_24const_host_device_scalarIT0_EES3_PKS3_PKT1_SC_S9_PKT3_PKT4_S7_PT5_21rocsparse_index_base_b ; -- Begin function _ZN9rocsparseL20bsrxmvn_17_32_kernelILj32E21rocsparse_complex_numIdElldS2_S2_EEvT2_20rocsparse_direction_NS_24const_host_device_scalarIT0_EES3_PKS3_PKT1_SC_S9_PKT3_PKT4_S7_PT5_21rocsparse_index_base_b
	.p2align	8
	.type	_ZN9rocsparseL20bsrxmvn_17_32_kernelILj32E21rocsparse_complex_numIdElldS2_S2_EEvT2_20rocsparse_direction_NS_24const_host_device_scalarIT0_EES3_PKS3_PKT1_SC_S9_PKT3_PKT4_S7_PT5_21rocsparse_index_base_b,@function
_ZN9rocsparseL20bsrxmvn_17_32_kernelILj32E21rocsparse_complex_numIdElldS2_S2_EEvT2_20rocsparse_direction_NS_24const_host_device_scalarIT0_EES3_PKS3_PKT1_SC_S9_PKT3_PKT4_S7_PT5_21rocsparse_index_base_b: ; @_ZN9rocsparseL20bsrxmvn_17_32_kernelILj32E21rocsparse_complex_numIdElldS2_S2_EEvT2_20rocsparse_direction_NS_24const_host_device_scalarIT0_EES3_PKS3_PKT1_SC_S9_PKT3_PKT4_S7_PT5_21rocsparse_index_base_b
; %bb.0:
	s_mov_b32 s12, s15
	s_clause 0x1
	s_load_b64 s[14:15], s[2:3], 0x70
	s_load_b128 s[4:7], s[2:3], 0x10
	s_load_b64 s[16:17], s[0:1], 0x4
	s_mov_b64 s[0:1], src_shared_base
	v_and_b32_e32 v16, 0x3ff, v0
	s_load_b128 s[8:11], s[2:3], 0x58
	v_bfe_u32 v2, v0, 10, 10
	v_bfe_u32 v0, v0, 20, 10
	s_waitcnt lgkmcnt(0)
	s_bitcmp1_b32 s15, 0
	v_mov_b32_e32 v11, s7
	s_cselect_b32 s0, -1, 0
	v_mov_b32_e32 v10, s6
	s_and_b32 vcc_lo, s0, exec_lo
	s_cselect_b32 s13, s1, s5
	s_lshr_b32 s15, s16, 16
	s_xor_b32 s6, s0, -1
	s_mul_i32 s15, s15, s17
	v_mov_b32_e32 v5, s13
	v_mul_lo_u32 v1, s15, v16
	s_delay_alu instid0(VALU_DEP_1) | instskip(SKIP_1) | instid1(VALU_DEP_2)
	v_mad_u32_u24 v1, v2, s17, v1
	v_dual_mov_b32 v2, s8 :: v_dual_mov_b32 v3, s9
	v_add_lshl_u32 v6, v1, v0, 3
	v_dual_mov_b32 v0, s4 :: v_dual_mov_b32 v1, s5
	s_delay_alu instid0(VALU_DEP_2)
	v_add_nc_u32_e32 v4, 0x6000, v6
	ds_store_2addr_stride64_b64 v6, v[2:3], v[0:1] offset0:32 offset1:48
	v_add_nc_u32_e32 v0, 0x4000, v6
	v_cndmask_b32_e64 v4, s4, v4, s0
	flat_load_b64 v[8:9], v[4:5]
	s_cbranch_vccnz .LBB479_2
; %bb.1:
	v_dual_mov_b32 v1, s4 :: v_dual_mov_b32 v2, s5
	flat_load_b64 v[10:11], v[1:2] offset:8
.LBB479_2:
	s_and_b32 s4, s0, exec_lo
	s_cselect_b32 s1, s1, s9
	v_cndmask_b32_e64 v0, s8, v0, s0
	v_dual_mov_b32 v1, s1 :: v_dual_mov_b32 v6, s10
	v_mov_b32_e32 v7, s11
	s_and_not1_b32 vcc_lo, exec_lo, s6
	flat_load_b64 v[4:5], v[0:1]
	s_cbranch_vccnz .LBB479_4
; %bb.3:
	v_dual_mov_b32 v0, s8 :: v_dual_mov_b32 v1, s9
	flat_load_b64 v[6:7], v[0:1] offset:8
.LBB479_4:
	s_waitcnt vmcnt(1) lgkmcnt(1)
	v_cmp_eq_f64_e32 vcc_lo, 0, v[8:9]
	v_cmp_eq_f64_e64 s0, 0, v[10:11]
	s_delay_alu instid0(VALU_DEP_1)
	s_and_b32 s4, vcc_lo, s0
	s_mov_b32 s0, -1
	s_and_saveexec_b32 s1, s4
	s_cbranch_execz .LBB479_6
; %bb.5:
	s_waitcnt vmcnt(0) lgkmcnt(0)
	v_cmp_neq_f64_e32 vcc_lo, 1.0, v[4:5]
	v_cmp_neq_f64_e64 s0, 0, v[6:7]
	s_delay_alu instid0(VALU_DEP_1) | instskip(NEXT) | instid1(SALU_CYCLE_1)
	s_or_b32 s0, vcc_lo, s0
	s_or_not1_b32 s0, s0, exec_lo
.LBB479_6:
	s_or_b32 exec_lo, exec_lo, s1
	s_and_saveexec_b32 s1, s0
	s_cbranch_execz .LBB479_41
; %bb.7:
	s_clause 0x1
	s_load_b128 s[4:7], s[2:3], 0x28
	s_load_b64 s[8:9], s[2:3], 0x38
	s_mov_b32 s13, 0
	s_delay_alu instid0(SALU_CYCLE_1)
	s_mov_b32 s15, s13
	s_waitcnt lgkmcnt(0)
	s_cmp_eq_u64 s[4:5], 0
	s_cbranch_scc1 .LBB479_9
; %bb.8:
	s_lshl_b64 s[0:1], s[12:13], 3
	s_delay_alu instid0(SALU_CYCLE_1)
	s_add_u32 s0, s4, s0
	s_addc_u32 s1, s5, s1
	s_load_b64 s[0:1], s[0:1], 0x0
	s_waitcnt lgkmcnt(0)
	s_sub_u32 s12, s0, s14
	s_subb_u32 s13, s1, 0
.LBB479_9:
	s_load_b32 s1, s[2:3], 0x8
	v_mov_b32_e32 v2, 0
	v_dual_mov_b32 v3, 0 :: v_dual_and_b32 v14, 31, v16
	s_delay_alu instid0(VALU_DEP_1)
	v_dual_mov_b32 v0, v2 :: v_dual_mov_b32 v1, v3
	s_waitcnt lgkmcnt(0)
	s_cmp_eq_u32 s1, 1
	s_cselect_b32 s0, -1, 0
	s_cmp_lg_u32 s1, 1
	s_cselect_b32 s18, -1, 0
	s_lshl_b64 s[4:5], s[12:13], 3
	s_delay_alu instid0(SALU_CYCLE_1)
	s_add_u32 s6, s6, s4
	s_addc_u32 s7, s7, s5
	s_add_u32 s1, s6, 8
	s_addc_u32 s10, s7, 0
	;; [unrolled: 2-line block ×3, first 2 shown]
	s_cmp_eq_u64 s[8:9], 0
	s_cselect_b32 s5, s10, s5
	s_cselect_b32 s4, s1, s4
	s_load_b64 s[10:11], s[6:7], 0x0
	s_load_b64 s[16:17], s[4:5], 0x0
	;; [unrolled: 1-line block ×3, first 2 shown]
	s_waitcnt lgkmcnt(0)
	v_cmp_ge_i64_e64 s1, s[10:11], s[16:17]
	s_delay_alu instid0(VALU_DEP_1)
	s_and_b32 vcc_lo, exec_lo, s1
	s_cbranch_vccnz .LBB479_12
; %bb.10:
	s_clause 0x1
	s_load_b64 s[20:21], s[2:3], 0x50
	s_load_b128 s[4:7], s[2:3], 0x40
	v_lshrrev_b32_e32 v0, 5, v16
	s_sub_u32 s2, s16, s14
	s_subb_u32 s3, s17, 0
	s_delay_alu instid0(VALU_DEP_1) | instskip(SKIP_4) | instid1(SALU_CYCLE_1)
	v_cndmask_b32_e64 v0, v14, v0, s0
	s_sub_u32 s0, s10, s14
	s_subb_u32 s1, s11, 0
	s_lshl_b64 s[10:11], s[10:11], 3
	s_lshl_b64 s[16:17], s[0:1], 13
	v_dual_mov_b32 v2, 0 :: v_dual_mov_b32 v13, s17
	v_dual_mov_b32 v3, 0 :: v_dual_lshlrev_b32 v0, 4, v0
	v_lshl_or_b32 v1, v16, 3, s16
	s_lshl_b64 s[22:23], s[14:15], 3
	s_waitcnt lgkmcnt(0)
	s_delay_alu instid0(VALU_DEP_2) | instskip(NEXT) | instid1(VALU_DEP_2)
	v_add_co_u32 v15, s15, s20, v0
	v_add_co_u32 v12, vcc_lo, s6, v1
	v_add_co_ci_u32_e64 v17, null, s21, 0, s15
	v_add_co_ci_u32_e32 v13, vcc_lo, s7, v13, vcc_lo
	s_sub_u32 s6, s10, s22
	v_dual_mov_b32 v0, v2 :: v_dual_mov_b32 v1, v3
	s_subb_u32 s7, s11, s23
	s_add_u32 s4, s4, s6
	s_addc_u32 s5, s5, s7
	s_set_inst_prefetch_distance 0x1
	.p2align	6
.LBB479_11:                             ; =>This Inner Loop Header: Depth=1
	s_load_b64 s[6:7], s[4:5], 0x0
	s_waitcnt lgkmcnt(0)
	s_sub_u32 s6, s6, s14
	s_subb_u32 s7, s7, 0
	s_delay_alu instid0(SALU_CYCLE_1)
	s_lshl_b64 s[6:7], s[6:7], 9
	s_add_u32 s0, s0, 1
	v_add_co_u32 v18, vcc_lo, v15, s6
	v_add_co_ci_u32_e32 v19, vcc_lo, s7, v17, vcc_lo
	s_addc_u32 s1, s1, 0
	s_add_u32 s4, s4, 8
	global_load_b64 v[22:23], v[12:13], off
	global_load_b128 v[18:21], v[18:19], off
	v_cmp_lt_i64_e64 s6, s[0:1], s[2:3]
	v_add_co_u32 v12, vcc_lo, 0x2000, v12
	v_add_co_ci_u32_e32 v13, vcc_lo, 0, v13, vcc_lo
	s_addc_u32 s5, s5, 0
	s_delay_alu instid0(VALU_DEP_3) | instskip(SKIP_3) | instid1(VALU_DEP_2)
	s_and_b32 vcc_lo, exec_lo, s6
	s_waitcnt vmcnt(0)
	v_fma_f64 v[0:1], v[22:23], v[18:19], v[0:1]
	v_fma_f64 v[2:3], v[18:19], 0, v[2:3]
	v_fma_f64 v[0:1], 0x80000000, v[20:21], v[0:1]
	s_delay_alu instid0(VALU_DEP_2)
	v_fma_f64 v[2:3], v[22:23], v[20:21], v[2:3]
	s_cbranch_vccnz .LBB479_11
.LBB479_12:
	s_set_inst_prefetch_distance 0x2
	v_lshlrev_b32_e32 v17, 4, v16
	s_and_b32 vcc_lo, exec_lo, s18
	ds_store_b128 v17, v[0:3]
	s_waitcnt vmcnt(0) lgkmcnt(0)
	s_barrier
	buffer_gl0_inv
	s_cbranch_vccz .LBB479_24
; %bb.13:
	s_mov_b32 s0, exec_lo
	v_cmpx_gt_u32_e32 16, v14
	s_cbranch_execz .LBB479_15
; %bb.14:
	ds_load_b128 v[18:21], v17 offset:256
	ds_load_b128 v[22:25], v17
	s_waitcnt lgkmcnt(0)
	v_add_f64 v[18:19], v[18:19], v[22:23]
	v_add_f64 v[20:21], v[20:21], v[24:25]
	ds_store_b128 v17, v[18:21]
.LBB479_15:
	s_or_b32 exec_lo, exec_lo, s0
	s_delay_alu instid0(SALU_CYCLE_1)
	s_mov_b32 s0, exec_lo
	s_waitcnt lgkmcnt(0)
	s_barrier
	buffer_gl0_inv
	v_cmpx_gt_u32_e32 8, v14
	s_cbranch_execz .LBB479_17
; %bb.16:
	ds_load_b128 v[18:21], v17 offset:128
	ds_load_b128 v[22:25], v17
	s_waitcnt lgkmcnt(0)
	v_add_f64 v[18:19], v[18:19], v[22:23]
	v_add_f64 v[20:21], v[20:21], v[24:25]
	ds_store_b128 v17, v[18:21]
.LBB479_17:
	s_or_b32 exec_lo, exec_lo, s0
	s_delay_alu instid0(SALU_CYCLE_1)
	s_mov_b32 s0, exec_lo
	s_waitcnt lgkmcnt(0)
	s_barrier
	buffer_gl0_inv
	;; [unrolled: 16-line block ×3, first 2 shown]
	v_cmpx_gt_u32_e32 2, v14
	s_cbranch_execz .LBB479_21
; %bb.20:
	ds_load_b128 v[12:15], v17
	ds_load_b128 v[18:21], v17 offset:32
	s_waitcnt lgkmcnt(0)
	v_add_f64 v[12:13], v[18:19], v[12:13]
	v_add_f64 v[14:15], v[20:21], v[14:15]
	ds_store_b128 v17, v[12:15]
.LBB479_21:
	s_or_b32 exec_lo, exec_lo, s0
	v_dual_mov_b32 v15, v3 :: v_dual_mov_b32 v14, v2
	v_dual_mov_b32 v13, v1 :: v_dual_mov_b32 v12, v0
	s_mov_b32 s0, exec_lo
	s_waitcnt lgkmcnt(0)
	s_barrier
	buffer_gl0_inv
	v_cmpx_gt_u32_e32 32, v16
	s_cbranch_execz .LBB479_23
; %bb.22:
	v_mad_u32_u24 v18, 0x1f0, v16, v17
	ds_load_b128 v[12:15], v18
	ds_load_b128 v[18:21], v18 offset:16
	s_waitcnt lgkmcnt(0)
	v_add_f64 v[12:13], v[18:19], v[12:13]
	v_add_f64 v[14:15], v[20:21], v[14:15]
.LBB479_23:
	s_or_b32 exec_lo, exec_lo, s0
	s_branch .LBB479_36
.LBB479_24:
                                        ; implicit-def: $vgpr14_vgpr15
                                        ; implicit-def: $vgpr12_vgpr13
	s_cbranch_execz .LBB479_36
; %bb.25:
	s_mov_b32 s0, exec_lo
	v_cmpx_gt_u32_e32 0x200, v16
	s_cbranch_execz .LBB479_27
; %bb.26:
	ds_load_b128 v[12:15], v17 offset:8192
	ds_load_b128 v[18:21], v17
	s_waitcnt lgkmcnt(0)
	v_add_f64 v[12:13], v[12:13], v[18:19]
	v_add_f64 v[14:15], v[14:15], v[20:21]
	ds_store_b128 v17, v[12:15]
.LBB479_27:
	s_or_b32 exec_lo, exec_lo, s0
	s_delay_alu instid0(SALU_CYCLE_1)
	s_mov_b32 s0, exec_lo
	s_waitcnt lgkmcnt(0)
	s_barrier
	buffer_gl0_inv
	v_cmpx_gt_u32_e32 0x100, v16
	s_cbranch_execz .LBB479_29
; %bb.28:
	ds_load_b128 v[12:15], v17 offset:4096
	ds_load_b128 v[18:21], v17
	s_waitcnt lgkmcnt(0)
	v_add_f64 v[12:13], v[12:13], v[18:19]
	v_add_f64 v[14:15], v[14:15], v[20:21]
	ds_store_b128 v17, v[12:15]
.LBB479_29:
	s_or_b32 exec_lo, exec_lo, s0
	s_delay_alu instid0(SALU_CYCLE_1)
	s_mov_b32 s0, exec_lo
	s_waitcnt lgkmcnt(0)
	s_barrier
	buffer_gl0_inv
	;; [unrolled: 16-line block ×3, first 2 shown]
	v_cmpx_gt_u32_e32 64, v16
	s_cbranch_execz .LBB479_33
; %bb.32:
	ds_load_b128 v[12:15], v17 offset:1024
	ds_load_b128 v[18:21], v17
	s_waitcnt lgkmcnt(0)
	v_add_f64 v[12:13], v[12:13], v[18:19]
	v_add_f64 v[14:15], v[14:15], v[20:21]
	ds_store_b128 v17, v[12:15]
.LBB479_33:
	s_or_b32 exec_lo, exec_lo, s0
	s_delay_alu instid0(SALU_CYCLE_1)
	s_mov_b32 s0, exec_lo
	s_waitcnt lgkmcnt(0)
	buffer_gl0_inv
	v_cmpx_gt_u32_e32 32, v16
	s_cbranch_execz .LBB479_35
; %bb.34:
	ds_load_b128 v[0:3], v17 offset:512
	ds_load_b128 v[12:15], v17
	s_waitcnt lgkmcnt(0)
	v_add_f64 v[0:1], v[0:1], v[12:13]
	v_add_f64 v[2:3], v[2:3], v[14:15]
.LBB479_35:
	s_or_b32 exec_lo, exec_lo, s0
	s_delay_alu instid0(VALU_DEP_1) | instskip(NEXT) | instid1(VALU_DEP_3)
	v_dual_mov_b32 v15, v3 :: v_dual_mov_b32 v14, v2
	v_dual_mov_b32 v13, v1 :: v_dual_mov_b32 v12, v0
.LBB479_36:
	v_cmp_gt_u32_e32 vcc_lo, 32, v16
	s_and_b32 exec_lo, exec_lo, vcc_lo
	s_cbranch_execz .LBB479_41
; %bb.37:
	s_delay_alu instid0(VALU_DEP_2) | instskip(SKIP_3) | instid1(VALU_DEP_4)
	v_mul_f64 v[0:1], v[14:15], -v[10:11]
	v_mul_f64 v[2:3], v[8:9], v[14:15]
	v_cmp_eq_f64_e32 vcc_lo, 0, v[4:5]
	v_cmp_eq_f64_e64 s0, 0, v[6:7]
	v_fma_f64 v[0:1], v[8:9], v[12:13], v[0:1]
	s_delay_alu instid0(VALU_DEP_4) | instskip(NEXT) | instid1(VALU_DEP_3)
	v_fma_f64 v[2:3], v[10:11], v[12:13], v[2:3]
	s_and_b32 s0, vcc_lo, s0
	s_delay_alu instid0(SALU_CYCLE_1) | instskip(NEXT) | instid1(SALU_CYCLE_1)
	s_and_saveexec_b32 s1, s0
	s_xor_b32 s0, exec_lo, s1
	s_cbranch_execz .LBB479_39
; %bb.38:
	s_lshl_b64 s[2:3], s[12:13], 9
                                        ; implicit-def: $vgpr4_vgpr5
                                        ; implicit-def: $vgpr6_vgpr7
	s_delay_alu instid0(SALU_CYCLE_1)
	s_add_u32 s2, s8, s2
	s_addc_u32 s3, s9, s3
	global_store_b128 v17, v[0:3], s[2:3]
                                        ; implicit-def: $vgpr17
                                        ; implicit-def: $vgpr0_vgpr1
.LBB479_39:
	s_and_not1_saveexec_b32 s0, s0
	s_cbranch_execz .LBB479_41
; %bb.40:
	s_lshl_b64 s[0:1], s[12:13], 9
	s_delay_alu instid0(SALU_CYCLE_1)
	s_add_u32 s0, s8, s0
	s_addc_u32 s1, s9, s1
	global_load_b128 v[8:11], v17, s[0:1]
	s_waitcnt vmcnt(0)
	v_fma_f64 v[0:1], v[4:5], v[8:9], v[0:1]
	v_fma_f64 v[2:3], v[6:7], v[8:9], v[2:3]
	s_delay_alu instid0(VALU_DEP_2) | instskip(NEXT) | instid1(VALU_DEP_2)
	v_fma_f64 v[0:1], -v[6:7], v[10:11], v[0:1]
	v_fma_f64 v[2:3], v[4:5], v[10:11], v[2:3]
	global_store_b128 v17, v[0:3], s[0:1]
.LBB479_41:
	s_nop 0
	s_sendmsg sendmsg(MSG_DEALLOC_VGPRS)
	s_endpgm
	.section	.rodata,"a",@progbits
	.p2align	6, 0x0
	.amdhsa_kernel _ZN9rocsparseL20bsrxmvn_17_32_kernelILj32E21rocsparse_complex_numIdElldS2_S2_EEvT2_20rocsparse_direction_NS_24const_host_device_scalarIT0_EES3_PKS3_PKT1_SC_S9_PKT3_PKT4_S7_PT5_21rocsparse_index_base_b
		.amdhsa_group_segment_fixed_size 32768
		.amdhsa_private_segment_fixed_size 0
		.amdhsa_kernarg_size 120
		.amdhsa_user_sgpr_count 15
		.amdhsa_user_sgpr_dispatch_ptr 1
		.amdhsa_user_sgpr_queue_ptr 0
		.amdhsa_user_sgpr_kernarg_segment_ptr 1
		.amdhsa_user_sgpr_dispatch_id 0
		.amdhsa_user_sgpr_private_segment_size 0
		.amdhsa_wavefront_size32 1
		.amdhsa_uses_dynamic_stack 0
		.amdhsa_enable_private_segment 0
		.amdhsa_system_sgpr_workgroup_id_x 1
		.amdhsa_system_sgpr_workgroup_id_y 0
		.amdhsa_system_sgpr_workgroup_id_z 0
		.amdhsa_system_sgpr_workgroup_info 0
		.amdhsa_system_vgpr_workitem_id 2
		.amdhsa_next_free_vgpr 26
		.amdhsa_next_free_sgpr 24
		.amdhsa_reserve_vcc 1
		.amdhsa_float_round_mode_32 0
		.amdhsa_float_round_mode_16_64 0
		.amdhsa_float_denorm_mode_32 3
		.amdhsa_float_denorm_mode_16_64 3
		.amdhsa_dx10_clamp 1
		.amdhsa_ieee_mode 1
		.amdhsa_fp16_overflow 0
		.amdhsa_workgroup_processor_mode 1
		.amdhsa_memory_ordered 1
		.amdhsa_forward_progress 0
		.amdhsa_shared_vgpr_count 0
		.amdhsa_exception_fp_ieee_invalid_op 0
		.amdhsa_exception_fp_denorm_src 0
		.amdhsa_exception_fp_ieee_div_zero 0
		.amdhsa_exception_fp_ieee_overflow 0
		.amdhsa_exception_fp_ieee_underflow 0
		.amdhsa_exception_fp_ieee_inexact 0
		.amdhsa_exception_int_div_zero 0
	.end_amdhsa_kernel
	.section	.text._ZN9rocsparseL20bsrxmvn_17_32_kernelILj32E21rocsparse_complex_numIdElldS2_S2_EEvT2_20rocsparse_direction_NS_24const_host_device_scalarIT0_EES3_PKS3_PKT1_SC_S9_PKT3_PKT4_S7_PT5_21rocsparse_index_base_b,"axG",@progbits,_ZN9rocsparseL20bsrxmvn_17_32_kernelILj32E21rocsparse_complex_numIdElldS2_S2_EEvT2_20rocsparse_direction_NS_24const_host_device_scalarIT0_EES3_PKS3_PKT1_SC_S9_PKT3_PKT4_S7_PT5_21rocsparse_index_base_b,comdat
.Lfunc_end479:
	.size	_ZN9rocsparseL20bsrxmvn_17_32_kernelILj32E21rocsparse_complex_numIdElldS2_S2_EEvT2_20rocsparse_direction_NS_24const_host_device_scalarIT0_EES3_PKS3_PKT1_SC_S9_PKT3_PKT4_S7_PT5_21rocsparse_index_base_b, .Lfunc_end479-_ZN9rocsparseL20bsrxmvn_17_32_kernelILj32E21rocsparse_complex_numIdElldS2_S2_EEvT2_20rocsparse_direction_NS_24const_host_device_scalarIT0_EES3_PKS3_PKT1_SC_S9_PKT3_PKT4_S7_PT5_21rocsparse_index_base_b
                                        ; -- End function
	.section	.AMDGPU.csdata,"",@progbits
; Kernel info:
; codeLenInByte = 1928
; NumSgprs: 26
; NumVgprs: 26
; ScratchSize: 0
; MemoryBound: 0
; FloatMode: 240
; IeeeMode: 1
; LDSByteSize: 32768 bytes/workgroup (compile time only)
; SGPRBlocks: 3
; VGPRBlocks: 3
; NumSGPRsForWavesPerEU: 26
; NumVGPRsForWavesPerEU: 26
; Occupancy: 16
; WaveLimiterHint : 1
; COMPUTE_PGM_RSRC2:SCRATCH_EN: 0
; COMPUTE_PGM_RSRC2:USER_SGPR: 15
; COMPUTE_PGM_RSRC2:TRAP_HANDLER: 0
; COMPUTE_PGM_RSRC2:TGID_X_EN: 1
; COMPUTE_PGM_RSRC2:TGID_Y_EN: 0
; COMPUTE_PGM_RSRC2:TGID_Z_EN: 0
; COMPUTE_PGM_RSRC2:TIDIG_COMP_CNT: 2
	.section	.text._ZN9rocsparseL20bsrxmvn_17_32_kernelILj17EdiifddEEvT2_20rocsparse_direction_NS_24const_host_device_scalarIT0_EES1_PKS1_PKT1_SA_S7_PKT3_PKT4_S5_PT5_21rocsparse_index_base_b,"axG",@progbits,_ZN9rocsparseL20bsrxmvn_17_32_kernelILj17EdiifddEEvT2_20rocsparse_direction_NS_24const_host_device_scalarIT0_EES1_PKS1_PKT1_SA_S7_PKT3_PKT4_S5_PT5_21rocsparse_index_base_b,comdat
	.globl	_ZN9rocsparseL20bsrxmvn_17_32_kernelILj17EdiifddEEvT2_20rocsparse_direction_NS_24const_host_device_scalarIT0_EES1_PKS1_PKT1_SA_S7_PKT3_PKT4_S5_PT5_21rocsparse_index_base_b ; -- Begin function _ZN9rocsparseL20bsrxmvn_17_32_kernelILj17EdiifddEEvT2_20rocsparse_direction_NS_24const_host_device_scalarIT0_EES1_PKS1_PKT1_SA_S7_PKT3_PKT4_S5_PT5_21rocsparse_index_base_b
	.p2align	8
	.type	_ZN9rocsparseL20bsrxmvn_17_32_kernelILj17EdiifddEEvT2_20rocsparse_direction_NS_24const_host_device_scalarIT0_EES1_PKS1_PKT1_SA_S7_PKT3_PKT4_S5_PT5_21rocsparse_index_base_b,@function
_ZN9rocsparseL20bsrxmvn_17_32_kernelILj17EdiifddEEvT2_20rocsparse_direction_NS_24const_host_device_scalarIT0_EES1_PKS1_PKT1_SA_S7_PKT3_PKT4_S5_PT5_21rocsparse_index_base_b: ; @_ZN9rocsparseL20bsrxmvn_17_32_kernelILj17EdiifddEEvT2_20rocsparse_direction_NS_24const_host_device_scalarIT0_EES1_PKS1_PKT1_SA_S7_PKT3_PKT4_S5_PT5_21rocsparse_index_base_b
; %bb.0:
	s_clause 0x2
	s_load_b64 s[10:11], s[0:1], 0x58
	s_load_b64 s[4:5], s[0:1], 0x8
	;; [unrolled: 1-line block ×3, first 2 shown]
	s_mov_b32 s8, s15
	s_waitcnt lgkmcnt(0)
	s_bitcmp1_b32 s11, 0
	v_dual_mov_b32 v3, s4 :: v_dual_mov_b32 v4, s5
	s_cselect_b32 s6, -1, 0
	s_delay_alu instid0(SALU_CYCLE_1)
	s_and_b32 vcc_lo, exec_lo, s6
	s_xor_b32 s6, s6, -1
	s_cbranch_vccnz .LBB480_2
; %bb.1:
	v_dual_mov_b32 v1, s4 :: v_dual_mov_b32 v2, s5
	flat_load_b64 v[3:4], v[1:2]
.LBB480_2:
	v_dual_mov_b32 v1, s2 :: v_dual_mov_b32 v2, s3
	s_and_not1_b32 vcc_lo, exec_lo, s6
	s_cbranch_vccnz .LBB480_4
; %bb.3:
	v_dual_mov_b32 v1, s2 :: v_dual_mov_b32 v2, s3
	flat_load_b64 v[1:2], v[1:2]
.LBB480_4:
	s_waitcnt vmcnt(0) lgkmcnt(0)
	v_cmp_neq_f64_e32 vcc_lo, 0, v[3:4]
	v_cmp_neq_f64_e64 s2, 1.0, v[1:2]
	s_delay_alu instid0(VALU_DEP_1) | instskip(NEXT) | instid1(SALU_CYCLE_1)
	s_or_b32 s2, vcc_lo, s2
	s_and_saveexec_b32 s3, s2
	s_cbranch_execz .LBB480_38
; %bb.5:
	s_clause 0x1
	s_load_b128 s[4:7], s[0:1], 0x18
	s_load_b64 s[2:3], s[0:1], 0x28
	s_waitcnt lgkmcnt(0)
	s_cmp_eq_u64 s[4:5], 0
	s_cbranch_scc1 .LBB480_7
; %bb.6:
	s_ashr_i32 s9, s8, 31
	s_delay_alu instid0(SALU_CYCLE_1) | instskip(NEXT) | instid1(SALU_CYCLE_1)
	s_lshl_b64 s[8:9], s[8:9], 2
	s_add_u32 s4, s4, s8
	s_addc_u32 s5, s5, s9
	s_load_b32 s4, s[4:5], 0x0
	s_waitcnt lgkmcnt(0)
	s_sub_i32 s8, s4, s10
.LBB480_7:
	s_load_b32 s4, s[0:1], 0x4
	v_mul_u32_u24_e32 v5, 0xf10, v0
	s_delay_alu instid0(VALU_DEP_1) | instskip(SKIP_2) | instid1(VALU_DEP_3)
	v_lshrrev_b32_e32 v7, 16, v5
	v_mov_b32_e32 v5, 0
	v_mov_b32_e32 v6, 0
	v_mul_lo_u16 v8, v7, 17
	s_delay_alu instid0(VALU_DEP_1)
	v_sub_nc_u16 v12, v0, v8
	s_waitcnt lgkmcnt(0)
	s_cmp_eq_u32 s4, 1
	s_cselect_b32 vcc_lo, -1, 0
	s_cmp_lg_u32 s4, 1
	s_cselect_b32 s11, -1, 0
	s_ashr_i32 s9, s8, 31
	s_delay_alu instid0(SALU_CYCLE_1) | instskip(NEXT) | instid1(SALU_CYCLE_1)
	s_lshl_b64 s[4:5], s[8:9], 2
	s_add_u32 s6, s6, s4
	s_addc_u32 s7, s7, s5
	s_add_u32 s9, s6, 4
	s_addc_u32 s12, s7, 0
	;; [unrolled: 2-line block ×3, first 2 shown]
	s_cmp_eq_u64 s[2:3], 0
	s_cselect_b32 s3, s12, s5
	s_cselect_b32 s2, s9, s4
	s_load_b32 s12, s[6:7], 0x0
	s_load_b32 s9, s[2:3], 0x0
	s_load_b64 s[2:3], s[0:1], 0x50
	s_waitcnt lgkmcnt(0)
	s_cmp_ge_i32 s12, s9
	s_cbranch_scc1 .LBB480_12
; %bb.8:
	v_mul_lo_u16 v5, v7, 31
	s_clause 0x1
	s_load_b128 s[4:7], s[0:1], 0x30
	s_load_b64 s[0:1], s[0:1], 0x40
	v_lshlrev_b32_e32 v8, 2, v0
	v_and_b32_e32 v9, 0xffff, v12
	v_lshrrev_b16 v5, 9, v5
	s_sub_i32 s12, s12, s10
	s_sub_i32 s9, s9, s10
	s_mul_i32 s14, s12, 0x484
	s_mul_hi_i32 s13, s12, 0x484
	v_mul_lo_u16 v5, v5, 17
	s_delay_alu instid0(VALU_DEP_1) | instskip(SKIP_1) | instid1(VALU_DEP_2)
	v_sub_nc_u16 v7, v7, v5
	v_mov_b32_e32 v5, 0
	v_dual_mov_b32 v6, 0 :: v_dual_and_b32 v11, 0xff, v7
	v_and_b32_e32 v10, 0xffff, v0
	s_waitcnt lgkmcnt(0)
	s_add_u32 s6, s6, s14
	s_addc_u32 s7, s7, s13
	v_add_co_u32 v7, s6, s6, v8
	v_cndmask_b32_e32 v9, v9, v11, vcc_lo
	v_mul_u32_u24_e32 v10, 0xe3, v10
	v_add_co_ci_u32_e64 v8, null, s7, 0, s6
	s_delay_alu instid0(VALU_DEP_2)
	v_lshrrev_b32_e32 v13, 16, v10
	s_set_inst_prefetch_distance 0x1
	s_branch .LBB480_10
	.p2align	6
.LBB480_9:                              ;   in Loop: Header=BB480_10 Depth=1
	s_or_b32 exec_lo, exec_lo, s6
	s_add_i32 s12, s12, 1
	s_delay_alu instid0(SALU_CYCLE_1)
	s_cmp_lt_i32 s12, s9
	s_cbranch_scc0 .LBB480_12
.LBB480_10:                             ; =>This Inner Loop Header: Depth=1
	s_delay_alu instid0(VALU_DEP_1) | instskip(SKIP_1) | instid1(VALU_DEP_1)
	v_add_nc_u32_e32 v10, s12, v13
	s_mov_b32 s6, exec_lo
	v_cmpx_gt_i32_e64 s9, v10
	s_cbranch_execz .LBB480_9
; %bb.11:                               ;   in Loop: Header=BB480_10 Depth=1
	v_ashrrev_i32_e32 v11, 31, v10
	s_delay_alu instid0(VALU_DEP_1) | instskip(NEXT) | instid1(VALU_DEP_1)
	v_lshlrev_b64 v[10:11], 2, v[10:11]
	v_add_co_u32 v10, vcc_lo, s4, v10
	s_delay_alu instid0(VALU_DEP_2) | instskip(SKIP_4) | instid1(VALU_DEP_1)
	v_add_co_ci_u32_e32 v11, vcc_lo, s5, v11, vcc_lo
	global_load_b32 v10, v[10:11], off
	global_load_b32 v14, v[7:8], off
	s_waitcnt vmcnt(1)
	v_subrev_nc_u32_e32 v15, s10, v10
	v_mad_u64_u32 v[10:11], null, v15, 17, v[9:10]
	s_waitcnt vmcnt(0)
	v_cvt_f64_f32_e32 v[14:15], v14
	s_delay_alu instid0(VALU_DEP_2) | instskip(NEXT) | instid1(VALU_DEP_1)
	v_ashrrev_i32_e32 v11, 31, v10
	v_lshlrev_b64 v[10:11], 3, v[10:11]
	s_delay_alu instid0(VALU_DEP_1) | instskip(NEXT) | instid1(VALU_DEP_2)
	v_add_co_u32 v10, vcc_lo, s0, v10
	v_add_co_ci_u32_e32 v11, vcc_lo, s1, v11, vcc_lo
	v_add_co_u32 v7, vcc_lo, 0x484, v7
	v_add_co_ci_u32_e32 v8, vcc_lo, 0, v8, vcc_lo
	global_load_b64 v[10:11], v[10:11], off
	s_waitcnt vmcnt(0)
	v_fma_f64 v[5:6], v[14:15], v[10:11], v[5:6]
	s_branch .LBB480_9
.LBB480_12:
	s_set_inst_prefetch_distance 0x2
	v_lshlrev_b32_e32 v7, 3, v0
	s_and_b32 vcc_lo, exec_lo, s11
	ds_store_b64 v7, v[5:6]
	s_waitcnt lgkmcnt(0)
	s_barrier
	buffer_gl0_inv
	s_cbranch_vccz .LBB480_24
; %bb.13:
	s_mov_b32 s0, exec_lo
	v_cmpx_eq_u16_e32 0, v12
	s_cbranch_execz .LBB480_15
; %bb.14:
	ds_load_2addr_b64 v[8:11], v7 offset1:16
	s_waitcnt lgkmcnt(0)
	v_add_f64 v[8:9], v[10:11], v[8:9]
	ds_store_b64 v7, v[8:9]
.LBB480_15:
	s_or_b32 exec_lo, exec_lo, s0
	s_delay_alu instid0(SALU_CYCLE_1)
	s_mov_b32 s0, exec_lo
	s_waitcnt lgkmcnt(0)
	s_barrier
	buffer_gl0_inv
	v_cmpx_gt_u16_e32 8, v12
	s_cbranch_execz .LBB480_17
; %bb.16:
	ds_load_2addr_b64 v[8:11], v7 offset1:8
	s_waitcnt lgkmcnt(0)
	v_add_f64 v[8:9], v[10:11], v[8:9]
	ds_store_b64 v7, v[8:9]
.LBB480_17:
	s_or_b32 exec_lo, exec_lo, s0
	s_delay_alu instid0(SALU_CYCLE_1)
	s_mov_b32 s0, exec_lo
	s_waitcnt lgkmcnt(0)
	s_barrier
	buffer_gl0_inv
	v_cmpx_gt_u16_e32 4, v12
	;; [unrolled: 14-line block ×3, first 2 shown]
	s_cbranch_execz .LBB480_21
; %bb.20:
	ds_load_2addr_b64 v[8:11], v7 offset1:2
	s_waitcnt lgkmcnt(0)
	v_add_f64 v[8:9], v[10:11], v[8:9]
	ds_store_b64 v7, v[8:9]
.LBB480_21:
	s_or_b32 exec_lo, exec_lo, s0
	s_mov_b32 s0, 0
	s_mov_b32 s1, 0
	s_mov_b32 s4, exec_lo
	s_waitcnt lgkmcnt(0)
	s_barrier
	buffer_gl0_inv
                                        ; implicit-def: $vgpr8
                                        ; implicit-def: $vgpr9
	v_cmpx_gt_u32_e32 17, v0
	s_xor_b32 s4, exec_lo, s4
; %bb.22:
	v_mad_u32_u24 v8, v0, 17, 1
	v_lshl_add_u32 v9, v0, 7, v7
	s_mov_b32 s1, exec_lo
; %bb.23:
	s_or_b32 exec_lo, exec_lo, s4
	s_delay_alu instid0(SALU_CYCLE_1)
	s_and_b32 vcc_lo, exec_lo, s0
	v_cmp_gt_u32_e64 s0, 17, v0
	s_cbranch_vccnz .LBB480_25
	s_branch .LBB480_36
.LBB480_24:
	s_mov_b32 s1, 0
                                        ; implicit-def: $vgpr8
                                        ; implicit-def: $vgpr9
	v_cmp_gt_u32_e64 s0, 17, v0
	s_cbranch_execz .LBB480_36
.LBB480_25:
	s_delay_alu instid0(VALU_DEP_1)
	s_and_saveexec_b32 s4, s0
	s_cbranch_execz .LBB480_27
; %bb.26:
	ds_load_b64 v[8:9], v7 offset:2176
	ds_load_b64 v[10:11], v7
	s_waitcnt lgkmcnt(0)
	v_add_f64 v[8:9], v[8:9], v[10:11]
	ds_store_b64 v7, v[8:9]
.LBB480_27:
	s_or_b32 exec_lo, exec_lo, s4
	s_delay_alu instid0(SALU_CYCLE_1)
	s_mov_b32 s4, exec_lo
	s_waitcnt lgkmcnt(0)
	s_barrier
	buffer_gl0_inv
	v_cmpx_gt_u32_e32 0x88, v0
	s_cbranch_execz .LBB480_29
; %bb.28:
	ds_load_2addr_b64 v[8:11], v7 offset1:136
	s_waitcnt lgkmcnt(0)
	v_add_f64 v[8:9], v[10:11], v[8:9]
	ds_store_b64 v7, v[8:9]
.LBB480_29:
	s_or_b32 exec_lo, exec_lo, s4
	s_delay_alu instid0(SALU_CYCLE_1)
	s_mov_b32 s4, exec_lo
	s_waitcnt lgkmcnt(0)
	s_barrier
	buffer_gl0_inv
	v_cmpx_gt_u32_e32 0x44, v0
	s_cbranch_execz .LBB480_31
; %bb.30:
	ds_load_2addr_b64 v[8:11], v7 offset1:68
	s_waitcnt lgkmcnt(0)
	v_add_f64 v[8:9], v[10:11], v[8:9]
	ds_store_b64 v7, v[8:9]
.LBB480_31:
	;; [unrolled: 14-line block ×3, first 2 shown]
	s_or_b32 exec_lo, exec_lo, s4
	s_waitcnt lgkmcnt(0)
	buffer_gl0_inv
                                        ; implicit-def: $vgpr8
	s_and_saveexec_b32 s4, s0
; %bb.34:
	v_add_nc_u32_e32 v8, 17, v0
	s_or_b32 s1, s1, exec_lo
                                        ; implicit-def: $vgpr5_vgpr6
; %bb.35:
	s_or_b32 exec_lo, exec_lo, s4
	v_mov_b32_e32 v9, v7
.LBB480_36:
	s_and_saveexec_b32 s0, s1
	s_cbranch_execnz .LBB480_39
; %bb.37:
	s_or_b32 exec_lo, exec_lo, s0
	v_cmp_gt_u32_e32 vcc_lo, 17, v0
	s_and_b32 exec_lo, exec_lo, vcc_lo
	s_cbranch_execnz .LBB480_40
.LBB480_38:
	s_nop 0
	s_sendmsg sendmsg(MSG_DEALLOC_VGPRS)
	s_endpgm
.LBB480_39:
	v_lshlrev_b32_e32 v7, 3, v8
	ds_load_b64 v[5:6], v9
	ds_load_b64 v[7:8], v7
	s_waitcnt lgkmcnt(0)
	v_add_f64 v[5:6], v[5:6], v[7:8]
	s_or_b32 exec_lo, exec_lo, s0
	v_cmp_gt_u32_e32 vcc_lo, 17, v0
	s_and_b32 exec_lo, exec_lo, vcc_lo
	s_cbranch_execz .LBB480_38
.LBB480_40:
	s_delay_alu instid0(VALU_DEP_2)
	v_mul_f64 v[3:4], v[3:4], v[5:6]
	s_mov_b32 s0, exec_lo
	v_cmpx_eq_f64_e32 0, v[1:2]
	s_xor_b32 s0, exec_lo, s0
	s_cbranch_execz .LBB480_42
; %bb.41:
	v_mad_u64_u32 v[1:2], null, s8, 17, v[0:1]
	v_mov_b32_e32 v2, 0
	s_delay_alu instid0(VALU_DEP_1) | instskip(NEXT) | instid1(VALU_DEP_1)
	v_lshlrev_b64 v[0:1], 3, v[1:2]
	v_add_co_u32 v0, vcc_lo, s2, v0
	s_delay_alu instid0(VALU_DEP_2)
	v_add_co_ci_u32_e32 v1, vcc_lo, s3, v1, vcc_lo
	global_store_b64 v[0:1], v[3:4], off
                                        ; implicit-def: $vgpr0
                                        ; implicit-def: $vgpr1_vgpr2
                                        ; implicit-def: $vgpr3_vgpr4
.LBB480_42:
	s_and_not1_saveexec_b32 s0, s0
	s_cbranch_execz .LBB480_38
; %bb.43:
	v_mad_u64_u32 v[5:6], null, s8, 17, v[0:1]
	v_mov_b32_e32 v6, 0
	s_delay_alu instid0(VALU_DEP_1) | instskip(NEXT) | instid1(VALU_DEP_1)
	v_lshlrev_b64 v[5:6], 3, v[5:6]
	v_add_co_u32 v5, vcc_lo, s2, v5
	s_delay_alu instid0(VALU_DEP_2)
	v_add_co_ci_u32_e32 v6, vcc_lo, s3, v6, vcc_lo
	global_load_b64 v[7:8], v[5:6], off
	s_waitcnt vmcnt(0)
	v_fma_f64 v[0:1], v[1:2], v[7:8], v[3:4]
	global_store_b64 v[5:6], v[0:1], off
	s_nop 0
	s_sendmsg sendmsg(MSG_DEALLOC_VGPRS)
	s_endpgm
	.section	.rodata,"a",@progbits
	.p2align	6, 0x0
	.amdhsa_kernel _ZN9rocsparseL20bsrxmvn_17_32_kernelILj17EdiifddEEvT2_20rocsparse_direction_NS_24const_host_device_scalarIT0_EES1_PKS1_PKT1_SA_S7_PKT3_PKT4_S5_PT5_21rocsparse_index_base_b
		.amdhsa_group_segment_fixed_size 2312
		.amdhsa_private_segment_fixed_size 0
		.amdhsa_kernarg_size 96
		.amdhsa_user_sgpr_count 15
		.amdhsa_user_sgpr_dispatch_ptr 0
		.amdhsa_user_sgpr_queue_ptr 0
		.amdhsa_user_sgpr_kernarg_segment_ptr 1
		.amdhsa_user_sgpr_dispatch_id 0
		.amdhsa_user_sgpr_private_segment_size 0
		.amdhsa_wavefront_size32 1
		.amdhsa_uses_dynamic_stack 0
		.amdhsa_enable_private_segment 0
		.amdhsa_system_sgpr_workgroup_id_x 1
		.amdhsa_system_sgpr_workgroup_id_y 0
		.amdhsa_system_sgpr_workgroup_id_z 0
		.amdhsa_system_sgpr_workgroup_info 0
		.amdhsa_system_vgpr_workitem_id 0
		.amdhsa_next_free_vgpr 16
		.amdhsa_next_free_sgpr 16
		.amdhsa_reserve_vcc 1
		.amdhsa_float_round_mode_32 0
		.amdhsa_float_round_mode_16_64 0
		.amdhsa_float_denorm_mode_32 3
		.amdhsa_float_denorm_mode_16_64 3
		.amdhsa_dx10_clamp 1
		.amdhsa_ieee_mode 1
		.amdhsa_fp16_overflow 0
		.amdhsa_workgroup_processor_mode 1
		.amdhsa_memory_ordered 1
		.amdhsa_forward_progress 0
		.amdhsa_shared_vgpr_count 0
		.amdhsa_exception_fp_ieee_invalid_op 0
		.amdhsa_exception_fp_denorm_src 0
		.amdhsa_exception_fp_ieee_div_zero 0
		.amdhsa_exception_fp_ieee_overflow 0
		.amdhsa_exception_fp_ieee_underflow 0
		.amdhsa_exception_fp_ieee_inexact 0
		.amdhsa_exception_int_div_zero 0
	.end_amdhsa_kernel
	.section	.text._ZN9rocsparseL20bsrxmvn_17_32_kernelILj17EdiifddEEvT2_20rocsparse_direction_NS_24const_host_device_scalarIT0_EES1_PKS1_PKT1_SA_S7_PKT3_PKT4_S5_PT5_21rocsparse_index_base_b,"axG",@progbits,_ZN9rocsparseL20bsrxmvn_17_32_kernelILj17EdiifddEEvT2_20rocsparse_direction_NS_24const_host_device_scalarIT0_EES1_PKS1_PKT1_SA_S7_PKT3_PKT4_S5_PT5_21rocsparse_index_base_b,comdat
.Lfunc_end480:
	.size	_ZN9rocsparseL20bsrxmvn_17_32_kernelILj17EdiifddEEvT2_20rocsparse_direction_NS_24const_host_device_scalarIT0_EES1_PKS1_PKT1_SA_S7_PKT3_PKT4_S5_PT5_21rocsparse_index_base_b, .Lfunc_end480-_ZN9rocsparseL20bsrxmvn_17_32_kernelILj17EdiifddEEvT2_20rocsparse_direction_NS_24const_host_device_scalarIT0_EES1_PKS1_PKT1_SA_S7_PKT3_PKT4_S5_PT5_21rocsparse_index_base_b
                                        ; -- End function
	.section	.AMDGPU.csdata,"",@progbits
; Kernel info:
; codeLenInByte = 1640
; NumSgprs: 18
; NumVgprs: 16
; ScratchSize: 0
; MemoryBound: 0
; FloatMode: 240
; IeeeMode: 1
; LDSByteSize: 2312 bytes/workgroup (compile time only)
; SGPRBlocks: 2
; VGPRBlocks: 1
; NumSGPRsForWavesPerEU: 18
; NumVGPRsForWavesPerEU: 16
; Occupancy: 15
; WaveLimiterHint : 1
; COMPUTE_PGM_RSRC2:SCRATCH_EN: 0
; COMPUTE_PGM_RSRC2:USER_SGPR: 15
; COMPUTE_PGM_RSRC2:TRAP_HANDLER: 0
; COMPUTE_PGM_RSRC2:TGID_X_EN: 1
; COMPUTE_PGM_RSRC2:TGID_Y_EN: 0
; COMPUTE_PGM_RSRC2:TGID_Z_EN: 0
; COMPUTE_PGM_RSRC2:TIDIG_COMP_CNT: 0
	.section	.text._ZN9rocsparseL20bsrxmvn_17_32_kernelILj18EdiifddEEvT2_20rocsparse_direction_NS_24const_host_device_scalarIT0_EES1_PKS1_PKT1_SA_S7_PKT3_PKT4_S5_PT5_21rocsparse_index_base_b,"axG",@progbits,_ZN9rocsparseL20bsrxmvn_17_32_kernelILj18EdiifddEEvT2_20rocsparse_direction_NS_24const_host_device_scalarIT0_EES1_PKS1_PKT1_SA_S7_PKT3_PKT4_S5_PT5_21rocsparse_index_base_b,comdat
	.globl	_ZN9rocsparseL20bsrxmvn_17_32_kernelILj18EdiifddEEvT2_20rocsparse_direction_NS_24const_host_device_scalarIT0_EES1_PKS1_PKT1_SA_S7_PKT3_PKT4_S5_PT5_21rocsparse_index_base_b ; -- Begin function _ZN9rocsparseL20bsrxmvn_17_32_kernelILj18EdiifddEEvT2_20rocsparse_direction_NS_24const_host_device_scalarIT0_EES1_PKS1_PKT1_SA_S7_PKT3_PKT4_S5_PT5_21rocsparse_index_base_b
	.p2align	8
	.type	_ZN9rocsparseL20bsrxmvn_17_32_kernelILj18EdiifddEEvT2_20rocsparse_direction_NS_24const_host_device_scalarIT0_EES1_PKS1_PKT1_SA_S7_PKT3_PKT4_S5_PT5_21rocsparse_index_base_b,@function
_ZN9rocsparseL20bsrxmvn_17_32_kernelILj18EdiifddEEvT2_20rocsparse_direction_NS_24const_host_device_scalarIT0_EES1_PKS1_PKT1_SA_S7_PKT3_PKT4_S5_PT5_21rocsparse_index_base_b: ; @_ZN9rocsparseL20bsrxmvn_17_32_kernelILj18EdiifddEEvT2_20rocsparse_direction_NS_24const_host_device_scalarIT0_EES1_PKS1_PKT1_SA_S7_PKT3_PKT4_S5_PT5_21rocsparse_index_base_b
; %bb.0:
	s_clause 0x2
	s_load_b64 s[10:11], s[0:1], 0x58
	s_load_b64 s[4:5], s[0:1], 0x8
	;; [unrolled: 1-line block ×3, first 2 shown]
	s_mov_b32 s8, s15
	s_waitcnt lgkmcnt(0)
	s_bitcmp1_b32 s11, 0
	v_dual_mov_b32 v3, s4 :: v_dual_mov_b32 v4, s5
	s_cselect_b32 s6, -1, 0
	s_delay_alu instid0(SALU_CYCLE_1)
	s_and_b32 vcc_lo, exec_lo, s6
	s_xor_b32 s6, s6, -1
	s_cbranch_vccnz .LBB481_2
; %bb.1:
	v_dual_mov_b32 v1, s4 :: v_dual_mov_b32 v2, s5
	flat_load_b64 v[3:4], v[1:2]
.LBB481_2:
	v_dual_mov_b32 v1, s2 :: v_dual_mov_b32 v2, s3
	s_and_not1_b32 vcc_lo, exec_lo, s6
	s_cbranch_vccnz .LBB481_4
; %bb.3:
	v_dual_mov_b32 v1, s2 :: v_dual_mov_b32 v2, s3
	flat_load_b64 v[1:2], v[1:2]
.LBB481_4:
	s_waitcnt vmcnt(0) lgkmcnt(0)
	v_cmp_neq_f64_e32 vcc_lo, 0, v[3:4]
	v_cmp_neq_f64_e64 s2, 1.0, v[1:2]
	s_delay_alu instid0(VALU_DEP_1) | instskip(NEXT) | instid1(SALU_CYCLE_1)
	s_or_b32 s2, vcc_lo, s2
	s_and_saveexec_b32 s3, s2
	s_cbranch_execz .LBB481_38
; %bb.5:
	s_clause 0x1
	s_load_b128 s[4:7], s[0:1], 0x18
	s_load_b64 s[2:3], s[0:1], 0x28
	s_waitcnt lgkmcnt(0)
	s_cmp_eq_u64 s[4:5], 0
	s_cbranch_scc1 .LBB481_7
; %bb.6:
	s_ashr_i32 s9, s8, 31
	s_delay_alu instid0(SALU_CYCLE_1) | instskip(NEXT) | instid1(SALU_CYCLE_1)
	s_lshl_b64 s[8:9], s[8:9], 2
	s_add_u32 s4, s4, s8
	s_addc_u32 s5, s5, s9
	s_load_b32 s4, s[4:5], 0x0
	s_waitcnt lgkmcnt(0)
	s_sub_i32 s8, s4, s10
.LBB481_7:
	s_load_b32 s4, s[0:1], 0x4
	v_mul_u32_u24_e32 v5, 0xe39, v0
	s_delay_alu instid0(VALU_DEP_1) | instskip(SKIP_2) | instid1(VALU_DEP_3)
	v_lshrrev_b32_e32 v7, 16, v5
	v_mov_b32_e32 v5, 0
	v_mov_b32_e32 v6, 0
	v_mul_lo_u16 v8, v7, 18
	s_delay_alu instid0(VALU_DEP_1)
	v_sub_nc_u16 v12, v0, v8
	s_waitcnt lgkmcnt(0)
	s_cmp_eq_u32 s4, 1
	s_cselect_b32 vcc_lo, -1, 0
	s_cmp_lg_u32 s4, 1
	s_cselect_b32 s11, -1, 0
	s_ashr_i32 s9, s8, 31
	s_delay_alu instid0(SALU_CYCLE_1) | instskip(NEXT) | instid1(SALU_CYCLE_1)
	s_lshl_b64 s[4:5], s[8:9], 2
	s_add_u32 s6, s6, s4
	s_addc_u32 s7, s7, s5
	s_add_u32 s9, s6, 4
	s_addc_u32 s12, s7, 0
	;; [unrolled: 2-line block ×3, first 2 shown]
	s_cmp_eq_u64 s[2:3], 0
	s_cselect_b32 s3, s12, s5
	s_cselect_b32 s2, s9, s4
	s_load_b32 s12, s[6:7], 0x0
	s_load_b32 s9, s[2:3], 0x0
	s_load_b64 s[2:3], s[0:1], 0x50
	s_waitcnt lgkmcnt(0)
	s_cmp_ge_i32 s12, s9
	s_cbranch_scc1 .LBB481_12
; %bb.8:
	v_mul_lo_u16 v5, v7, 15
	s_clause 0x1
	s_load_b128 s[4:7], s[0:1], 0x30
	s_load_b64 s[0:1], s[0:1], 0x40
	v_lshlrev_b32_e32 v8, 2, v0
	v_and_b32_e32 v9, 0xffff, v12
	v_lshrrev_b16 v5, 8, v5
	s_sub_i32 s12, s12, s10
	s_sub_i32 s9, s9, s10
	s_mul_i32 s14, s12, 0x510
	s_mul_hi_i32 s13, s12, 0x510
	v_mul_lo_u16 v5, v5, 18
	s_delay_alu instid0(VALU_DEP_1) | instskip(SKIP_1) | instid1(VALU_DEP_2)
	v_sub_nc_u16 v7, v7, v5
	v_mov_b32_e32 v5, 0
	v_dual_mov_b32 v6, 0 :: v_dual_and_b32 v11, 0xff, v7
	v_and_b32_e32 v10, 0xffff, v0
	s_waitcnt lgkmcnt(0)
	s_add_u32 s6, s6, s14
	s_addc_u32 s7, s7, s13
	v_add_co_u32 v7, s6, s6, v8
	v_cndmask_b32_e32 v9, v9, v11, vcc_lo
	v_mul_u32_u24_e32 v10, 0x195, v10
	v_add_co_ci_u32_e64 v8, null, s7, 0, s6
	s_delay_alu instid0(VALU_DEP_2)
	v_lshrrev_b32_e32 v13, 17, v10
	s_set_inst_prefetch_distance 0x1
	s_branch .LBB481_10
	.p2align	6
.LBB481_9:                              ;   in Loop: Header=BB481_10 Depth=1
	s_or_b32 exec_lo, exec_lo, s6
	s_add_i32 s12, s12, 1
	s_delay_alu instid0(SALU_CYCLE_1)
	s_cmp_lt_i32 s12, s9
	s_cbranch_scc0 .LBB481_12
.LBB481_10:                             ; =>This Inner Loop Header: Depth=1
	s_delay_alu instid0(VALU_DEP_1) | instskip(SKIP_1) | instid1(VALU_DEP_1)
	v_add_nc_u32_e32 v10, s12, v13
	s_mov_b32 s6, exec_lo
	v_cmpx_gt_i32_e64 s9, v10
	s_cbranch_execz .LBB481_9
; %bb.11:                               ;   in Loop: Header=BB481_10 Depth=1
	v_ashrrev_i32_e32 v11, 31, v10
	s_delay_alu instid0(VALU_DEP_1) | instskip(NEXT) | instid1(VALU_DEP_1)
	v_lshlrev_b64 v[10:11], 2, v[10:11]
	v_add_co_u32 v10, vcc_lo, s4, v10
	s_delay_alu instid0(VALU_DEP_2) | instskip(SKIP_4) | instid1(VALU_DEP_1)
	v_add_co_ci_u32_e32 v11, vcc_lo, s5, v11, vcc_lo
	global_load_b32 v10, v[10:11], off
	global_load_b32 v14, v[7:8], off
	s_waitcnt vmcnt(1)
	v_subrev_nc_u32_e32 v15, s10, v10
	v_mad_u64_u32 v[10:11], null, v15, 18, v[9:10]
	s_waitcnt vmcnt(0)
	v_cvt_f64_f32_e32 v[14:15], v14
	s_delay_alu instid0(VALU_DEP_2) | instskip(NEXT) | instid1(VALU_DEP_1)
	v_ashrrev_i32_e32 v11, 31, v10
	v_lshlrev_b64 v[10:11], 3, v[10:11]
	s_delay_alu instid0(VALU_DEP_1) | instskip(NEXT) | instid1(VALU_DEP_2)
	v_add_co_u32 v10, vcc_lo, s0, v10
	v_add_co_ci_u32_e32 v11, vcc_lo, s1, v11, vcc_lo
	v_add_co_u32 v7, vcc_lo, 0x510, v7
	v_add_co_ci_u32_e32 v8, vcc_lo, 0, v8, vcc_lo
	global_load_b64 v[10:11], v[10:11], off
	s_waitcnt vmcnt(0)
	v_fma_f64 v[5:6], v[14:15], v[10:11], v[5:6]
	s_branch .LBB481_9
.LBB481_12:
	s_set_inst_prefetch_distance 0x2
	v_lshlrev_b32_e32 v7, 3, v0
	s_and_b32 vcc_lo, exec_lo, s11
	ds_store_b64 v7, v[5:6]
	s_waitcnt lgkmcnt(0)
	s_barrier
	buffer_gl0_inv
	s_cbranch_vccz .LBB481_24
; %bb.13:
	v_cmp_gt_u16_e32 vcc_lo, 2, v12
	s_and_saveexec_b32 s0, vcc_lo
	s_cbranch_execz .LBB481_15
; %bb.14:
	ds_load_2addr_b64 v[8:11], v7 offset1:16
	s_waitcnt lgkmcnt(0)
	v_add_f64 v[8:9], v[10:11], v[8:9]
	ds_store_b64 v7, v[8:9]
.LBB481_15:
	s_or_b32 exec_lo, exec_lo, s0
	s_delay_alu instid0(SALU_CYCLE_1)
	s_mov_b32 s1, exec_lo
	s_waitcnt lgkmcnt(0)
	s_barrier
	buffer_gl0_inv
	v_cmpx_gt_u16_e32 8, v12
	s_cbranch_execz .LBB481_17
; %bb.16:
	ds_load_2addr_b64 v[8:11], v7 offset1:8
	s_waitcnt lgkmcnt(0)
	v_add_f64 v[8:9], v[10:11], v[8:9]
	ds_store_b64 v7, v[8:9]
.LBB481_17:
	s_or_b32 exec_lo, exec_lo, s1
	s_delay_alu instid0(SALU_CYCLE_1)
	s_mov_b32 s1, exec_lo
	s_waitcnt lgkmcnt(0)
	s_barrier
	buffer_gl0_inv
	v_cmpx_gt_u16_e32 4, v12
	s_cbranch_execz .LBB481_19
; %bb.18:
	ds_load_2addr_b64 v[8:11], v7 offset1:4
	s_waitcnt lgkmcnt(0)
	v_add_f64 v[8:9], v[10:11], v[8:9]
	ds_store_b64 v7, v[8:9]
.LBB481_19:
	s_or_b32 exec_lo, exec_lo, s1
	s_waitcnt lgkmcnt(0)
	s_barrier
	buffer_gl0_inv
	s_and_saveexec_b32 s0, vcc_lo
	s_cbranch_execz .LBB481_21
; %bb.20:
	ds_load_2addr_b64 v[8:11], v7 offset1:2
	s_waitcnt lgkmcnt(0)
	v_add_f64 v[8:9], v[10:11], v[8:9]
	ds_store_b64 v7, v[8:9]
.LBB481_21:
	s_or_b32 exec_lo, exec_lo, s0
	s_mov_b32 s0, 0
	s_mov_b32 s1, 0
	s_mov_b32 s4, exec_lo
	s_waitcnt lgkmcnt(0)
	s_barrier
	buffer_gl0_inv
                                        ; implicit-def: $vgpr8
                                        ; implicit-def: $vgpr9
	v_cmpx_gt_u32_e32 18, v0
	s_xor_b32 s4, exec_lo, s4
; %bb.22:
	v_mul_u32_u24_e32 v8, 18, v0
	v_mad_u32_u24 v9, 0x88, v0, v7
	s_mov_b32 s1, exec_lo
	s_delay_alu instid0(VALU_DEP_2)
	v_or_b32_e32 v8, 1, v8
; %bb.23:
	s_or_b32 exec_lo, exec_lo, s4
	s_delay_alu instid0(SALU_CYCLE_1)
	s_and_b32 vcc_lo, exec_lo, s0
	s_cbranch_vccnz .LBB481_25
	s_branch .LBB481_36
.LBB481_24:
	s_mov_b32 s1, 0
                                        ; implicit-def: $vgpr8
                                        ; implicit-def: $vgpr9
	s_cbranch_execz .LBB481_36
.LBB481_25:
	v_cmp_gt_u32_e32 vcc_lo, 36, v0
	s_and_saveexec_b32 s0, vcc_lo
	s_cbranch_execz .LBB481_27
; %bb.26:
	ds_load_b64 v[8:9], v7 offset:2304
	ds_load_b64 v[10:11], v7
	s_waitcnt lgkmcnt(0)
	v_add_f64 v[8:9], v[8:9], v[10:11]
	ds_store_b64 v7, v[8:9]
.LBB481_27:
	s_or_b32 exec_lo, exec_lo, s0
	s_delay_alu instid0(SALU_CYCLE_1)
	s_mov_b32 s4, exec_lo
	s_waitcnt lgkmcnt(0)
	s_barrier
	buffer_gl0_inv
	v_cmpx_gt_u32_e32 0x90, v0
	s_cbranch_execz .LBB481_29
; %bb.28:
	ds_load_2addr_b64 v[8:11], v7 offset1:144
	s_waitcnt lgkmcnt(0)
	v_add_f64 v[8:9], v[10:11], v[8:9]
	ds_store_b64 v7, v[8:9]
.LBB481_29:
	s_or_b32 exec_lo, exec_lo, s4
	s_delay_alu instid0(SALU_CYCLE_1)
	s_mov_b32 s4, exec_lo
	s_waitcnt lgkmcnt(0)
	s_barrier
	buffer_gl0_inv
	v_cmpx_gt_u32_e32 0x48, v0
	s_cbranch_execz .LBB481_31
; %bb.30:
	ds_load_2addr_b64 v[8:11], v7 offset1:72
	s_waitcnt lgkmcnt(0)
	v_add_f64 v[8:9], v[10:11], v[8:9]
	ds_store_b64 v7, v[8:9]
.LBB481_31:
	s_or_b32 exec_lo, exec_lo, s4
	s_waitcnt lgkmcnt(0)
	s_barrier
	buffer_gl0_inv
	s_and_saveexec_b32 s0, vcc_lo
	s_cbranch_execz .LBB481_33
; %bb.32:
	ds_load_2addr_b64 v[8:11], v7 offset1:36
	s_waitcnt lgkmcnt(0)
	v_add_f64 v[8:9], v[10:11], v[8:9]
	ds_store_b64 v7, v[8:9]
.LBB481_33:
	s_or_b32 exec_lo, exec_lo, s0
	s_delay_alu instid0(SALU_CYCLE_1)
	s_mov_b32 s0, exec_lo
	s_waitcnt lgkmcnt(0)
	buffer_gl0_inv
                                        ; implicit-def: $vgpr8
	v_cmpx_gt_u32_e32 18, v0
; %bb.34:
	v_add_nc_u32_e32 v8, 18, v0
	s_or_b32 s1, s1, exec_lo
                                        ; implicit-def: $vgpr5_vgpr6
; %bb.35:
	s_or_b32 exec_lo, exec_lo, s0
	v_mov_b32_e32 v9, v7
.LBB481_36:
	s_and_saveexec_b32 s0, s1
	s_cbranch_execnz .LBB481_39
; %bb.37:
	s_or_b32 exec_lo, exec_lo, s0
	v_cmp_gt_u32_e32 vcc_lo, 18, v0
	s_and_b32 exec_lo, exec_lo, vcc_lo
	s_cbranch_execnz .LBB481_40
.LBB481_38:
	s_nop 0
	s_sendmsg sendmsg(MSG_DEALLOC_VGPRS)
	s_endpgm
.LBB481_39:
	v_lshlrev_b32_e32 v7, 3, v8
	ds_load_b64 v[5:6], v9
	ds_load_b64 v[7:8], v7
	s_waitcnt lgkmcnt(0)
	v_add_f64 v[5:6], v[5:6], v[7:8]
	s_or_b32 exec_lo, exec_lo, s0
	v_cmp_gt_u32_e32 vcc_lo, 18, v0
	s_and_b32 exec_lo, exec_lo, vcc_lo
	s_cbranch_execz .LBB481_38
.LBB481_40:
	s_delay_alu instid0(VALU_DEP_2)
	v_mul_f64 v[3:4], v[3:4], v[5:6]
	s_mov_b32 s0, exec_lo
	v_cmpx_eq_f64_e32 0, v[1:2]
	s_xor_b32 s0, exec_lo, s0
	s_cbranch_execz .LBB481_42
; %bb.41:
	v_mad_u64_u32 v[1:2], null, s8, 18, v[0:1]
	v_mov_b32_e32 v2, 0
	s_delay_alu instid0(VALU_DEP_1) | instskip(NEXT) | instid1(VALU_DEP_1)
	v_lshlrev_b64 v[0:1], 3, v[1:2]
	v_add_co_u32 v0, vcc_lo, s2, v0
	s_delay_alu instid0(VALU_DEP_2)
	v_add_co_ci_u32_e32 v1, vcc_lo, s3, v1, vcc_lo
	global_store_b64 v[0:1], v[3:4], off
                                        ; implicit-def: $vgpr0
                                        ; implicit-def: $vgpr1_vgpr2
                                        ; implicit-def: $vgpr3_vgpr4
.LBB481_42:
	s_and_not1_saveexec_b32 s0, s0
	s_cbranch_execz .LBB481_38
; %bb.43:
	v_mad_u64_u32 v[5:6], null, s8, 18, v[0:1]
	v_mov_b32_e32 v6, 0
	s_delay_alu instid0(VALU_DEP_1) | instskip(NEXT) | instid1(VALU_DEP_1)
	v_lshlrev_b64 v[5:6], 3, v[5:6]
	v_add_co_u32 v5, vcc_lo, s2, v5
	s_delay_alu instid0(VALU_DEP_2)
	v_add_co_ci_u32_e32 v6, vcc_lo, s3, v6, vcc_lo
	global_load_b64 v[7:8], v[5:6], off
	s_waitcnt vmcnt(0)
	v_fma_f64 v[0:1], v[1:2], v[7:8], v[3:4]
	global_store_b64 v[5:6], v[0:1], off
	s_nop 0
	s_sendmsg sendmsg(MSG_DEALLOC_VGPRS)
	s_endpgm
	.section	.rodata,"a",@progbits
	.p2align	6, 0x0
	.amdhsa_kernel _ZN9rocsparseL20bsrxmvn_17_32_kernelILj18EdiifddEEvT2_20rocsparse_direction_NS_24const_host_device_scalarIT0_EES1_PKS1_PKT1_SA_S7_PKT3_PKT4_S5_PT5_21rocsparse_index_base_b
		.amdhsa_group_segment_fixed_size 2592
		.amdhsa_private_segment_fixed_size 0
		.amdhsa_kernarg_size 96
		.amdhsa_user_sgpr_count 15
		.amdhsa_user_sgpr_dispatch_ptr 0
		.amdhsa_user_sgpr_queue_ptr 0
		.amdhsa_user_sgpr_kernarg_segment_ptr 1
		.amdhsa_user_sgpr_dispatch_id 0
		.amdhsa_user_sgpr_private_segment_size 0
		.amdhsa_wavefront_size32 1
		.amdhsa_uses_dynamic_stack 0
		.amdhsa_enable_private_segment 0
		.amdhsa_system_sgpr_workgroup_id_x 1
		.amdhsa_system_sgpr_workgroup_id_y 0
		.amdhsa_system_sgpr_workgroup_id_z 0
		.amdhsa_system_sgpr_workgroup_info 0
		.amdhsa_system_vgpr_workitem_id 0
		.amdhsa_next_free_vgpr 16
		.amdhsa_next_free_sgpr 16
		.amdhsa_reserve_vcc 1
		.amdhsa_float_round_mode_32 0
		.amdhsa_float_round_mode_16_64 0
		.amdhsa_float_denorm_mode_32 3
		.amdhsa_float_denorm_mode_16_64 3
		.amdhsa_dx10_clamp 1
		.amdhsa_ieee_mode 1
		.amdhsa_fp16_overflow 0
		.amdhsa_workgroup_processor_mode 1
		.amdhsa_memory_ordered 1
		.amdhsa_forward_progress 0
		.amdhsa_shared_vgpr_count 0
		.amdhsa_exception_fp_ieee_invalid_op 0
		.amdhsa_exception_fp_denorm_src 0
		.amdhsa_exception_fp_ieee_div_zero 0
		.amdhsa_exception_fp_ieee_overflow 0
		.amdhsa_exception_fp_ieee_underflow 0
		.amdhsa_exception_fp_ieee_inexact 0
		.amdhsa_exception_int_div_zero 0
	.end_amdhsa_kernel
	.section	.text._ZN9rocsparseL20bsrxmvn_17_32_kernelILj18EdiifddEEvT2_20rocsparse_direction_NS_24const_host_device_scalarIT0_EES1_PKS1_PKT1_SA_S7_PKT3_PKT4_S5_PT5_21rocsparse_index_base_b,"axG",@progbits,_ZN9rocsparseL20bsrxmvn_17_32_kernelILj18EdiifddEEvT2_20rocsparse_direction_NS_24const_host_device_scalarIT0_EES1_PKS1_PKT1_SA_S7_PKT3_PKT4_S5_PT5_21rocsparse_index_base_b,comdat
.Lfunc_end481:
	.size	_ZN9rocsparseL20bsrxmvn_17_32_kernelILj18EdiifddEEvT2_20rocsparse_direction_NS_24const_host_device_scalarIT0_EES1_PKS1_PKT1_SA_S7_PKT3_PKT4_S5_PT5_21rocsparse_index_base_b, .Lfunc_end481-_ZN9rocsparseL20bsrxmvn_17_32_kernelILj18EdiifddEEvT2_20rocsparse_direction_NS_24const_host_device_scalarIT0_EES1_PKS1_PKT1_SA_S7_PKT3_PKT4_S5_PT5_21rocsparse_index_base_b
                                        ; -- End function
	.section	.AMDGPU.csdata,"",@progbits
; Kernel info:
; codeLenInByte = 1624
; NumSgprs: 18
; NumVgprs: 16
; ScratchSize: 0
; MemoryBound: 0
; FloatMode: 240
; IeeeMode: 1
; LDSByteSize: 2592 bytes/workgroup (compile time only)
; SGPRBlocks: 2
; VGPRBlocks: 1
; NumSGPRsForWavesPerEU: 18
; NumVGPRsForWavesPerEU: 16
; Occupancy: 14
; WaveLimiterHint : 1
; COMPUTE_PGM_RSRC2:SCRATCH_EN: 0
; COMPUTE_PGM_RSRC2:USER_SGPR: 15
; COMPUTE_PGM_RSRC2:TRAP_HANDLER: 0
; COMPUTE_PGM_RSRC2:TGID_X_EN: 1
; COMPUTE_PGM_RSRC2:TGID_Y_EN: 0
; COMPUTE_PGM_RSRC2:TGID_Z_EN: 0
; COMPUTE_PGM_RSRC2:TIDIG_COMP_CNT: 0
	.section	.text._ZN9rocsparseL20bsrxmvn_17_32_kernelILj19EdiifddEEvT2_20rocsparse_direction_NS_24const_host_device_scalarIT0_EES1_PKS1_PKT1_SA_S7_PKT3_PKT4_S5_PT5_21rocsparse_index_base_b,"axG",@progbits,_ZN9rocsparseL20bsrxmvn_17_32_kernelILj19EdiifddEEvT2_20rocsparse_direction_NS_24const_host_device_scalarIT0_EES1_PKS1_PKT1_SA_S7_PKT3_PKT4_S5_PT5_21rocsparse_index_base_b,comdat
	.globl	_ZN9rocsparseL20bsrxmvn_17_32_kernelILj19EdiifddEEvT2_20rocsparse_direction_NS_24const_host_device_scalarIT0_EES1_PKS1_PKT1_SA_S7_PKT3_PKT4_S5_PT5_21rocsparse_index_base_b ; -- Begin function _ZN9rocsparseL20bsrxmvn_17_32_kernelILj19EdiifddEEvT2_20rocsparse_direction_NS_24const_host_device_scalarIT0_EES1_PKS1_PKT1_SA_S7_PKT3_PKT4_S5_PT5_21rocsparse_index_base_b
	.p2align	8
	.type	_ZN9rocsparseL20bsrxmvn_17_32_kernelILj19EdiifddEEvT2_20rocsparse_direction_NS_24const_host_device_scalarIT0_EES1_PKS1_PKT1_SA_S7_PKT3_PKT4_S5_PT5_21rocsparse_index_base_b,@function
_ZN9rocsparseL20bsrxmvn_17_32_kernelILj19EdiifddEEvT2_20rocsparse_direction_NS_24const_host_device_scalarIT0_EES1_PKS1_PKT1_SA_S7_PKT3_PKT4_S5_PT5_21rocsparse_index_base_b: ; @_ZN9rocsparseL20bsrxmvn_17_32_kernelILj19EdiifddEEvT2_20rocsparse_direction_NS_24const_host_device_scalarIT0_EES1_PKS1_PKT1_SA_S7_PKT3_PKT4_S5_PT5_21rocsparse_index_base_b
; %bb.0:
	s_clause 0x2
	s_load_b64 s[10:11], s[0:1], 0x58
	s_load_b64 s[4:5], s[0:1], 0x8
	;; [unrolled: 1-line block ×3, first 2 shown]
	s_mov_b32 s8, s15
	s_waitcnt lgkmcnt(0)
	s_bitcmp1_b32 s11, 0
	v_dual_mov_b32 v3, s4 :: v_dual_mov_b32 v4, s5
	s_cselect_b32 s6, -1, 0
	s_delay_alu instid0(SALU_CYCLE_1)
	s_and_b32 vcc_lo, exec_lo, s6
	s_xor_b32 s6, s6, -1
	s_cbranch_vccnz .LBB482_2
; %bb.1:
	v_dual_mov_b32 v1, s4 :: v_dual_mov_b32 v2, s5
	flat_load_b64 v[3:4], v[1:2]
.LBB482_2:
	v_dual_mov_b32 v1, s2 :: v_dual_mov_b32 v2, s3
	s_and_not1_b32 vcc_lo, exec_lo, s6
	s_cbranch_vccnz .LBB482_4
; %bb.3:
	v_dual_mov_b32 v1, s2 :: v_dual_mov_b32 v2, s3
	flat_load_b64 v[1:2], v[1:2]
.LBB482_4:
	s_waitcnt vmcnt(0) lgkmcnt(0)
	v_cmp_neq_f64_e32 vcc_lo, 0, v[3:4]
	v_cmp_neq_f64_e64 s2, 1.0, v[1:2]
	s_delay_alu instid0(VALU_DEP_1) | instskip(NEXT) | instid1(SALU_CYCLE_1)
	s_or_b32 s2, vcc_lo, s2
	s_and_saveexec_b32 s3, s2
	s_cbranch_execz .LBB482_38
; %bb.5:
	s_clause 0x1
	s_load_b128 s[4:7], s[0:1], 0x18
	s_load_b64 s[2:3], s[0:1], 0x28
	s_waitcnt lgkmcnt(0)
	s_cmp_eq_u64 s[4:5], 0
	s_cbranch_scc1 .LBB482_7
; %bb.6:
	s_ashr_i32 s9, s8, 31
	s_delay_alu instid0(SALU_CYCLE_1) | instskip(NEXT) | instid1(SALU_CYCLE_1)
	s_lshl_b64 s[8:9], s[8:9], 2
	s_add_u32 s4, s4, s8
	s_addc_u32 s5, s5, s9
	s_load_b32 s4, s[4:5], 0x0
	s_waitcnt lgkmcnt(0)
	s_sub_i32 s8, s4, s10
.LBB482_7:
	s_load_b32 s4, s[0:1], 0x4
	v_mul_u32_u24_e32 v5, 0xd7a, v0
	s_delay_alu instid0(VALU_DEP_1) | instskip(SKIP_2) | instid1(VALU_DEP_3)
	v_lshrrev_b32_e32 v7, 16, v5
	v_mov_b32_e32 v5, 0
	v_mov_b32_e32 v6, 0
	v_mul_lo_u16 v8, v7, 19
	s_delay_alu instid0(VALU_DEP_1)
	v_sub_nc_u16 v12, v0, v8
	s_waitcnt lgkmcnt(0)
	s_cmp_eq_u32 s4, 1
	s_cselect_b32 vcc_lo, -1, 0
	s_cmp_lg_u32 s4, 1
	s_cselect_b32 s11, -1, 0
	s_ashr_i32 s9, s8, 31
	s_delay_alu instid0(SALU_CYCLE_1) | instskip(NEXT) | instid1(SALU_CYCLE_1)
	s_lshl_b64 s[4:5], s[8:9], 2
	s_add_u32 s6, s6, s4
	s_addc_u32 s7, s7, s5
	s_add_u32 s9, s6, 4
	s_addc_u32 s12, s7, 0
	s_add_u32 s4, s2, s4
	s_addc_u32 s5, s3, s5
	s_cmp_eq_u64 s[2:3], 0
	s_cselect_b32 s3, s12, s5
	s_cselect_b32 s2, s9, s4
	s_load_b32 s12, s[6:7], 0x0
	s_load_b32 s9, s[2:3], 0x0
	s_load_b64 s[2:3], s[0:1], 0x50
	s_waitcnt lgkmcnt(0)
	s_cmp_ge_i32 s12, s9
	s_cbranch_scc1 .LBB482_12
; %bb.8:
	v_mul_lo_u16 v5, v7, 14
	s_clause 0x1
	s_load_b128 s[4:7], s[0:1], 0x30
	s_load_b64 s[0:1], s[0:1], 0x40
	v_lshlrev_b32_e32 v8, 2, v0
	v_and_b32_e32 v9, 0xffff, v12
	v_lshrrev_b16 v5, 8, v5
	s_sub_i32 s12, s12, s10
	s_sub_i32 s9, s9, s10
	s_mul_i32 s14, s12, 0x5a4
	s_mul_hi_i32 s13, s12, 0x5a4
	v_mul_lo_u16 v5, v5, 19
	s_delay_alu instid0(VALU_DEP_1) | instskip(SKIP_1) | instid1(VALU_DEP_2)
	v_sub_nc_u16 v7, v7, v5
	v_mov_b32_e32 v5, 0
	v_dual_mov_b32 v6, 0 :: v_dual_and_b32 v11, 0xff, v7
	v_and_b32_e32 v10, 0xffff, v0
	s_waitcnt lgkmcnt(0)
	s_add_u32 s6, s6, s14
	s_addc_u32 s7, s7, s13
	v_add_co_u32 v7, s6, s6, v8
	v_cndmask_b32_e32 v9, v9, v11, vcc_lo
	v_mul_u32_u24_e32 v10, 0xb6, v10
	v_add_co_ci_u32_e64 v8, null, s7, 0, s6
	s_delay_alu instid0(VALU_DEP_2)
	v_lshrrev_b32_e32 v13, 16, v10
	s_set_inst_prefetch_distance 0x1
	s_branch .LBB482_10
	.p2align	6
.LBB482_9:                              ;   in Loop: Header=BB482_10 Depth=1
	s_or_b32 exec_lo, exec_lo, s6
	s_add_i32 s12, s12, 1
	s_delay_alu instid0(SALU_CYCLE_1)
	s_cmp_lt_i32 s12, s9
	s_cbranch_scc0 .LBB482_12
.LBB482_10:                             ; =>This Inner Loop Header: Depth=1
	s_delay_alu instid0(VALU_DEP_1) | instskip(SKIP_1) | instid1(VALU_DEP_1)
	v_add_nc_u32_e32 v10, s12, v13
	s_mov_b32 s6, exec_lo
	v_cmpx_gt_i32_e64 s9, v10
	s_cbranch_execz .LBB482_9
; %bb.11:                               ;   in Loop: Header=BB482_10 Depth=1
	v_ashrrev_i32_e32 v11, 31, v10
	s_delay_alu instid0(VALU_DEP_1) | instskip(NEXT) | instid1(VALU_DEP_1)
	v_lshlrev_b64 v[10:11], 2, v[10:11]
	v_add_co_u32 v10, vcc_lo, s4, v10
	s_delay_alu instid0(VALU_DEP_2) | instskip(SKIP_4) | instid1(VALU_DEP_1)
	v_add_co_ci_u32_e32 v11, vcc_lo, s5, v11, vcc_lo
	global_load_b32 v10, v[10:11], off
	global_load_b32 v14, v[7:8], off
	s_waitcnt vmcnt(1)
	v_subrev_nc_u32_e32 v15, s10, v10
	v_mad_u64_u32 v[10:11], null, v15, 19, v[9:10]
	s_waitcnt vmcnt(0)
	v_cvt_f64_f32_e32 v[14:15], v14
	s_delay_alu instid0(VALU_DEP_2) | instskip(NEXT) | instid1(VALU_DEP_1)
	v_ashrrev_i32_e32 v11, 31, v10
	v_lshlrev_b64 v[10:11], 3, v[10:11]
	s_delay_alu instid0(VALU_DEP_1) | instskip(NEXT) | instid1(VALU_DEP_2)
	v_add_co_u32 v10, vcc_lo, s0, v10
	v_add_co_ci_u32_e32 v11, vcc_lo, s1, v11, vcc_lo
	v_add_co_u32 v7, vcc_lo, 0x5a4, v7
	v_add_co_ci_u32_e32 v8, vcc_lo, 0, v8, vcc_lo
	global_load_b64 v[10:11], v[10:11], off
	s_waitcnt vmcnt(0)
	v_fma_f64 v[5:6], v[14:15], v[10:11], v[5:6]
	s_branch .LBB482_9
.LBB482_12:
	s_set_inst_prefetch_distance 0x2
	v_lshlrev_b32_e32 v7, 3, v0
	s_and_b32 vcc_lo, exec_lo, s11
	ds_store_b64 v7, v[5:6]
	s_waitcnt lgkmcnt(0)
	s_barrier
	buffer_gl0_inv
	s_cbranch_vccz .LBB482_24
; %bb.13:
	s_mov_b32 s0, exec_lo
	v_cmpx_gt_u16_e32 3, v12
	s_cbranch_execz .LBB482_15
; %bb.14:
	ds_load_2addr_b64 v[8:11], v7 offset1:16
	s_waitcnt lgkmcnt(0)
	v_add_f64 v[8:9], v[10:11], v[8:9]
	ds_store_b64 v7, v[8:9]
.LBB482_15:
	s_or_b32 exec_lo, exec_lo, s0
	s_delay_alu instid0(SALU_CYCLE_1)
	s_mov_b32 s0, exec_lo
	s_waitcnt lgkmcnt(0)
	s_barrier
	buffer_gl0_inv
	v_cmpx_gt_u16_e32 8, v12
	s_cbranch_execz .LBB482_17
; %bb.16:
	ds_load_2addr_b64 v[8:11], v7 offset1:8
	s_waitcnt lgkmcnt(0)
	v_add_f64 v[8:9], v[10:11], v[8:9]
	ds_store_b64 v7, v[8:9]
.LBB482_17:
	s_or_b32 exec_lo, exec_lo, s0
	s_delay_alu instid0(SALU_CYCLE_1)
	s_mov_b32 s0, exec_lo
	s_waitcnt lgkmcnt(0)
	s_barrier
	buffer_gl0_inv
	;; [unrolled: 14-line block ×3, first 2 shown]
	v_cmpx_gt_u16_e32 2, v12
	s_cbranch_execz .LBB482_21
; %bb.20:
	ds_load_2addr_b64 v[8:11], v7 offset1:2
	s_waitcnt lgkmcnt(0)
	v_add_f64 v[8:9], v[10:11], v[8:9]
	ds_store_b64 v7, v[8:9]
.LBB482_21:
	s_or_b32 exec_lo, exec_lo, s0
	s_mov_b32 s1, 0
	s_mov_b32 s0, 0
	s_mov_b32 s4, exec_lo
	s_waitcnt lgkmcnt(0)
	s_barrier
	buffer_gl0_inv
                                        ; implicit-def: $vgpr8
                                        ; implicit-def: $vgpr9
	v_cmpx_gt_u32_e32 19, v0
	s_xor_b32 s4, exec_lo, s4
; %bb.22:
	v_mad_u32_u24 v8, v0, 19, 1
	v_mad_u32_u24 v9, 0x90, v0, v7
	s_mov_b32 s0, exec_lo
; %bb.23:
	s_or_b32 exec_lo, exec_lo, s4
	s_delay_alu instid0(SALU_CYCLE_1)
	s_and_b32 vcc_lo, exec_lo, s1
	s_cbranch_vccnz .LBB482_25
	s_branch .LBB482_36
.LBB482_24:
	s_mov_b32 s0, 0
                                        ; implicit-def: $vgpr8
                                        ; implicit-def: $vgpr9
	s_cbranch_execz .LBB482_36
.LBB482_25:
	s_mov_b32 s1, exec_lo
	v_cmpx_gt_u32_e32 57, v0
	s_cbranch_execz .LBB482_27
; %bb.26:
	ds_load_b64 v[8:9], v7 offset:2432
	ds_load_b64 v[10:11], v7
	s_waitcnt lgkmcnt(0)
	v_add_f64 v[8:9], v[8:9], v[10:11]
	ds_store_b64 v7, v[8:9]
.LBB482_27:
	s_or_b32 exec_lo, exec_lo, s1
	s_delay_alu instid0(SALU_CYCLE_1)
	s_mov_b32 s1, exec_lo
	s_waitcnt lgkmcnt(0)
	s_barrier
	buffer_gl0_inv
	v_cmpx_gt_u32_e32 0x98, v0
	s_cbranch_execz .LBB482_29
; %bb.28:
	ds_load_2addr_b64 v[8:11], v7 offset1:152
	s_waitcnt lgkmcnt(0)
	v_add_f64 v[8:9], v[10:11], v[8:9]
	ds_store_b64 v7, v[8:9]
.LBB482_29:
	s_or_b32 exec_lo, exec_lo, s1
	s_delay_alu instid0(SALU_CYCLE_1)
	s_mov_b32 s1, exec_lo
	s_waitcnt lgkmcnt(0)
	s_barrier
	buffer_gl0_inv
	v_cmpx_gt_u32_e32 0x4c, v0
	s_cbranch_execz .LBB482_31
; %bb.30:
	ds_load_2addr_b64 v[8:11], v7 offset1:76
	s_waitcnt lgkmcnt(0)
	v_add_f64 v[8:9], v[10:11], v[8:9]
	ds_store_b64 v7, v[8:9]
.LBB482_31:
	;; [unrolled: 14-line block ×3, first 2 shown]
	s_or_b32 exec_lo, exec_lo, s1
	s_delay_alu instid0(SALU_CYCLE_1)
	s_mov_b32 s1, exec_lo
	s_waitcnt lgkmcnt(0)
	buffer_gl0_inv
                                        ; implicit-def: $vgpr8
	v_cmpx_gt_u32_e32 19, v0
; %bb.34:
	v_add_nc_u32_e32 v8, 19, v0
	s_or_b32 s0, s0, exec_lo
                                        ; implicit-def: $vgpr5_vgpr6
; %bb.35:
	s_or_b32 exec_lo, exec_lo, s1
	v_mov_b32_e32 v9, v7
.LBB482_36:
	s_and_saveexec_b32 s1, s0
	s_cbranch_execnz .LBB482_39
; %bb.37:
	s_or_b32 exec_lo, exec_lo, s1
	v_cmp_gt_u32_e32 vcc_lo, 19, v0
	s_and_b32 exec_lo, exec_lo, vcc_lo
	s_cbranch_execnz .LBB482_40
.LBB482_38:
	s_nop 0
	s_sendmsg sendmsg(MSG_DEALLOC_VGPRS)
	s_endpgm
.LBB482_39:
	v_lshlrev_b32_e32 v7, 3, v8
	ds_load_b64 v[5:6], v9
	ds_load_b64 v[7:8], v7
	s_waitcnt lgkmcnt(0)
	v_add_f64 v[5:6], v[5:6], v[7:8]
	s_or_b32 exec_lo, exec_lo, s1
	v_cmp_gt_u32_e32 vcc_lo, 19, v0
	s_and_b32 exec_lo, exec_lo, vcc_lo
	s_cbranch_execz .LBB482_38
.LBB482_40:
	s_delay_alu instid0(VALU_DEP_2)
	v_mul_f64 v[3:4], v[3:4], v[5:6]
	s_mov_b32 s0, exec_lo
	v_cmpx_eq_f64_e32 0, v[1:2]
	s_xor_b32 s0, exec_lo, s0
	s_cbranch_execz .LBB482_42
; %bb.41:
	v_mad_u64_u32 v[1:2], null, s8, 19, v[0:1]
	v_mov_b32_e32 v2, 0
	s_delay_alu instid0(VALU_DEP_1) | instskip(NEXT) | instid1(VALU_DEP_1)
	v_lshlrev_b64 v[0:1], 3, v[1:2]
	v_add_co_u32 v0, vcc_lo, s2, v0
	s_delay_alu instid0(VALU_DEP_2)
	v_add_co_ci_u32_e32 v1, vcc_lo, s3, v1, vcc_lo
	global_store_b64 v[0:1], v[3:4], off
                                        ; implicit-def: $vgpr0
                                        ; implicit-def: $vgpr1_vgpr2
                                        ; implicit-def: $vgpr3_vgpr4
.LBB482_42:
	s_and_not1_saveexec_b32 s0, s0
	s_cbranch_execz .LBB482_38
; %bb.43:
	v_mad_u64_u32 v[5:6], null, s8, 19, v[0:1]
	v_mov_b32_e32 v6, 0
	s_delay_alu instid0(VALU_DEP_1) | instskip(NEXT) | instid1(VALU_DEP_1)
	v_lshlrev_b64 v[5:6], 3, v[5:6]
	v_add_co_u32 v5, vcc_lo, s2, v5
	s_delay_alu instid0(VALU_DEP_2)
	v_add_co_ci_u32_e32 v6, vcc_lo, s3, v6, vcc_lo
	global_load_b64 v[7:8], v[5:6], off
	s_waitcnt vmcnt(0)
	v_fma_f64 v[0:1], v[1:2], v[7:8], v[3:4]
	global_store_b64 v[5:6], v[0:1], off
	s_nop 0
	s_sendmsg sendmsg(MSG_DEALLOC_VGPRS)
	s_endpgm
	.section	.rodata,"a",@progbits
	.p2align	6, 0x0
	.amdhsa_kernel _ZN9rocsparseL20bsrxmvn_17_32_kernelILj19EdiifddEEvT2_20rocsparse_direction_NS_24const_host_device_scalarIT0_EES1_PKS1_PKT1_SA_S7_PKT3_PKT4_S5_PT5_21rocsparse_index_base_b
		.amdhsa_group_segment_fixed_size 2888
		.amdhsa_private_segment_fixed_size 0
		.amdhsa_kernarg_size 96
		.amdhsa_user_sgpr_count 15
		.amdhsa_user_sgpr_dispatch_ptr 0
		.amdhsa_user_sgpr_queue_ptr 0
		.amdhsa_user_sgpr_kernarg_segment_ptr 1
		.amdhsa_user_sgpr_dispatch_id 0
		.amdhsa_user_sgpr_private_segment_size 0
		.amdhsa_wavefront_size32 1
		.amdhsa_uses_dynamic_stack 0
		.amdhsa_enable_private_segment 0
		.amdhsa_system_sgpr_workgroup_id_x 1
		.amdhsa_system_sgpr_workgroup_id_y 0
		.amdhsa_system_sgpr_workgroup_id_z 0
		.amdhsa_system_sgpr_workgroup_info 0
		.amdhsa_system_vgpr_workitem_id 0
		.amdhsa_next_free_vgpr 16
		.amdhsa_next_free_sgpr 16
		.amdhsa_reserve_vcc 1
		.amdhsa_float_round_mode_32 0
		.amdhsa_float_round_mode_16_64 0
		.amdhsa_float_denorm_mode_32 3
		.amdhsa_float_denorm_mode_16_64 3
		.amdhsa_dx10_clamp 1
		.amdhsa_ieee_mode 1
		.amdhsa_fp16_overflow 0
		.amdhsa_workgroup_processor_mode 1
		.amdhsa_memory_ordered 1
		.amdhsa_forward_progress 0
		.amdhsa_shared_vgpr_count 0
		.amdhsa_exception_fp_ieee_invalid_op 0
		.amdhsa_exception_fp_denorm_src 0
		.amdhsa_exception_fp_ieee_div_zero 0
		.amdhsa_exception_fp_ieee_overflow 0
		.amdhsa_exception_fp_ieee_underflow 0
		.amdhsa_exception_fp_ieee_inexact 0
		.amdhsa_exception_int_div_zero 0
	.end_amdhsa_kernel
	.section	.text._ZN9rocsparseL20bsrxmvn_17_32_kernelILj19EdiifddEEvT2_20rocsparse_direction_NS_24const_host_device_scalarIT0_EES1_PKS1_PKT1_SA_S7_PKT3_PKT4_S5_PT5_21rocsparse_index_base_b,"axG",@progbits,_ZN9rocsparseL20bsrxmvn_17_32_kernelILj19EdiifddEEvT2_20rocsparse_direction_NS_24const_host_device_scalarIT0_EES1_PKS1_PKT1_SA_S7_PKT3_PKT4_S5_PT5_21rocsparse_index_base_b,comdat
.Lfunc_end482:
	.size	_ZN9rocsparseL20bsrxmvn_17_32_kernelILj19EdiifddEEvT2_20rocsparse_direction_NS_24const_host_device_scalarIT0_EES1_PKS1_PKT1_SA_S7_PKT3_PKT4_S5_PT5_21rocsparse_index_base_b, .Lfunc_end482-_ZN9rocsparseL20bsrxmvn_17_32_kernelILj19EdiifddEEvT2_20rocsparse_direction_NS_24const_host_device_scalarIT0_EES1_PKS1_PKT1_SA_S7_PKT3_PKT4_S5_PT5_21rocsparse_index_base_b
                                        ; -- End function
	.section	.AMDGPU.csdata,"",@progbits
; Kernel info:
; codeLenInByte = 1636
; NumSgprs: 18
; NumVgprs: 16
; ScratchSize: 0
; MemoryBound: 0
; FloatMode: 240
; IeeeMode: 1
; LDSByteSize: 2888 bytes/workgroup (compile time only)
; SGPRBlocks: 2
; VGPRBlocks: 1
; NumSGPRsForWavesPerEU: 18
; NumVGPRsForWavesPerEU: 16
; Occupancy: 15
; WaveLimiterHint : 1
; COMPUTE_PGM_RSRC2:SCRATCH_EN: 0
; COMPUTE_PGM_RSRC2:USER_SGPR: 15
; COMPUTE_PGM_RSRC2:TRAP_HANDLER: 0
; COMPUTE_PGM_RSRC2:TGID_X_EN: 1
; COMPUTE_PGM_RSRC2:TGID_Y_EN: 0
; COMPUTE_PGM_RSRC2:TGID_Z_EN: 0
; COMPUTE_PGM_RSRC2:TIDIG_COMP_CNT: 0
	.section	.text._ZN9rocsparseL20bsrxmvn_17_32_kernelILj20EdiifddEEvT2_20rocsparse_direction_NS_24const_host_device_scalarIT0_EES1_PKS1_PKT1_SA_S7_PKT3_PKT4_S5_PT5_21rocsparse_index_base_b,"axG",@progbits,_ZN9rocsparseL20bsrxmvn_17_32_kernelILj20EdiifddEEvT2_20rocsparse_direction_NS_24const_host_device_scalarIT0_EES1_PKS1_PKT1_SA_S7_PKT3_PKT4_S5_PT5_21rocsparse_index_base_b,comdat
	.globl	_ZN9rocsparseL20bsrxmvn_17_32_kernelILj20EdiifddEEvT2_20rocsparse_direction_NS_24const_host_device_scalarIT0_EES1_PKS1_PKT1_SA_S7_PKT3_PKT4_S5_PT5_21rocsparse_index_base_b ; -- Begin function _ZN9rocsparseL20bsrxmvn_17_32_kernelILj20EdiifddEEvT2_20rocsparse_direction_NS_24const_host_device_scalarIT0_EES1_PKS1_PKT1_SA_S7_PKT3_PKT4_S5_PT5_21rocsparse_index_base_b
	.p2align	8
	.type	_ZN9rocsparseL20bsrxmvn_17_32_kernelILj20EdiifddEEvT2_20rocsparse_direction_NS_24const_host_device_scalarIT0_EES1_PKS1_PKT1_SA_S7_PKT3_PKT4_S5_PT5_21rocsparse_index_base_b,@function
_ZN9rocsparseL20bsrxmvn_17_32_kernelILj20EdiifddEEvT2_20rocsparse_direction_NS_24const_host_device_scalarIT0_EES1_PKS1_PKT1_SA_S7_PKT3_PKT4_S5_PT5_21rocsparse_index_base_b: ; @_ZN9rocsparseL20bsrxmvn_17_32_kernelILj20EdiifddEEvT2_20rocsparse_direction_NS_24const_host_device_scalarIT0_EES1_PKS1_PKT1_SA_S7_PKT3_PKT4_S5_PT5_21rocsparse_index_base_b
; %bb.0:
	s_clause 0x2
	s_load_b64 s[10:11], s[0:1], 0x58
	s_load_b64 s[4:5], s[0:1], 0x8
	;; [unrolled: 1-line block ×3, first 2 shown]
	s_mov_b32 s8, s15
	s_waitcnt lgkmcnt(0)
	s_bitcmp1_b32 s11, 0
	v_dual_mov_b32 v3, s4 :: v_dual_mov_b32 v4, s5
	s_cselect_b32 s6, -1, 0
	s_delay_alu instid0(SALU_CYCLE_1)
	s_and_b32 vcc_lo, exec_lo, s6
	s_xor_b32 s6, s6, -1
	s_cbranch_vccnz .LBB483_2
; %bb.1:
	v_dual_mov_b32 v1, s4 :: v_dual_mov_b32 v2, s5
	flat_load_b64 v[3:4], v[1:2]
.LBB483_2:
	v_dual_mov_b32 v1, s2 :: v_dual_mov_b32 v2, s3
	s_and_not1_b32 vcc_lo, exec_lo, s6
	s_cbranch_vccnz .LBB483_4
; %bb.3:
	v_dual_mov_b32 v1, s2 :: v_dual_mov_b32 v2, s3
	flat_load_b64 v[1:2], v[1:2]
.LBB483_4:
	s_waitcnt vmcnt(0) lgkmcnt(0)
	v_cmp_neq_f64_e32 vcc_lo, 0, v[3:4]
	v_cmp_neq_f64_e64 s2, 1.0, v[1:2]
	s_delay_alu instid0(VALU_DEP_1) | instskip(NEXT) | instid1(SALU_CYCLE_1)
	s_or_b32 s2, vcc_lo, s2
	s_and_saveexec_b32 s3, s2
	s_cbranch_execz .LBB483_38
; %bb.5:
	s_clause 0x1
	s_load_b128 s[4:7], s[0:1], 0x18
	s_load_b64 s[2:3], s[0:1], 0x28
	s_waitcnt lgkmcnt(0)
	s_cmp_eq_u64 s[4:5], 0
	s_cbranch_scc1 .LBB483_7
; %bb.6:
	s_ashr_i32 s9, s8, 31
	s_delay_alu instid0(SALU_CYCLE_1) | instskip(NEXT) | instid1(SALU_CYCLE_1)
	s_lshl_b64 s[8:9], s[8:9], 2
	s_add_u32 s4, s4, s8
	s_addc_u32 s5, s5, s9
	s_load_b32 s4, s[4:5], 0x0
	s_waitcnt lgkmcnt(0)
	s_sub_i32 s8, s4, s10
.LBB483_7:
	s_load_b32 s4, s[0:1], 0x4
	v_mul_u32_u24_e32 v5, 0xccd, v0
	s_delay_alu instid0(VALU_DEP_1) | instskip(SKIP_2) | instid1(VALU_DEP_3)
	v_lshrrev_b32_e32 v7, 16, v5
	v_mov_b32_e32 v5, 0
	v_mov_b32_e32 v6, 0
	v_mul_lo_u16 v8, v7, 20
	s_delay_alu instid0(VALU_DEP_1)
	v_sub_nc_u16 v12, v0, v8
	s_waitcnt lgkmcnt(0)
	s_cmp_eq_u32 s4, 1
	s_cselect_b32 vcc_lo, -1, 0
	s_cmp_lg_u32 s4, 1
	s_cselect_b32 s11, -1, 0
	s_ashr_i32 s9, s8, 31
	s_delay_alu instid0(SALU_CYCLE_1) | instskip(NEXT) | instid1(SALU_CYCLE_1)
	s_lshl_b64 s[4:5], s[8:9], 2
	s_add_u32 s6, s6, s4
	s_addc_u32 s7, s7, s5
	s_add_u32 s9, s6, 4
	s_addc_u32 s12, s7, 0
	;; [unrolled: 2-line block ×3, first 2 shown]
	s_cmp_eq_u64 s[2:3], 0
	s_cselect_b32 s3, s12, s5
	s_cselect_b32 s2, s9, s4
	s_load_b32 s12, s[6:7], 0x0
	s_load_b32 s9, s[2:3], 0x0
	s_load_b64 s[2:3], s[0:1], 0x50
	s_waitcnt lgkmcnt(0)
	s_cmp_ge_i32 s12, s9
	s_cbranch_scc1 .LBB483_12
; %bb.8:
	v_mul_lo_u16 v5, v7, 13
	s_clause 0x1
	s_load_b128 s[4:7], s[0:1], 0x30
	s_load_b64 s[0:1], s[0:1], 0x40
	v_lshlrev_b32_e32 v8, 2, v0
	v_and_b32_e32 v9, 0xffff, v12
	v_lshrrev_b16 v5, 8, v5
	s_sub_i32 s12, s12, s10
	s_sub_i32 s9, s9, s10
	s_mul_i32 s14, s12, 0x640
	s_mul_hi_i32 s13, s12, 0x640
	v_mul_lo_u16 v5, v5, 20
	s_delay_alu instid0(VALU_DEP_1) | instskip(SKIP_1) | instid1(VALU_DEP_2)
	v_sub_nc_u16 v7, v7, v5
	v_mov_b32_e32 v5, 0
	v_dual_mov_b32 v6, 0 :: v_dual_and_b32 v11, 0xff, v7
	v_and_b32_e32 v10, 0xffff, v0
	s_waitcnt lgkmcnt(0)
	s_add_u32 s6, s6, s14
	s_addc_u32 s7, s7, s13
	v_add_co_u32 v7, s6, s6, v8
	v_cndmask_b32_e32 v9, v9, v11, vcc_lo
	v_mul_u32_u24_e32 v10, 0xa4, v10
	v_add_co_ci_u32_e64 v8, null, s7, 0, s6
	s_delay_alu instid0(VALU_DEP_2)
	v_lshrrev_b32_e32 v13, 16, v10
	s_set_inst_prefetch_distance 0x1
	s_branch .LBB483_10
	.p2align	6
.LBB483_9:                              ;   in Loop: Header=BB483_10 Depth=1
	s_or_b32 exec_lo, exec_lo, s6
	s_add_i32 s12, s12, 1
	s_delay_alu instid0(SALU_CYCLE_1)
	s_cmp_lt_i32 s12, s9
	s_cbranch_scc0 .LBB483_12
.LBB483_10:                             ; =>This Inner Loop Header: Depth=1
	s_delay_alu instid0(VALU_DEP_1) | instskip(SKIP_1) | instid1(VALU_DEP_1)
	v_add_nc_u32_e32 v10, s12, v13
	s_mov_b32 s6, exec_lo
	v_cmpx_gt_i32_e64 s9, v10
	s_cbranch_execz .LBB483_9
; %bb.11:                               ;   in Loop: Header=BB483_10 Depth=1
	v_ashrrev_i32_e32 v11, 31, v10
	s_delay_alu instid0(VALU_DEP_1) | instskip(NEXT) | instid1(VALU_DEP_1)
	v_lshlrev_b64 v[10:11], 2, v[10:11]
	v_add_co_u32 v10, vcc_lo, s4, v10
	s_delay_alu instid0(VALU_DEP_2) | instskip(SKIP_4) | instid1(VALU_DEP_1)
	v_add_co_ci_u32_e32 v11, vcc_lo, s5, v11, vcc_lo
	global_load_b32 v10, v[10:11], off
	global_load_b32 v14, v[7:8], off
	s_waitcnt vmcnt(1)
	v_subrev_nc_u32_e32 v15, s10, v10
	v_mad_u64_u32 v[10:11], null, v15, 20, v[9:10]
	s_waitcnt vmcnt(0)
	v_cvt_f64_f32_e32 v[14:15], v14
	s_delay_alu instid0(VALU_DEP_2) | instskip(NEXT) | instid1(VALU_DEP_1)
	v_ashrrev_i32_e32 v11, 31, v10
	v_lshlrev_b64 v[10:11], 3, v[10:11]
	s_delay_alu instid0(VALU_DEP_1) | instskip(NEXT) | instid1(VALU_DEP_2)
	v_add_co_u32 v10, vcc_lo, s0, v10
	v_add_co_ci_u32_e32 v11, vcc_lo, s1, v11, vcc_lo
	v_add_co_u32 v7, vcc_lo, 0x640, v7
	v_add_co_ci_u32_e32 v8, vcc_lo, 0, v8, vcc_lo
	global_load_b64 v[10:11], v[10:11], off
	s_waitcnt vmcnt(0)
	v_fma_f64 v[5:6], v[14:15], v[10:11], v[5:6]
	s_branch .LBB483_9
.LBB483_12:
	s_set_inst_prefetch_distance 0x2
	v_lshlrev_b32_e32 v7, 3, v0
	s_and_b32 vcc_lo, exec_lo, s11
	ds_store_b64 v7, v[5:6]
	s_waitcnt lgkmcnt(0)
	s_barrier
	buffer_gl0_inv
	s_cbranch_vccz .LBB483_24
; %bb.13:
	v_cmp_gt_u16_e32 vcc_lo, 4, v12
	s_and_saveexec_b32 s0, vcc_lo
	s_cbranch_execz .LBB483_15
; %bb.14:
	ds_load_2addr_b64 v[8:11], v7 offset1:16
	s_waitcnt lgkmcnt(0)
	v_add_f64 v[8:9], v[10:11], v[8:9]
	ds_store_b64 v7, v[8:9]
.LBB483_15:
	s_or_b32 exec_lo, exec_lo, s0
	s_delay_alu instid0(SALU_CYCLE_1)
	s_mov_b32 s1, exec_lo
	s_waitcnt lgkmcnt(0)
	s_barrier
	buffer_gl0_inv
	v_cmpx_gt_u16_e32 8, v12
	s_cbranch_execz .LBB483_17
; %bb.16:
	ds_load_2addr_b64 v[8:11], v7 offset1:8
	s_waitcnt lgkmcnt(0)
	v_add_f64 v[8:9], v[10:11], v[8:9]
	ds_store_b64 v7, v[8:9]
.LBB483_17:
	s_or_b32 exec_lo, exec_lo, s1
	s_waitcnt lgkmcnt(0)
	s_barrier
	buffer_gl0_inv
	s_and_saveexec_b32 s0, vcc_lo
	s_cbranch_execz .LBB483_19
; %bb.18:
	ds_load_2addr_b64 v[8:11], v7 offset1:4
	s_waitcnt lgkmcnt(0)
	v_add_f64 v[8:9], v[10:11], v[8:9]
	ds_store_b64 v7, v[8:9]
.LBB483_19:
	s_or_b32 exec_lo, exec_lo, s0
	s_delay_alu instid0(SALU_CYCLE_1)
	s_mov_b32 s0, exec_lo
	s_waitcnt lgkmcnt(0)
	s_barrier
	buffer_gl0_inv
	v_cmpx_gt_u16_e32 2, v12
	s_cbranch_execz .LBB483_21
; %bb.20:
	ds_load_2addr_b64 v[8:11], v7 offset1:2
	s_waitcnt lgkmcnt(0)
	v_add_f64 v[8:9], v[10:11], v[8:9]
	ds_store_b64 v7, v[8:9]
.LBB483_21:
	s_or_b32 exec_lo, exec_lo, s0
	s_mov_b32 s0, 0
	s_mov_b32 s1, 0
	s_mov_b32 s4, exec_lo
	s_waitcnt lgkmcnt(0)
	s_barrier
	buffer_gl0_inv
                                        ; implicit-def: $vgpr8
                                        ; implicit-def: $vgpr9
	v_cmpx_gt_u32_e32 20, v0
	s_xor_b32 s4, exec_lo, s4
; %bb.22:
	v_mul_u32_u24_e32 v8, 20, v0
	v_mad_u32_u24 v9, 0x98, v0, v7
	s_mov_b32 s1, exec_lo
	s_delay_alu instid0(VALU_DEP_2)
	v_or_b32_e32 v8, 1, v8
; %bb.23:
	s_or_b32 exec_lo, exec_lo, s4
	s_delay_alu instid0(SALU_CYCLE_1)
	s_and_b32 vcc_lo, exec_lo, s0
	s_cbranch_vccnz .LBB483_25
	s_branch .LBB483_36
.LBB483_24:
	s_mov_b32 s1, 0
                                        ; implicit-def: $vgpr8
                                        ; implicit-def: $vgpr9
	s_cbranch_execz .LBB483_36
.LBB483_25:
	v_cmp_gt_u32_e32 vcc_lo, 0x50, v0
	s_and_saveexec_b32 s0, vcc_lo
	s_cbranch_execz .LBB483_27
; %bb.26:
	ds_load_2addr_stride64_b64 v[8:11], v7 offset1:5
	s_waitcnt lgkmcnt(0)
	v_add_f64 v[8:9], v[10:11], v[8:9]
	ds_store_b64 v7, v[8:9]
.LBB483_27:
	s_or_b32 exec_lo, exec_lo, s0
	s_delay_alu instid0(SALU_CYCLE_1)
	s_mov_b32 s4, exec_lo
	s_waitcnt lgkmcnt(0)
	s_barrier
	buffer_gl0_inv
	v_cmpx_gt_u32_e32 0xa0, v0
	s_cbranch_execz .LBB483_29
; %bb.28:
	ds_load_2addr_b64 v[8:11], v7 offset1:160
	s_waitcnt lgkmcnt(0)
	v_add_f64 v[8:9], v[10:11], v[8:9]
	ds_store_b64 v7, v[8:9]
.LBB483_29:
	s_or_b32 exec_lo, exec_lo, s4
	s_waitcnt lgkmcnt(0)
	s_barrier
	buffer_gl0_inv
	s_and_saveexec_b32 s0, vcc_lo
	s_cbranch_execz .LBB483_31
; %bb.30:
	ds_load_2addr_b64 v[8:11], v7 offset1:80
	s_waitcnt lgkmcnt(0)
	v_add_f64 v[8:9], v[10:11], v[8:9]
	ds_store_b64 v7, v[8:9]
.LBB483_31:
	s_or_b32 exec_lo, exec_lo, s0
	s_delay_alu instid0(SALU_CYCLE_1)
	s_mov_b32 s0, exec_lo
	s_waitcnt lgkmcnt(0)
	s_barrier
	buffer_gl0_inv
	v_cmpx_gt_u32_e32 40, v0
	s_cbranch_execz .LBB483_33
; %bb.32:
	ds_load_2addr_b64 v[8:11], v7 offset1:40
	s_waitcnt lgkmcnt(0)
	v_add_f64 v[8:9], v[10:11], v[8:9]
	ds_store_b64 v7, v[8:9]
.LBB483_33:
	s_or_b32 exec_lo, exec_lo, s0
	s_delay_alu instid0(SALU_CYCLE_1)
	s_mov_b32 s0, exec_lo
	s_waitcnt lgkmcnt(0)
	buffer_gl0_inv
                                        ; implicit-def: $vgpr8
	v_cmpx_gt_u32_e32 20, v0
; %bb.34:
	v_add_nc_u32_e32 v8, 20, v0
	s_or_b32 s1, s1, exec_lo
                                        ; implicit-def: $vgpr5_vgpr6
; %bb.35:
	s_or_b32 exec_lo, exec_lo, s0
	v_mov_b32_e32 v9, v7
.LBB483_36:
	s_and_saveexec_b32 s0, s1
	s_cbranch_execnz .LBB483_39
; %bb.37:
	s_or_b32 exec_lo, exec_lo, s0
	v_cmp_gt_u32_e32 vcc_lo, 20, v0
	s_and_b32 exec_lo, exec_lo, vcc_lo
	s_cbranch_execnz .LBB483_40
.LBB483_38:
	s_nop 0
	s_sendmsg sendmsg(MSG_DEALLOC_VGPRS)
	s_endpgm
.LBB483_39:
	v_lshlrev_b32_e32 v7, 3, v8
	ds_load_b64 v[5:6], v9
	ds_load_b64 v[7:8], v7
	s_waitcnt lgkmcnt(0)
	v_add_f64 v[5:6], v[5:6], v[7:8]
	s_or_b32 exec_lo, exec_lo, s0
	v_cmp_gt_u32_e32 vcc_lo, 20, v0
	s_and_b32 exec_lo, exec_lo, vcc_lo
	s_cbranch_execz .LBB483_38
.LBB483_40:
	s_delay_alu instid0(VALU_DEP_2)
	v_mul_f64 v[3:4], v[3:4], v[5:6]
	s_mov_b32 s0, exec_lo
	v_cmpx_eq_f64_e32 0, v[1:2]
	s_xor_b32 s0, exec_lo, s0
	s_cbranch_execz .LBB483_42
; %bb.41:
	v_mad_u64_u32 v[1:2], null, s8, 20, v[0:1]
	v_mov_b32_e32 v2, 0
	s_delay_alu instid0(VALU_DEP_1) | instskip(NEXT) | instid1(VALU_DEP_1)
	v_lshlrev_b64 v[0:1], 3, v[1:2]
	v_add_co_u32 v0, vcc_lo, s2, v0
	s_delay_alu instid0(VALU_DEP_2)
	v_add_co_ci_u32_e32 v1, vcc_lo, s3, v1, vcc_lo
	global_store_b64 v[0:1], v[3:4], off
                                        ; implicit-def: $vgpr0
                                        ; implicit-def: $vgpr1_vgpr2
                                        ; implicit-def: $vgpr3_vgpr4
.LBB483_42:
	s_and_not1_saveexec_b32 s0, s0
	s_cbranch_execz .LBB483_38
; %bb.43:
	v_mad_u64_u32 v[5:6], null, s8, 20, v[0:1]
	v_mov_b32_e32 v6, 0
	s_delay_alu instid0(VALU_DEP_1) | instskip(NEXT) | instid1(VALU_DEP_1)
	v_lshlrev_b64 v[5:6], 3, v[5:6]
	v_add_co_u32 v5, vcc_lo, s2, v5
	s_delay_alu instid0(VALU_DEP_2)
	v_add_co_ci_u32_e32 v6, vcc_lo, s3, v6, vcc_lo
	global_load_b64 v[7:8], v[5:6], off
	s_waitcnt vmcnt(0)
	v_fma_f64 v[0:1], v[1:2], v[7:8], v[3:4]
	global_store_b64 v[5:6], v[0:1], off
	s_nop 0
	s_sendmsg sendmsg(MSG_DEALLOC_VGPRS)
	s_endpgm
	.section	.rodata,"a",@progbits
	.p2align	6, 0x0
	.amdhsa_kernel _ZN9rocsparseL20bsrxmvn_17_32_kernelILj20EdiifddEEvT2_20rocsparse_direction_NS_24const_host_device_scalarIT0_EES1_PKS1_PKT1_SA_S7_PKT3_PKT4_S5_PT5_21rocsparse_index_base_b
		.amdhsa_group_segment_fixed_size 3200
		.amdhsa_private_segment_fixed_size 0
		.amdhsa_kernarg_size 96
		.amdhsa_user_sgpr_count 15
		.amdhsa_user_sgpr_dispatch_ptr 0
		.amdhsa_user_sgpr_queue_ptr 0
		.amdhsa_user_sgpr_kernarg_segment_ptr 1
		.amdhsa_user_sgpr_dispatch_id 0
		.amdhsa_user_sgpr_private_segment_size 0
		.amdhsa_wavefront_size32 1
		.amdhsa_uses_dynamic_stack 0
		.amdhsa_enable_private_segment 0
		.amdhsa_system_sgpr_workgroup_id_x 1
		.amdhsa_system_sgpr_workgroup_id_y 0
		.amdhsa_system_sgpr_workgroup_id_z 0
		.amdhsa_system_sgpr_workgroup_info 0
		.amdhsa_system_vgpr_workitem_id 0
		.amdhsa_next_free_vgpr 16
		.amdhsa_next_free_sgpr 16
		.amdhsa_reserve_vcc 1
		.amdhsa_float_round_mode_32 0
		.amdhsa_float_round_mode_16_64 0
		.amdhsa_float_denorm_mode_32 3
		.amdhsa_float_denorm_mode_16_64 3
		.amdhsa_dx10_clamp 1
		.amdhsa_ieee_mode 1
		.amdhsa_fp16_overflow 0
		.amdhsa_workgroup_processor_mode 1
		.amdhsa_memory_ordered 1
		.amdhsa_forward_progress 0
		.amdhsa_shared_vgpr_count 0
		.amdhsa_exception_fp_ieee_invalid_op 0
		.amdhsa_exception_fp_denorm_src 0
		.amdhsa_exception_fp_ieee_div_zero 0
		.amdhsa_exception_fp_ieee_overflow 0
		.amdhsa_exception_fp_ieee_underflow 0
		.amdhsa_exception_fp_ieee_inexact 0
		.amdhsa_exception_int_div_zero 0
	.end_amdhsa_kernel
	.section	.text._ZN9rocsparseL20bsrxmvn_17_32_kernelILj20EdiifddEEvT2_20rocsparse_direction_NS_24const_host_device_scalarIT0_EES1_PKS1_PKT1_SA_S7_PKT3_PKT4_S5_PT5_21rocsparse_index_base_b,"axG",@progbits,_ZN9rocsparseL20bsrxmvn_17_32_kernelILj20EdiifddEEvT2_20rocsparse_direction_NS_24const_host_device_scalarIT0_EES1_PKS1_PKT1_SA_S7_PKT3_PKT4_S5_PT5_21rocsparse_index_base_b,comdat
.Lfunc_end483:
	.size	_ZN9rocsparseL20bsrxmvn_17_32_kernelILj20EdiifddEEvT2_20rocsparse_direction_NS_24const_host_device_scalarIT0_EES1_PKS1_PKT1_SA_S7_PKT3_PKT4_S5_PT5_21rocsparse_index_base_b, .Lfunc_end483-_ZN9rocsparseL20bsrxmvn_17_32_kernelILj20EdiifddEEvT2_20rocsparse_direction_NS_24const_host_device_scalarIT0_EES1_PKS1_PKT1_SA_S7_PKT3_PKT4_S5_PT5_21rocsparse_index_base_b
                                        ; -- End function
	.section	.AMDGPU.csdata,"",@progbits
; Kernel info:
; codeLenInByte = 1616
; NumSgprs: 18
; NumVgprs: 16
; ScratchSize: 0
; MemoryBound: 0
; FloatMode: 240
; IeeeMode: 1
; LDSByteSize: 3200 bytes/workgroup (compile time only)
; SGPRBlocks: 2
; VGPRBlocks: 1
; NumSGPRsForWavesPerEU: 18
; NumVGPRsForWavesPerEU: 16
; Occupancy: 13
; WaveLimiterHint : 1
; COMPUTE_PGM_RSRC2:SCRATCH_EN: 0
; COMPUTE_PGM_RSRC2:USER_SGPR: 15
; COMPUTE_PGM_RSRC2:TRAP_HANDLER: 0
; COMPUTE_PGM_RSRC2:TGID_X_EN: 1
; COMPUTE_PGM_RSRC2:TGID_Y_EN: 0
; COMPUTE_PGM_RSRC2:TGID_Z_EN: 0
; COMPUTE_PGM_RSRC2:TIDIG_COMP_CNT: 0
	.section	.text._ZN9rocsparseL20bsrxmvn_17_32_kernelILj21EdiifddEEvT2_20rocsparse_direction_NS_24const_host_device_scalarIT0_EES1_PKS1_PKT1_SA_S7_PKT3_PKT4_S5_PT5_21rocsparse_index_base_b,"axG",@progbits,_ZN9rocsparseL20bsrxmvn_17_32_kernelILj21EdiifddEEvT2_20rocsparse_direction_NS_24const_host_device_scalarIT0_EES1_PKS1_PKT1_SA_S7_PKT3_PKT4_S5_PT5_21rocsparse_index_base_b,comdat
	.globl	_ZN9rocsparseL20bsrxmvn_17_32_kernelILj21EdiifddEEvT2_20rocsparse_direction_NS_24const_host_device_scalarIT0_EES1_PKS1_PKT1_SA_S7_PKT3_PKT4_S5_PT5_21rocsparse_index_base_b ; -- Begin function _ZN9rocsparseL20bsrxmvn_17_32_kernelILj21EdiifddEEvT2_20rocsparse_direction_NS_24const_host_device_scalarIT0_EES1_PKS1_PKT1_SA_S7_PKT3_PKT4_S5_PT5_21rocsparse_index_base_b
	.p2align	8
	.type	_ZN9rocsparseL20bsrxmvn_17_32_kernelILj21EdiifddEEvT2_20rocsparse_direction_NS_24const_host_device_scalarIT0_EES1_PKS1_PKT1_SA_S7_PKT3_PKT4_S5_PT5_21rocsparse_index_base_b,@function
_ZN9rocsparseL20bsrxmvn_17_32_kernelILj21EdiifddEEvT2_20rocsparse_direction_NS_24const_host_device_scalarIT0_EES1_PKS1_PKT1_SA_S7_PKT3_PKT4_S5_PT5_21rocsparse_index_base_b: ; @_ZN9rocsparseL20bsrxmvn_17_32_kernelILj21EdiifddEEvT2_20rocsparse_direction_NS_24const_host_device_scalarIT0_EES1_PKS1_PKT1_SA_S7_PKT3_PKT4_S5_PT5_21rocsparse_index_base_b
; %bb.0:
	s_clause 0x2
	s_load_b64 s[10:11], s[0:1], 0x58
	s_load_b64 s[4:5], s[0:1], 0x8
	;; [unrolled: 1-line block ×3, first 2 shown]
	s_mov_b32 s8, s15
	s_waitcnt lgkmcnt(0)
	s_bitcmp1_b32 s11, 0
	v_dual_mov_b32 v3, s4 :: v_dual_mov_b32 v4, s5
	s_cselect_b32 s6, -1, 0
	s_delay_alu instid0(SALU_CYCLE_1)
	s_and_b32 vcc_lo, exec_lo, s6
	s_xor_b32 s6, s6, -1
	s_cbranch_vccnz .LBB484_2
; %bb.1:
	v_dual_mov_b32 v1, s4 :: v_dual_mov_b32 v2, s5
	flat_load_b64 v[3:4], v[1:2]
.LBB484_2:
	v_dual_mov_b32 v1, s2 :: v_dual_mov_b32 v2, s3
	s_and_not1_b32 vcc_lo, exec_lo, s6
	s_cbranch_vccnz .LBB484_4
; %bb.3:
	v_dual_mov_b32 v1, s2 :: v_dual_mov_b32 v2, s3
	flat_load_b64 v[1:2], v[1:2]
.LBB484_4:
	s_waitcnt vmcnt(0) lgkmcnt(0)
	v_cmp_neq_f64_e32 vcc_lo, 0, v[3:4]
	v_cmp_neq_f64_e64 s2, 1.0, v[1:2]
	s_delay_alu instid0(VALU_DEP_1) | instskip(NEXT) | instid1(SALU_CYCLE_1)
	s_or_b32 s2, vcc_lo, s2
	s_and_saveexec_b32 s3, s2
	s_cbranch_execz .LBB484_38
; %bb.5:
	s_clause 0x1
	s_load_b128 s[4:7], s[0:1], 0x18
	s_load_b64 s[2:3], s[0:1], 0x28
	s_waitcnt lgkmcnt(0)
	s_cmp_eq_u64 s[4:5], 0
	s_cbranch_scc1 .LBB484_7
; %bb.6:
	s_ashr_i32 s9, s8, 31
	s_delay_alu instid0(SALU_CYCLE_1) | instskip(NEXT) | instid1(SALU_CYCLE_1)
	s_lshl_b64 s[8:9], s[8:9], 2
	s_add_u32 s4, s4, s8
	s_addc_u32 s5, s5, s9
	s_load_b32 s4, s[4:5], 0x0
	s_waitcnt lgkmcnt(0)
	s_sub_i32 s8, s4, s10
.LBB484_7:
	s_load_b32 s4, s[0:1], 0x4
	v_mul_u32_u24_e32 v5, 0xc31, v0
	s_delay_alu instid0(VALU_DEP_1) | instskip(SKIP_2) | instid1(VALU_DEP_3)
	v_lshrrev_b32_e32 v7, 16, v5
	v_mov_b32_e32 v5, 0
	v_mov_b32_e32 v6, 0
	v_mul_lo_u16 v8, v7, 21
	s_delay_alu instid0(VALU_DEP_1)
	v_sub_nc_u16 v12, v0, v8
	s_waitcnt lgkmcnt(0)
	s_cmp_eq_u32 s4, 1
	s_cselect_b32 vcc_lo, -1, 0
	s_cmp_lg_u32 s4, 1
	s_cselect_b32 s11, -1, 0
	s_ashr_i32 s9, s8, 31
	s_delay_alu instid0(SALU_CYCLE_1) | instskip(NEXT) | instid1(SALU_CYCLE_1)
	s_lshl_b64 s[4:5], s[8:9], 2
	s_add_u32 s6, s6, s4
	s_addc_u32 s7, s7, s5
	s_add_u32 s9, s6, 4
	s_addc_u32 s12, s7, 0
	;; [unrolled: 2-line block ×3, first 2 shown]
	s_cmp_eq_u64 s[2:3], 0
	s_cselect_b32 s3, s12, s5
	s_cselect_b32 s2, s9, s4
	s_load_b32 s12, s[6:7], 0x0
	s_load_b32 s9, s[2:3], 0x0
	s_load_b64 s[2:3], s[0:1], 0x50
	s_waitcnt lgkmcnt(0)
	s_cmp_ge_i32 s12, s9
	s_cbranch_scc1 .LBB484_12
; %bb.8:
	v_mul_lo_u16 v5, v7, 25
	s_clause 0x1
	s_load_b128 s[4:7], s[0:1], 0x30
	s_load_b64 s[0:1], s[0:1], 0x40
	v_lshlrev_b32_e32 v8, 2, v0
	v_and_b32_e32 v9, 0xffff, v12
	v_lshrrev_b16 v5, 9, v5
	s_sub_i32 s12, s12, s10
	s_sub_i32 s9, s9, s10
	s_mul_i32 s14, s12, 0x6e4
	s_mul_hi_i32 s13, s12, 0x6e4
	v_mul_lo_u16 v5, v5, 21
	s_delay_alu instid0(VALU_DEP_1) | instskip(SKIP_1) | instid1(VALU_DEP_2)
	v_sub_nc_u16 v7, v7, v5
	v_mov_b32_e32 v5, 0
	v_dual_mov_b32 v6, 0 :: v_dual_and_b32 v11, 0xff, v7
	v_and_b32_e32 v10, 0xffff, v0
	s_waitcnt lgkmcnt(0)
	s_add_u32 s6, s6, s14
	s_addc_u32 s7, s7, s13
	v_add_co_u32 v7, s6, s6, v8
	v_cndmask_b32_e32 v9, v9, v11, vcc_lo
	v_mul_u32_u24_e32 v10, 0x253, v10
	v_add_co_ci_u32_e64 v8, null, s7, 0, s6
	s_delay_alu instid0(VALU_DEP_2)
	v_lshrrev_b32_e32 v13, 18, v10
	s_set_inst_prefetch_distance 0x1
	s_branch .LBB484_10
	.p2align	6
.LBB484_9:                              ;   in Loop: Header=BB484_10 Depth=1
	s_or_b32 exec_lo, exec_lo, s6
	s_add_i32 s12, s12, 1
	s_delay_alu instid0(SALU_CYCLE_1)
	s_cmp_lt_i32 s12, s9
	s_cbranch_scc0 .LBB484_12
.LBB484_10:                             ; =>This Inner Loop Header: Depth=1
	s_delay_alu instid0(VALU_DEP_1) | instskip(SKIP_1) | instid1(VALU_DEP_1)
	v_add_nc_u32_e32 v10, s12, v13
	s_mov_b32 s6, exec_lo
	v_cmpx_gt_i32_e64 s9, v10
	s_cbranch_execz .LBB484_9
; %bb.11:                               ;   in Loop: Header=BB484_10 Depth=1
	v_ashrrev_i32_e32 v11, 31, v10
	s_delay_alu instid0(VALU_DEP_1) | instskip(NEXT) | instid1(VALU_DEP_1)
	v_lshlrev_b64 v[10:11], 2, v[10:11]
	v_add_co_u32 v10, vcc_lo, s4, v10
	s_delay_alu instid0(VALU_DEP_2) | instskip(SKIP_4) | instid1(VALU_DEP_1)
	v_add_co_ci_u32_e32 v11, vcc_lo, s5, v11, vcc_lo
	global_load_b32 v10, v[10:11], off
	global_load_b32 v14, v[7:8], off
	s_waitcnt vmcnt(1)
	v_subrev_nc_u32_e32 v15, s10, v10
	v_mad_u64_u32 v[10:11], null, v15, 21, v[9:10]
	s_waitcnt vmcnt(0)
	v_cvt_f64_f32_e32 v[14:15], v14
	s_delay_alu instid0(VALU_DEP_2) | instskip(NEXT) | instid1(VALU_DEP_1)
	v_ashrrev_i32_e32 v11, 31, v10
	v_lshlrev_b64 v[10:11], 3, v[10:11]
	s_delay_alu instid0(VALU_DEP_1) | instskip(NEXT) | instid1(VALU_DEP_2)
	v_add_co_u32 v10, vcc_lo, s0, v10
	v_add_co_ci_u32_e32 v11, vcc_lo, s1, v11, vcc_lo
	v_add_co_u32 v7, vcc_lo, 0x6e4, v7
	v_add_co_ci_u32_e32 v8, vcc_lo, 0, v8, vcc_lo
	global_load_b64 v[10:11], v[10:11], off
	s_waitcnt vmcnt(0)
	v_fma_f64 v[5:6], v[14:15], v[10:11], v[5:6]
	s_branch .LBB484_9
.LBB484_12:
	s_set_inst_prefetch_distance 0x2
	v_lshlrev_b32_e32 v7, 3, v0
	s_and_b32 vcc_lo, exec_lo, s11
	ds_store_b64 v7, v[5:6]
	s_waitcnt lgkmcnt(0)
	s_barrier
	buffer_gl0_inv
	s_cbranch_vccz .LBB484_24
; %bb.13:
	s_mov_b32 s0, exec_lo
	v_cmpx_gt_u16_e32 5, v12
	s_cbranch_execz .LBB484_15
; %bb.14:
	ds_load_2addr_b64 v[8:11], v7 offset1:16
	s_waitcnt lgkmcnt(0)
	v_add_f64 v[8:9], v[10:11], v[8:9]
	ds_store_b64 v7, v[8:9]
.LBB484_15:
	s_or_b32 exec_lo, exec_lo, s0
	s_delay_alu instid0(SALU_CYCLE_1)
	s_mov_b32 s0, exec_lo
	s_waitcnt lgkmcnt(0)
	s_barrier
	buffer_gl0_inv
	v_cmpx_gt_u16_e32 8, v12
	s_cbranch_execz .LBB484_17
; %bb.16:
	ds_load_2addr_b64 v[8:11], v7 offset1:8
	s_waitcnt lgkmcnt(0)
	v_add_f64 v[8:9], v[10:11], v[8:9]
	ds_store_b64 v7, v[8:9]
.LBB484_17:
	s_or_b32 exec_lo, exec_lo, s0
	s_delay_alu instid0(SALU_CYCLE_1)
	s_mov_b32 s0, exec_lo
	s_waitcnt lgkmcnt(0)
	s_barrier
	buffer_gl0_inv
	;; [unrolled: 14-line block ×3, first 2 shown]
	v_cmpx_gt_u16_e32 2, v12
	s_cbranch_execz .LBB484_21
; %bb.20:
	ds_load_2addr_b64 v[8:11], v7 offset1:2
	s_waitcnt lgkmcnt(0)
	v_add_f64 v[8:9], v[10:11], v[8:9]
	ds_store_b64 v7, v[8:9]
.LBB484_21:
	s_or_b32 exec_lo, exec_lo, s0
	s_mov_b32 s1, 0
	s_mov_b32 s0, 0
	s_mov_b32 s4, exec_lo
	s_waitcnt lgkmcnt(0)
	s_barrier
	buffer_gl0_inv
                                        ; implicit-def: $vgpr8
                                        ; implicit-def: $vgpr9
	v_cmpx_gt_u32_e32 21, v0
	s_xor_b32 s4, exec_lo, s4
; %bb.22:
	v_mad_u32_u24 v8, v0, 21, 1
	v_mad_u32_u24 v9, 0xa0, v0, v7
	s_mov_b32 s0, exec_lo
; %bb.23:
	s_or_b32 exec_lo, exec_lo, s4
	s_delay_alu instid0(SALU_CYCLE_1)
	s_and_b32 vcc_lo, exec_lo, s1
	s_cbranch_vccnz .LBB484_25
	s_branch .LBB484_36
.LBB484_24:
	s_mov_b32 s0, 0
                                        ; implicit-def: $vgpr8
                                        ; implicit-def: $vgpr9
	s_cbranch_execz .LBB484_36
.LBB484_25:
	s_mov_b32 s1, exec_lo
	v_cmpx_gt_u32_e32 0x69, v0
	s_cbranch_execz .LBB484_27
; %bb.26:
	ds_load_b64 v[8:9], v7 offset:2688
	ds_load_b64 v[10:11], v7
	s_waitcnt lgkmcnt(0)
	v_add_f64 v[8:9], v[8:9], v[10:11]
	ds_store_b64 v7, v[8:9]
.LBB484_27:
	s_or_b32 exec_lo, exec_lo, s1
	s_delay_alu instid0(SALU_CYCLE_1)
	s_mov_b32 s1, exec_lo
	s_waitcnt lgkmcnt(0)
	s_barrier
	buffer_gl0_inv
	v_cmpx_gt_u32_e32 0xa8, v0
	s_cbranch_execz .LBB484_29
; %bb.28:
	ds_load_2addr_b64 v[8:11], v7 offset1:168
	s_waitcnt lgkmcnt(0)
	v_add_f64 v[8:9], v[10:11], v[8:9]
	ds_store_b64 v7, v[8:9]
.LBB484_29:
	s_or_b32 exec_lo, exec_lo, s1
	s_delay_alu instid0(SALU_CYCLE_1)
	s_mov_b32 s1, exec_lo
	s_waitcnt lgkmcnt(0)
	s_barrier
	buffer_gl0_inv
	v_cmpx_gt_u32_e32 0x54, v0
	s_cbranch_execz .LBB484_31
; %bb.30:
	ds_load_2addr_b64 v[8:11], v7 offset1:84
	s_waitcnt lgkmcnt(0)
	v_add_f64 v[8:9], v[10:11], v[8:9]
	ds_store_b64 v7, v[8:9]
.LBB484_31:
	;; [unrolled: 14-line block ×3, first 2 shown]
	s_or_b32 exec_lo, exec_lo, s1
	s_delay_alu instid0(SALU_CYCLE_1)
	s_mov_b32 s1, exec_lo
	s_waitcnt lgkmcnt(0)
	buffer_gl0_inv
                                        ; implicit-def: $vgpr8
	v_cmpx_gt_u32_e32 21, v0
; %bb.34:
	v_add_nc_u32_e32 v8, 21, v0
	s_or_b32 s0, s0, exec_lo
                                        ; implicit-def: $vgpr5_vgpr6
; %bb.35:
	s_or_b32 exec_lo, exec_lo, s1
	v_mov_b32_e32 v9, v7
.LBB484_36:
	s_and_saveexec_b32 s1, s0
	s_cbranch_execnz .LBB484_39
; %bb.37:
	s_or_b32 exec_lo, exec_lo, s1
	v_cmp_gt_u32_e32 vcc_lo, 21, v0
	s_and_b32 exec_lo, exec_lo, vcc_lo
	s_cbranch_execnz .LBB484_40
.LBB484_38:
	s_nop 0
	s_sendmsg sendmsg(MSG_DEALLOC_VGPRS)
	s_endpgm
.LBB484_39:
	v_lshlrev_b32_e32 v7, 3, v8
	ds_load_b64 v[5:6], v9
	ds_load_b64 v[7:8], v7
	s_waitcnt lgkmcnt(0)
	v_add_f64 v[5:6], v[5:6], v[7:8]
	s_or_b32 exec_lo, exec_lo, s1
	v_cmp_gt_u32_e32 vcc_lo, 21, v0
	s_and_b32 exec_lo, exec_lo, vcc_lo
	s_cbranch_execz .LBB484_38
.LBB484_40:
	s_delay_alu instid0(VALU_DEP_2)
	v_mul_f64 v[3:4], v[3:4], v[5:6]
	s_mov_b32 s0, exec_lo
	v_cmpx_eq_f64_e32 0, v[1:2]
	s_xor_b32 s0, exec_lo, s0
	s_cbranch_execz .LBB484_42
; %bb.41:
	v_mad_u64_u32 v[1:2], null, s8, 21, v[0:1]
	v_mov_b32_e32 v2, 0
	s_delay_alu instid0(VALU_DEP_1) | instskip(NEXT) | instid1(VALU_DEP_1)
	v_lshlrev_b64 v[0:1], 3, v[1:2]
	v_add_co_u32 v0, vcc_lo, s2, v0
	s_delay_alu instid0(VALU_DEP_2)
	v_add_co_ci_u32_e32 v1, vcc_lo, s3, v1, vcc_lo
	global_store_b64 v[0:1], v[3:4], off
                                        ; implicit-def: $vgpr0
                                        ; implicit-def: $vgpr1_vgpr2
                                        ; implicit-def: $vgpr3_vgpr4
.LBB484_42:
	s_and_not1_saveexec_b32 s0, s0
	s_cbranch_execz .LBB484_38
; %bb.43:
	v_mad_u64_u32 v[5:6], null, s8, 21, v[0:1]
	v_mov_b32_e32 v6, 0
	s_delay_alu instid0(VALU_DEP_1) | instskip(NEXT) | instid1(VALU_DEP_1)
	v_lshlrev_b64 v[5:6], 3, v[5:6]
	v_add_co_u32 v5, vcc_lo, s2, v5
	s_delay_alu instid0(VALU_DEP_2)
	v_add_co_ci_u32_e32 v6, vcc_lo, s3, v6, vcc_lo
	global_load_b64 v[7:8], v[5:6], off
	s_waitcnt vmcnt(0)
	v_fma_f64 v[0:1], v[1:2], v[7:8], v[3:4]
	global_store_b64 v[5:6], v[0:1], off
	s_nop 0
	s_sendmsg sendmsg(MSG_DEALLOC_VGPRS)
	s_endpgm
	.section	.rodata,"a",@progbits
	.p2align	6, 0x0
	.amdhsa_kernel _ZN9rocsparseL20bsrxmvn_17_32_kernelILj21EdiifddEEvT2_20rocsparse_direction_NS_24const_host_device_scalarIT0_EES1_PKS1_PKT1_SA_S7_PKT3_PKT4_S5_PT5_21rocsparse_index_base_b
		.amdhsa_group_segment_fixed_size 3528
		.amdhsa_private_segment_fixed_size 0
		.amdhsa_kernarg_size 96
		.amdhsa_user_sgpr_count 15
		.amdhsa_user_sgpr_dispatch_ptr 0
		.amdhsa_user_sgpr_queue_ptr 0
		.amdhsa_user_sgpr_kernarg_segment_ptr 1
		.amdhsa_user_sgpr_dispatch_id 0
		.amdhsa_user_sgpr_private_segment_size 0
		.amdhsa_wavefront_size32 1
		.amdhsa_uses_dynamic_stack 0
		.amdhsa_enable_private_segment 0
		.amdhsa_system_sgpr_workgroup_id_x 1
		.amdhsa_system_sgpr_workgroup_id_y 0
		.amdhsa_system_sgpr_workgroup_id_z 0
		.amdhsa_system_sgpr_workgroup_info 0
		.amdhsa_system_vgpr_workitem_id 0
		.amdhsa_next_free_vgpr 16
		.amdhsa_next_free_sgpr 16
		.amdhsa_reserve_vcc 1
		.amdhsa_float_round_mode_32 0
		.amdhsa_float_round_mode_16_64 0
		.amdhsa_float_denorm_mode_32 3
		.amdhsa_float_denorm_mode_16_64 3
		.amdhsa_dx10_clamp 1
		.amdhsa_ieee_mode 1
		.amdhsa_fp16_overflow 0
		.amdhsa_workgroup_processor_mode 1
		.amdhsa_memory_ordered 1
		.amdhsa_forward_progress 0
		.amdhsa_shared_vgpr_count 0
		.amdhsa_exception_fp_ieee_invalid_op 0
		.amdhsa_exception_fp_denorm_src 0
		.amdhsa_exception_fp_ieee_div_zero 0
		.amdhsa_exception_fp_ieee_overflow 0
		.amdhsa_exception_fp_ieee_underflow 0
		.amdhsa_exception_fp_ieee_inexact 0
		.amdhsa_exception_int_div_zero 0
	.end_amdhsa_kernel
	.section	.text._ZN9rocsparseL20bsrxmvn_17_32_kernelILj21EdiifddEEvT2_20rocsparse_direction_NS_24const_host_device_scalarIT0_EES1_PKS1_PKT1_SA_S7_PKT3_PKT4_S5_PT5_21rocsparse_index_base_b,"axG",@progbits,_ZN9rocsparseL20bsrxmvn_17_32_kernelILj21EdiifddEEvT2_20rocsparse_direction_NS_24const_host_device_scalarIT0_EES1_PKS1_PKT1_SA_S7_PKT3_PKT4_S5_PT5_21rocsparse_index_base_b,comdat
.Lfunc_end484:
	.size	_ZN9rocsparseL20bsrxmvn_17_32_kernelILj21EdiifddEEvT2_20rocsparse_direction_NS_24const_host_device_scalarIT0_EES1_PKS1_PKT1_SA_S7_PKT3_PKT4_S5_PT5_21rocsparse_index_base_b, .Lfunc_end484-_ZN9rocsparseL20bsrxmvn_17_32_kernelILj21EdiifddEEvT2_20rocsparse_direction_NS_24const_host_device_scalarIT0_EES1_PKS1_PKT1_SA_S7_PKT3_PKT4_S5_PT5_21rocsparse_index_base_b
                                        ; -- End function
	.section	.AMDGPU.csdata,"",@progbits
; Kernel info:
; codeLenInByte = 1640
; NumSgprs: 18
; NumVgprs: 16
; ScratchSize: 0
; MemoryBound: 0
; FloatMode: 240
; IeeeMode: 1
; LDSByteSize: 3528 bytes/workgroup (compile time only)
; SGPRBlocks: 2
; VGPRBlocks: 1
; NumSGPRsForWavesPerEU: 18
; NumVGPRsForWavesPerEU: 16
; Occupancy: 14
; WaveLimiterHint : 1
; COMPUTE_PGM_RSRC2:SCRATCH_EN: 0
; COMPUTE_PGM_RSRC2:USER_SGPR: 15
; COMPUTE_PGM_RSRC2:TRAP_HANDLER: 0
; COMPUTE_PGM_RSRC2:TGID_X_EN: 1
; COMPUTE_PGM_RSRC2:TGID_Y_EN: 0
; COMPUTE_PGM_RSRC2:TGID_Z_EN: 0
; COMPUTE_PGM_RSRC2:TIDIG_COMP_CNT: 0
	.section	.text._ZN9rocsparseL20bsrxmvn_17_32_kernelILj22EdiifddEEvT2_20rocsparse_direction_NS_24const_host_device_scalarIT0_EES1_PKS1_PKT1_SA_S7_PKT3_PKT4_S5_PT5_21rocsparse_index_base_b,"axG",@progbits,_ZN9rocsparseL20bsrxmvn_17_32_kernelILj22EdiifddEEvT2_20rocsparse_direction_NS_24const_host_device_scalarIT0_EES1_PKS1_PKT1_SA_S7_PKT3_PKT4_S5_PT5_21rocsparse_index_base_b,comdat
	.globl	_ZN9rocsparseL20bsrxmvn_17_32_kernelILj22EdiifddEEvT2_20rocsparse_direction_NS_24const_host_device_scalarIT0_EES1_PKS1_PKT1_SA_S7_PKT3_PKT4_S5_PT5_21rocsparse_index_base_b ; -- Begin function _ZN9rocsparseL20bsrxmvn_17_32_kernelILj22EdiifddEEvT2_20rocsparse_direction_NS_24const_host_device_scalarIT0_EES1_PKS1_PKT1_SA_S7_PKT3_PKT4_S5_PT5_21rocsparse_index_base_b
	.p2align	8
	.type	_ZN9rocsparseL20bsrxmvn_17_32_kernelILj22EdiifddEEvT2_20rocsparse_direction_NS_24const_host_device_scalarIT0_EES1_PKS1_PKT1_SA_S7_PKT3_PKT4_S5_PT5_21rocsparse_index_base_b,@function
_ZN9rocsparseL20bsrxmvn_17_32_kernelILj22EdiifddEEvT2_20rocsparse_direction_NS_24const_host_device_scalarIT0_EES1_PKS1_PKT1_SA_S7_PKT3_PKT4_S5_PT5_21rocsparse_index_base_b: ; @_ZN9rocsparseL20bsrxmvn_17_32_kernelILj22EdiifddEEvT2_20rocsparse_direction_NS_24const_host_device_scalarIT0_EES1_PKS1_PKT1_SA_S7_PKT3_PKT4_S5_PT5_21rocsparse_index_base_b
; %bb.0:
	s_clause 0x2
	s_load_b64 s[10:11], s[0:1], 0x58
	s_load_b64 s[4:5], s[0:1], 0x8
	;; [unrolled: 1-line block ×3, first 2 shown]
	s_mov_b32 s8, s15
	s_waitcnt lgkmcnt(0)
	s_bitcmp1_b32 s11, 0
	v_dual_mov_b32 v3, s4 :: v_dual_mov_b32 v4, s5
	s_cselect_b32 s6, -1, 0
	s_delay_alu instid0(SALU_CYCLE_1)
	s_and_b32 vcc_lo, exec_lo, s6
	s_xor_b32 s6, s6, -1
	s_cbranch_vccnz .LBB485_2
; %bb.1:
	v_dual_mov_b32 v1, s4 :: v_dual_mov_b32 v2, s5
	flat_load_b64 v[3:4], v[1:2]
.LBB485_2:
	v_dual_mov_b32 v1, s2 :: v_dual_mov_b32 v2, s3
	s_and_not1_b32 vcc_lo, exec_lo, s6
	s_cbranch_vccnz .LBB485_4
; %bb.3:
	v_dual_mov_b32 v1, s2 :: v_dual_mov_b32 v2, s3
	flat_load_b64 v[1:2], v[1:2]
.LBB485_4:
	s_waitcnt vmcnt(0) lgkmcnt(0)
	v_cmp_neq_f64_e32 vcc_lo, 0, v[3:4]
	v_cmp_neq_f64_e64 s2, 1.0, v[1:2]
	s_delay_alu instid0(VALU_DEP_1) | instskip(NEXT) | instid1(SALU_CYCLE_1)
	s_or_b32 s2, vcc_lo, s2
	s_and_saveexec_b32 s3, s2
	s_cbranch_execz .LBB485_38
; %bb.5:
	s_clause 0x1
	s_load_b128 s[4:7], s[0:1], 0x18
	s_load_b64 s[2:3], s[0:1], 0x28
	s_waitcnt lgkmcnt(0)
	s_cmp_eq_u64 s[4:5], 0
	s_cbranch_scc1 .LBB485_7
; %bb.6:
	s_ashr_i32 s9, s8, 31
	s_delay_alu instid0(SALU_CYCLE_1) | instskip(NEXT) | instid1(SALU_CYCLE_1)
	s_lshl_b64 s[8:9], s[8:9], 2
	s_add_u32 s4, s4, s8
	s_addc_u32 s5, s5, s9
	s_load_b32 s4, s[4:5], 0x0
	s_waitcnt lgkmcnt(0)
	s_sub_i32 s8, s4, s10
.LBB485_7:
	s_load_b32 s4, s[0:1], 0x4
	v_mul_u32_u24_e32 v5, 0xba3, v0
	s_delay_alu instid0(VALU_DEP_1) | instskip(SKIP_2) | instid1(VALU_DEP_3)
	v_lshrrev_b32_e32 v7, 16, v5
	v_mov_b32_e32 v5, 0
	v_mov_b32_e32 v6, 0
	v_mul_lo_u16 v8, v7, 22
	s_delay_alu instid0(VALU_DEP_1)
	v_sub_nc_u16 v12, v0, v8
	s_waitcnt lgkmcnt(0)
	s_cmp_eq_u32 s4, 1
	s_cselect_b32 vcc_lo, -1, 0
	s_cmp_lg_u32 s4, 1
	s_cselect_b32 s11, -1, 0
	s_ashr_i32 s9, s8, 31
	s_delay_alu instid0(SALU_CYCLE_1) | instskip(NEXT) | instid1(SALU_CYCLE_1)
	s_lshl_b64 s[4:5], s[8:9], 2
	s_add_u32 s6, s6, s4
	s_addc_u32 s7, s7, s5
	s_add_u32 s9, s6, 4
	s_addc_u32 s12, s7, 0
	;; [unrolled: 2-line block ×3, first 2 shown]
	s_cmp_eq_u64 s[2:3], 0
	s_cselect_b32 s3, s12, s5
	s_cselect_b32 s2, s9, s4
	s_load_b32 s12, s[6:7], 0x0
	s_load_b32 s9, s[2:3], 0x0
	s_load_b64 s[2:3], s[0:1], 0x50
	s_waitcnt lgkmcnt(0)
	s_cmp_ge_i32 s12, s9
	s_cbranch_scc1 .LBB485_12
; %bb.8:
	v_mul_lo_u16 v5, v7, 12
	s_clause 0x1
	s_load_b128 s[4:7], s[0:1], 0x30
	s_load_b64 s[0:1], s[0:1], 0x40
	v_lshlrev_b32_e32 v8, 2, v0
	v_and_b32_e32 v9, 0xffff, v12
	v_lshrrev_b16 v5, 8, v5
	s_sub_i32 s12, s12, s10
	s_sub_i32 s9, s9, s10
	s_mul_i32 s14, s12, 0x790
	s_mul_hi_i32 s13, s12, 0x790
	v_mul_lo_u16 v5, v5, 22
	s_delay_alu instid0(VALU_DEP_1) | instskip(SKIP_1) | instid1(VALU_DEP_2)
	v_sub_nc_u16 v7, v7, v5
	v_mov_b32_e32 v5, 0
	v_dual_mov_b32 v6, 0 :: v_dual_and_b32 v11, 0xff, v7
	v_and_b32_e32 v10, 0xffff, v0
	s_waitcnt lgkmcnt(0)
	s_add_u32 s6, s6, s14
	s_addc_u32 s7, s7, s13
	v_add_co_u32 v7, s6, s6, v8
	v_cndmask_b32_e32 v9, v9, v11, vcc_lo
	v_mul_u32_u24_e32 v10, 0x10f, v10
	v_add_co_ci_u32_e64 v8, null, s7, 0, s6
	s_delay_alu instid0(VALU_DEP_2)
	v_lshrrev_b32_e32 v13, 17, v10
	s_set_inst_prefetch_distance 0x1
	s_branch .LBB485_10
	.p2align	6
.LBB485_9:                              ;   in Loop: Header=BB485_10 Depth=1
	s_or_b32 exec_lo, exec_lo, s6
	s_add_i32 s12, s12, 1
	s_delay_alu instid0(SALU_CYCLE_1)
	s_cmp_lt_i32 s12, s9
	s_cbranch_scc0 .LBB485_12
.LBB485_10:                             ; =>This Inner Loop Header: Depth=1
	s_delay_alu instid0(VALU_DEP_1) | instskip(SKIP_1) | instid1(VALU_DEP_1)
	v_add_nc_u32_e32 v10, s12, v13
	s_mov_b32 s6, exec_lo
	v_cmpx_gt_i32_e64 s9, v10
	s_cbranch_execz .LBB485_9
; %bb.11:                               ;   in Loop: Header=BB485_10 Depth=1
	v_ashrrev_i32_e32 v11, 31, v10
	s_delay_alu instid0(VALU_DEP_1) | instskip(NEXT) | instid1(VALU_DEP_1)
	v_lshlrev_b64 v[10:11], 2, v[10:11]
	v_add_co_u32 v10, vcc_lo, s4, v10
	s_delay_alu instid0(VALU_DEP_2) | instskip(SKIP_4) | instid1(VALU_DEP_1)
	v_add_co_ci_u32_e32 v11, vcc_lo, s5, v11, vcc_lo
	global_load_b32 v10, v[10:11], off
	global_load_b32 v14, v[7:8], off
	s_waitcnt vmcnt(1)
	v_subrev_nc_u32_e32 v15, s10, v10
	v_mad_u64_u32 v[10:11], null, v15, 22, v[9:10]
	s_waitcnt vmcnt(0)
	v_cvt_f64_f32_e32 v[14:15], v14
	s_delay_alu instid0(VALU_DEP_2) | instskip(NEXT) | instid1(VALU_DEP_1)
	v_ashrrev_i32_e32 v11, 31, v10
	v_lshlrev_b64 v[10:11], 3, v[10:11]
	s_delay_alu instid0(VALU_DEP_1) | instskip(NEXT) | instid1(VALU_DEP_2)
	v_add_co_u32 v10, vcc_lo, s0, v10
	v_add_co_ci_u32_e32 v11, vcc_lo, s1, v11, vcc_lo
	v_add_co_u32 v7, vcc_lo, 0x790, v7
	v_add_co_ci_u32_e32 v8, vcc_lo, 0, v8, vcc_lo
	global_load_b64 v[10:11], v[10:11], off
	s_waitcnt vmcnt(0)
	v_fma_f64 v[5:6], v[14:15], v[10:11], v[5:6]
	s_branch .LBB485_9
.LBB485_12:
	s_set_inst_prefetch_distance 0x2
	v_lshlrev_b32_e32 v7, 3, v0
	s_and_b32 vcc_lo, exec_lo, s11
	ds_store_b64 v7, v[5:6]
	s_waitcnt lgkmcnt(0)
	s_barrier
	buffer_gl0_inv
	s_cbranch_vccz .LBB485_24
; %bb.13:
	s_mov_b32 s0, exec_lo
	v_cmpx_gt_u16_e32 6, v12
	s_cbranch_execz .LBB485_15
; %bb.14:
	ds_load_2addr_b64 v[8:11], v7 offset1:16
	s_waitcnt lgkmcnt(0)
	v_add_f64 v[8:9], v[10:11], v[8:9]
	ds_store_b64 v7, v[8:9]
.LBB485_15:
	s_or_b32 exec_lo, exec_lo, s0
	s_delay_alu instid0(SALU_CYCLE_1)
	s_mov_b32 s0, exec_lo
	s_waitcnt lgkmcnt(0)
	s_barrier
	buffer_gl0_inv
	v_cmpx_gt_u16_e32 8, v12
	s_cbranch_execz .LBB485_17
; %bb.16:
	ds_load_2addr_b64 v[8:11], v7 offset1:8
	s_waitcnt lgkmcnt(0)
	v_add_f64 v[8:9], v[10:11], v[8:9]
	ds_store_b64 v7, v[8:9]
.LBB485_17:
	s_or_b32 exec_lo, exec_lo, s0
	s_delay_alu instid0(SALU_CYCLE_1)
	s_mov_b32 s0, exec_lo
	s_waitcnt lgkmcnt(0)
	s_barrier
	buffer_gl0_inv
	;; [unrolled: 14-line block ×3, first 2 shown]
	v_cmpx_gt_u16_e32 2, v12
	s_cbranch_execz .LBB485_21
; %bb.20:
	ds_load_2addr_b64 v[8:11], v7 offset1:2
	s_waitcnt lgkmcnt(0)
	v_add_f64 v[8:9], v[10:11], v[8:9]
	ds_store_b64 v7, v[8:9]
.LBB485_21:
	s_or_b32 exec_lo, exec_lo, s0
	s_mov_b32 s1, 0
	s_mov_b32 s0, 0
	s_mov_b32 s4, exec_lo
	s_waitcnt lgkmcnt(0)
	s_barrier
	buffer_gl0_inv
                                        ; implicit-def: $vgpr8
                                        ; implicit-def: $vgpr9
	v_cmpx_gt_u32_e32 22, v0
	s_xor_b32 s4, exec_lo, s4
; %bb.22:
	v_mul_u32_u24_e32 v8, 22, v0
	v_mad_u32_u24 v9, 0xa8, v0, v7
	s_mov_b32 s0, exec_lo
	s_delay_alu instid0(VALU_DEP_2)
	v_or_b32_e32 v8, 1, v8
; %bb.23:
	s_or_b32 exec_lo, exec_lo, s4
	s_delay_alu instid0(SALU_CYCLE_1)
	s_and_b32 vcc_lo, exec_lo, s1
	s_cbranch_vccnz .LBB485_25
	s_branch .LBB485_36
.LBB485_24:
	s_mov_b32 s0, 0
                                        ; implicit-def: $vgpr8
                                        ; implicit-def: $vgpr9
	s_cbranch_execz .LBB485_36
.LBB485_25:
	s_mov_b32 s1, exec_lo
	v_cmpx_gt_u32_e32 0x84, v0
	s_cbranch_execz .LBB485_27
; %bb.26:
	ds_load_b64 v[8:9], v7 offset:2816
	ds_load_b64 v[10:11], v7
	s_waitcnt lgkmcnt(0)
	v_add_f64 v[8:9], v[8:9], v[10:11]
	ds_store_b64 v7, v[8:9]
.LBB485_27:
	s_or_b32 exec_lo, exec_lo, s1
	s_delay_alu instid0(SALU_CYCLE_1)
	s_mov_b32 s1, exec_lo
	s_waitcnt lgkmcnt(0)
	s_barrier
	buffer_gl0_inv
	v_cmpx_gt_u32_e32 0xb0, v0
	s_cbranch_execz .LBB485_29
; %bb.28:
	ds_load_2addr_b64 v[8:11], v7 offset1:176
	s_waitcnt lgkmcnt(0)
	v_add_f64 v[8:9], v[10:11], v[8:9]
	ds_store_b64 v7, v[8:9]
.LBB485_29:
	s_or_b32 exec_lo, exec_lo, s1
	s_delay_alu instid0(SALU_CYCLE_1)
	s_mov_b32 s1, exec_lo
	s_waitcnt lgkmcnt(0)
	s_barrier
	buffer_gl0_inv
	v_cmpx_gt_u32_e32 0x58, v0
	s_cbranch_execz .LBB485_31
; %bb.30:
	ds_load_2addr_b64 v[8:11], v7 offset1:88
	s_waitcnt lgkmcnt(0)
	v_add_f64 v[8:9], v[10:11], v[8:9]
	ds_store_b64 v7, v[8:9]
.LBB485_31:
	;; [unrolled: 14-line block ×3, first 2 shown]
	s_or_b32 exec_lo, exec_lo, s1
	s_delay_alu instid0(SALU_CYCLE_1)
	s_mov_b32 s1, exec_lo
	s_waitcnt lgkmcnt(0)
	buffer_gl0_inv
                                        ; implicit-def: $vgpr8
	v_cmpx_gt_u32_e32 22, v0
; %bb.34:
	v_add_nc_u32_e32 v8, 22, v0
	s_or_b32 s0, s0, exec_lo
                                        ; implicit-def: $vgpr5_vgpr6
; %bb.35:
	s_or_b32 exec_lo, exec_lo, s1
	v_mov_b32_e32 v9, v7
.LBB485_36:
	s_and_saveexec_b32 s1, s0
	s_cbranch_execnz .LBB485_39
; %bb.37:
	s_or_b32 exec_lo, exec_lo, s1
	v_cmp_gt_u32_e32 vcc_lo, 22, v0
	s_and_b32 exec_lo, exec_lo, vcc_lo
	s_cbranch_execnz .LBB485_40
.LBB485_38:
	s_nop 0
	s_sendmsg sendmsg(MSG_DEALLOC_VGPRS)
	s_endpgm
.LBB485_39:
	v_lshlrev_b32_e32 v7, 3, v8
	ds_load_b64 v[5:6], v9
	ds_load_b64 v[7:8], v7
	s_waitcnt lgkmcnt(0)
	v_add_f64 v[5:6], v[5:6], v[7:8]
	s_or_b32 exec_lo, exec_lo, s1
	v_cmp_gt_u32_e32 vcc_lo, 22, v0
	s_and_b32 exec_lo, exec_lo, vcc_lo
	s_cbranch_execz .LBB485_38
.LBB485_40:
	s_delay_alu instid0(VALU_DEP_2)
	v_mul_f64 v[3:4], v[3:4], v[5:6]
	s_mov_b32 s0, exec_lo
	v_cmpx_eq_f64_e32 0, v[1:2]
	s_xor_b32 s0, exec_lo, s0
	s_cbranch_execz .LBB485_42
; %bb.41:
	v_mad_u64_u32 v[1:2], null, s8, 22, v[0:1]
	v_mov_b32_e32 v2, 0
	s_delay_alu instid0(VALU_DEP_1) | instskip(NEXT) | instid1(VALU_DEP_1)
	v_lshlrev_b64 v[0:1], 3, v[1:2]
	v_add_co_u32 v0, vcc_lo, s2, v0
	s_delay_alu instid0(VALU_DEP_2)
	v_add_co_ci_u32_e32 v1, vcc_lo, s3, v1, vcc_lo
	global_store_b64 v[0:1], v[3:4], off
                                        ; implicit-def: $vgpr0
                                        ; implicit-def: $vgpr1_vgpr2
                                        ; implicit-def: $vgpr3_vgpr4
.LBB485_42:
	s_and_not1_saveexec_b32 s0, s0
	s_cbranch_execz .LBB485_38
; %bb.43:
	v_mad_u64_u32 v[5:6], null, s8, 22, v[0:1]
	v_mov_b32_e32 v6, 0
	s_delay_alu instid0(VALU_DEP_1) | instskip(NEXT) | instid1(VALU_DEP_1)
	v_lshlrev_b64 v[5:6], 3, v[5:6]
	v_add_co_u32 v5, vcc_lo, s2, v5
	s_delay_alu instid0(VALU_DEP_2)
	v_add_co_ci_u32_e32 v6, vcc_lo, s3, v6, vcc_lo
	global_load_b64 v[7:8], v[5:6], off
	s_waitcnt vmcnt(0)
	v_fma_f64 v[0:1], v[1:2], v[7:8], v[3:4]
	global_store_b64 v[5:6], v[0:1], off
	s_nop 0
	s_sendmsg sendmsg(MSG_DEALLOC_VGPRS)
	s_endpgm
	.section	.rodata,"a",@progbits
	.p2align	6, 0x0
	.amdhsa_kernel _ZN9rocsparseL20bsrxmvn_17_32_kernelILj22EdiifddEEvT2_20rocsparse_direction_NS_24const_host_device_scalarIT0_EES1_PKS1_PKT1_SA_S7_PKT3_PKT4_S5_PT5_21rocsparse_index_base_b
		.amdhsa_group_segment_fixed_size 3872
		.amdhsa_private_segment_fixed_size 0
		.amdhsa_kernarg_size 96
		.amdhsa_user_sgpr_count 15
		.amdhsa_user_sgpr_dispatch_ptr 0
		.amdhsa_user_sgpr_queue_ptr 0
		.amdhsa_user_sgpr_kernarg_segment_ptr 1
		.amdhsa_user_sgpr_dispatch_id 0
		.amdhsa_user_sgpr_private_segment_size 0
		.amdhsa_wavefront_size32 1
		.amdhsa_uses_dynamic_stack 0
		.amdhsa_enable_private_segment 0
		.amdhsa_system_sgpr_workgroup_id_x 1
		.amdhsa_system_sgpr_workgroup_id_y 0
		.amdhsa_system_sgpr_workgroup_id_z 0
		.amdhsa_system_sgpr_workgroup_info 0
		.amdhsa_system_vgpr_workitem_id 0
		.amdhsa_next_free_vgpr 16
		.amdhsa_next_free_sgpr 16
		.amdhsa_reserve_vcc 1
		.amdhsa_float_round_mode_32 0
		.amdhsa_float_round_mode_16_64 0
		.amdhsa_float_denorm_mode_32 3
		.amdhsa_float_denorm_mode_16_64 3
		.amdhsa_dx10_clamp 1
		.amdhsa_ieee_mode 1
		.amdhsa_fp16_overflow 0
		.amdhsa_workgroup_processor_mode 1
		.amdhsa_memory_ordered 1
		.amdhsa_forward_progress 0
		.amdhsa_shared_vgpr_count 0
		.amdhsa_exception_fp_ieee_invalid_op 0
		.amdhsa_exception_fp_denorm_src 0
		.amdhsa_exception_fp_ieee_div_zero 0
		.amdhsa_exception_fp_ieee_overflow 0
		.amdhsa_exception_fp_ieee_underflow 0
		.amdhsa_exception_fp_ieee_inexact 0
		.amdhsa_exception_int_div_zero 0
	.end_amdhsa_kernel
	.section	.text._ZN9rocsparseL20bsrxmvn_17_32_kernelILj22EdiifddEEvT2_20rocsparse_direction_NS_24const_host_device_scalarIT0_EES1_PKS1_PKT1_SA_S7_PKT3_PKT4_S5_PT5_21rocsparse_index_base_b,"axG",@progbits,_ZN9rocsparseL20bsrxmvn_17_32_kernelILj22EdiifddEEvT2_20rocsparse_direction_NS_24const_host_device_scalarIT0_EES1_PKS1_PKT1_SA_S7_PKT3_PKT4_S5_PT5_21rocsparse_index_base_b,comdat
.Lfunc_end485:
	.size	_ZN9rocsparseL20bsrxmvn_17_32_kernelILj22EdiifddEEvT2_20rocsparse_direction_NS_24const_host_device_scalarIT0_EES1_PKS1_PKT1_SA_S7_PKT3_PKT4_S5_PT5_21rocsparse_index_base_b, .Lfunc_end485-_ZN9rocsparseL20bsrxmvn_17_32_kernelILj22EdiifddEEvT2_20rocsparse_direction_NS_24const_host_device_scalarIT0_EES1_PKS1_PKT1_SA_S7_PKT3_PKT4_S5_PT5_21rocsparse_index_base_b
                                        ; -- End function
	.section	.AMDGPU.csdata,"",@progbits
; Kernel info:
; codeLenInByte = 1644
; NumSgprs: 18
; NumVgprs: 16
; ScratchSize: 0
; MemoryBound: 0
; FloatMode: 240
; IeeeMode: 1
; LDSByteSize: 3872 bytes/workgroup (compile time only)
; SGPRBlocks: 2
; VGPRBlocks: 1
; NumSGPRsForWavesPerEU: 18
; NumVGPRsForWavesPerEU: 16
; Occupancy: 16
; WaveLimiterHint : 1
; COMPUTE_PGM_RSRC2:SCRATCH_EN: 0
; COMPUTE_PGM_RSRC2:USER_SGPR: 15
; COMPUTE_PGM_RSRC2:TRAP_HANDLER: 0
; COMPUTE_PGM_RSRC2:TGID_X_EN: 1
; COMPUTE_PGM_RSRC2:TGID_Y_EN: 0
; COMPUTE_PGM_RSRC2:TGID_Z_EN: 0
; COMPUTE_PGM_RSRC2:TIDIG_COMP_CNT: 0
	.section	.text._ZN9rocsparseL20bsrxmvn_17_32_kernelILj23EdiifddEEvT2_20rocsparse_direction_NS_24const_host_device_scalarIT0_EES1_PKS1_PKT1_SA_S7_PKT3_PKT4_S5_PT5_21rocsparse_index_base_b,"axG",@progbits,_ZN9rocsparseL20bsrxmvn_17_32_kernelILj23EdiifddEEvT2_20rocsparse_direction_NS_24const_host_device_scalarIT0_EES1_PKS1_PKT1_SA_S7_PKT3_PKT4_S5_PT5_21rocsparse_index_base_b,comdat
	.globl	_ZN9rocsparseL20bsrxmvn_17_32_kernelILj23EdiifddEEvT2_20rocsparse_direction_NS_24const_host_device_scalarIT0_EES1_PKS1_PKT1_SA_S7_PKT3_PKT4_S5_PT5_21rocsparse_index_base_b ; -- Begin function _ZN9rocsparseL20bsrxmvn_17_32_kernelILj23EdiifddEEvT2_20rocsparse_direction_NS_24const_host_device_scalarIT0_EES1_PKS1_PKT1_SA_S7_PKT3_PKT4_S5_PT5_21rocsparse_index_base_b
	.p2align	8
	.type	_ZN9rocsparseL20bsrxmvn_17_32_kernelILj23EdiifddEEvT2_20rocsparse_direction_NS_24const_host_device_scalarIT0_EES1_PKS1_PKT1_SA_S7_PKT3_PKT4_S5_PT5_21rocsparse_index_base_b,@function
_ZN9rocsparseL20bsrxmvn_17_32_kernelILj23EdiifddEEvT2_20rocsparse_direction_NS_24const_host_device_scalarIT0_EES1_PKS1_PKT1_SA_S7_PKT3_PKT4_S5_PT5_21rocsparse_index_base_b: ; @_ZN9rocsparseL20bsrxmvn_17_32_kernelILj23EdiifddEEvT2_20rocsparse_direction_NS_24const_host_device_scalarIT0_EES1_PKS1_PKT1_SA_S7_PKT3_PKT4_S5_PT5_21rocsparse_index_base_b
; %bb.0:
	s_clause 0x2
	s_load_b64 s[10:11], s[0:1], 0x58
	s_load_b64 s[4:5], s[0:1], 0x8
	;; [unrolled: 1-line block ×3, first 2 shown]
	s_mov_b32 s8, s15
	s_waitcnt lgkmcnt(0)
	s_bitcmp1_b32 s11, 0
	v_dual_mov_b32 v3, s4 :: v_dual_mov_b32 v4, s5
	s_cselect_b32 s6, -1, 0
	s_delay_alu instid0(SALU_CYCLE_1)
	s_and_b32 vcc_lo, exec_lo, s6
	s_xor_b32 s6, s6, -1
	s_cbranch_vccnz .LBB486_2
; %bb.1:
	v_dual_mov_b32 v1, s4 :: v_dual_mov_b32 v2, s5
	flat_load_b64 v[3:4], v[1:2]
.LBB486_2:
	v_dual_mov_b32 v1, s2 :: v_dual_mov_b32 v2, s3
	s_and_not1_b32 vcc_lo, exec_lo, s6
	s_cbranch_vccnz .LBB486_4
; %bb.3:
	v_dual_mov_b32 v1, s2 :: v_dual_mov_b32 v2, s3
	flat_load_b64 v[1:2], v[1:2]
.LBB486_4:
	s_waitcnt vmcnt(0) lgkmcnt(0)
	v_cmp_neq_f64_e32 vcc_lo, 0, v[3:4]
	v_cmp_neq_f64_e64 s2, 1.0, v[1:2]
	s_delay_alu instid0(VALU_DEP_1) | instskip(NEXT) | instid1(SALU_CYCLE_1)
	s_or_b32 s2, vcc_lo, s2
	s_and_saveexec_b32 s3, s2
	s_cbranch_execz .LBB486_38
; %bb.5:
	s_clause 0x1
	s_load_b128 s[4:7], s[0:1], 0x18
	s_load_b64 s[2:3], s[0:1], 0x28
	s_waitcnt lgkmcnt(0)
	s_cmp_eq_u64 s[4:5], 0
	s_cbranch_scc1 .LBB486_7
; %bb.6:
	s_ashr_i32 s9, s8, 31
	s_delay_alu instid0(SALU_CYCLE_1) | instskip(NEXT) | instid1(SALU_CYCLE_1)
	s_lshl_b64 s[8:9], s[8:9], 2
	s_add_u32 s4, s4, s8
	s_addc_u32 s5, s5, s9
	s_load_b32 s4, s[4:5], 0x0
	s_waitcnt lgkmcnt(0)
	s_sub_i32 s8, s4, s10
.LBB486_7:
	s_load_b32 s4, s[0:1], 0x4
	v_mul_u32_u24_e32 v5, 0xb22, v0
	s_delay_alu instid0(VALU_DEP_1) | instskip(SKIP_2) | instid1(VALU_DEP_3)
	v_lshrrev_b32_e32 v7, 16, v5
	v_mov_b32_e32 v5, 0
	v_mov_b32_e32 v6, 0
	v_mul_lo_u16 v8, v7, 23
	s_delay_alu instid0(VALU_DEP_1)
	v_sub_nc_u16 v12, v0, v8
	s_waitcnt lgkmcnt(0)
	s_cmp_eq_u32 s4, 1
	s_cselect_b32 vcc_lo, -1, 0
	s_cmp_lg_u32 s4, 1
	s_cselect_b32 s11, -1, 0
	s_ashr_i32 s9, s8, 31
	s_delay_alu instid0(SALU_CYCLE_1) | instskip(NEXT) | instid1(SALU_CYCLE_1)
	s_lshl_b64 s[4:5], s[8:9], 2
	s_add_u32 s6, s6, s4
	s_addc_u32 s7, s7, s5
	s_add_u32 s9, s6, 4
	s_addc_u32 s12, s7, 0
	;; [unrolled: 2-line block ×3, first 2 shown]
	s_cmp_eq_u64 s[2:3], 0
	s_cselect_b32 s3, s12, s5
	s_cselect_b32 s2, s9, s4
	s_load_b32 s9, s[6:7], 0x0
	s_load_b32 s14, s[2:3], 0x0
	s_load_b64 s[2:3], s[0:1], 0x50
	s_waitcnt lgkmcnt(0)
	s_cmp_ge_i32 s9, s14
	s_cbranch_scc1 .LBB486_12
; %bb.8:
	s_clause 0x1
	s_load_b128 s[4:7], s[0:1], 0x30
	s_load_b64 s[12:13], s[0:1], 0x40
	v_and_b32_e32 v5, 0xffff, v7
	v_cmp_gt_u32_e64 s0, 0x211, v0
	v_and_b32_e32 v7, 0xffff, v12
	s_sub_i32 s9, s9, s10
	v_lshlrev_b32_e32 v9, 2, v0
	v_subrev_nc_u32_e32 v6, 23, v5
	s_sub_i32 s1, s14, s10
	s_mul_i32 s14, s9, 0x844
	s_delay_alu instid0(VALU_DEP_1) | instskip(SKIP_3) | instid1(VALU_DEP_3)
	v_cndmask_b32_e64 v8, v6, v5, s0
	v_mov_b32_e32 v5, 0
	v_mov_b32_e32 v6, 0
	s_mul_hi_i32 s0, s9, 0x844
	v_cndmask_b32_e32 v7, v7, v8, vcc_lo
	v_cmp_lt_u32_e32 vcc_lo, 0x210, v0
	s_waitcnt lgkmcnt(0)
	s_add_u32 s6, s6, s14
	s_addc_u32 s0, s7, s0
	v_add_co_u32 v8, s6, s6, v9
	s_delay_alu instid0(VALU_DEP_1)
	v_add_co_ci_u32_e64 v9, null, s0, 0, s6
	v_cndmask_b32_e64 v13, 0, 1, vcc_lo
	s_set_inst_prefetch_distance 0x1
	s_branch .LBB486_10
	.p2align	6
.LBB486_9:                              ;   in Loop: Header=BB486_10 Depth=1
	s_or_b32 exec_lo, exec_lo, s0
	s_add_i32 s9, s9, 1
	s_delay_alu instid0(SALU_CYCLE_1)
	s_cmp_lt_i32 s9, s1
	s_cbranch_scc0 .LBB486_12
.LBB486_10:                             ; =>This Inner Loop Header: Depth=1
	s_delay_alu instid0(VALU_DEP_1) | instskip(SKIP_1) | instid1(VALU_DEP_1)
	v_add_nc_u32_e32 v10, s9, v13
	s_mov_b32 s0, exec_lo
	v_cmpx_gt_i32_e64 s1, v10
	s_cbranch_execz .LBB486_9
; %bb.11:                               ;   in Loop: Header=BB486_10 Depth=1
	v_ashrrev_i32_e32 v11, 31, v10
	s_delay_alu instid0(VALU_DEP_1) | instskip(NEXT) | instid1(VALU_DEP_1)
	v_lshlrev_b64 v[10:11], 2, v[10:11]
	v_add_co_u32 v10, vcc_lo, s4, v10
	s_delay_alu instid0(VALU_DEP_2) | instskip(SKIP_4) | instid1(VALU_DEP_1)
	v_add_co_ci_u32_e32 v11, vcc_lo, s5, v11, vcc_lo
	global_load_b32 v10, v[10:11], off
	global_load_b32 v14, v[8:9], off
	s_waitcnt vmcnt(1)
	v_subrev_nc_u32_e32 v15, s10, v10
	v_mad_u64_u32 v[10:11], null, v15, 23, v[7:8]
	s_waitcnt vmcnt(0)
	v_cvt_f64_f32_e32 v[14:15], v14
	s_delay_alu instid0(VALU_DEP_2) | instskip(NEXT) | instid1(VALU_DEP_1)
	v_ashrrev_i32_e32 v11, 31, v10
	v_lshlrev_b64 v[10:11], 3, v[10:11]
	s_delay_alu instid0(VALU_DEP_1) | instskip(NEXT) | instid1(VALU_DEP_2)
	v_add_co_u32 v10, vcc_lo, s12, v10
	v_add_co_ci_u32_e32 v11, vcc_lo, s13, v11, vcc_lo
	v_add_co_u32 v8, vcc_lo, 0x844, v8
	v_add_co_ci_u32_e32 v9, vcc_lo, 0, v9, vcc_lo
	global_load_b64 v[10:11], v[10:11], off
	s_waitcnt vmcnt(0)
	v_fma_f64 v[5:6], v[14:15], v[10:11], v[5:6]
	s_branch .LBB486_9
.LBB486_12:
	s_set_inst_prefetch_distance 0x2
	v_lshlrev_b32_e32 v7, 3, v0
	s_and_b32 vcc_lo, exec_lo, s11
	ds_store_b64 v7, v[5:6]
	s_waitcnt lgkmcnt(0)
	s_barrier
	buffer_gl0_inv
	s_cbranch_vccz .LBB486_24
; %bb.13:
	s_mov_b32 s0, exec_lo
	v_cmpx_gt_u16_e32 7, v12
	s_cbranch_execz .LBB486_15
; %bb.14:
	ds_load_2addr_b64 v[8:11], v7 offset1:16
	s_waitcnt lgkmcnt(0)
	v_add_f64 v[8:9], v[10:11], v[8:9]
	ds_store_b64 v7, v[8:9]
.LBB486_15:
	s_or_b32 exec_lo, exec_lo, s0
	s_delay_alu instid0(SALU_CYCLE_1)
	s_mov_b32 s0, exec_lo
	s_waitcnt lgkmcnt(0)
	s_barrier
	buffer_gl0_inv
	v_cmpx_gt_u16_e32 8, v12
	s_cbranch_execz .LBB486_17
; %bb.16:
	ds_load_2addr_b64 v[8:11], v7 offset1:8
	s_waitcnt lgkmcnt(0)
	v_add_f64 v[8:9], v[10:11], v[8:9]
	ds_store_b64 v7, v[8:9]
.LBB486_17:
	s_or_b32 exec_lo, exec_lo, s0
	s_delay_alu instid0(SALU_CYCLE_1)
	s_mov_b32 s0, exec_lo
	s_waitcnt lgkmcnt(0)
	s_barrier
	buffer_gl0_inv
	;; [unrolled: 14-line block ×3, first 2 shown]
	v_cmpx_gt_u16_e32 2, v12
	s_cbranch_execz .LBB486_21
; %bb.20:
	ds_load_2addr_b64 v[8:11], v7 offset1:2
	s_waitcnt lgkmcnt(0)
	v_add_f64 v[8:9], v[10:11], v[8:9]
	ds_store_b64 v7, v[8:9]
.LBB486_21:
	s_or_b32 exec_lo, exec_lo, s0
	s_mov_b32 s1, 0
	s_mov_b32 s0, 0
	s_mov_b32 s4, exec_lo
	s_waitcnt lgkmcnt(0)
	s_barrier
	buffer_gl0_inv
                                        ; implicit-def: $vgpr8
                                        ; implicit-def: $vgpr9
	v_cmpx_gt_u32_e32 23, v0
	s_xor_b32 s4, exec_lo, s4
; %bb.22:
	v_mad_u32_u24 v8, v0, 23, 1
	v_mad_u32_u24 v9, 0xb0, v0, v7
	s_mov_b32 s0, exec_lo
; %bb.23:
	s_or_b32 exec_lo, exec_lo, s4
	s_delay_alu instid0(SALU_CYCLE_1)
	s_and_b32 vcc_lo, exec_lo, s1
	s_cbranch_vccnz .LBB486_25
	s_branch .LBB486_36
.LBB486_24:
	s_mov_b32 s0, 0
                                        ; implicit-def: $vgpr8
                                        ; implicit-def: $vgpr9
	s_cbranch_execz .LBB486_36
.LBB486_25:
	s_mov_b32 s1, exec_lo
	v_cmpx_gt_u32_e32 0xa1, v0
	s_cbranch_execz .LBB486_27
; %bb.26:
	ds_load_b64 v[8:9], v7 offset:2944
	ds_load_b64 v[10:11], v7
	s_waitcnt lgkmcnt(0)
	v_add_f64 v[8:9], v[8:9], v[10:11]
	ds_store_b64 v7, v[8:9]
.LBB486_27:
	s_or_b32 exec_lo, exec_lo, s1
	s_delay_alu instid0(SALU_CYCLE_1)
	s_mov_b32 s1, exec_lo
	s_waitcnt lgkmcnt(0)
	s_barrier
	buffer_gl0_inv
	v_cmpx_gt_u32_e32 0xb8, v0
	s_cbranch_execz .LBB486_29
; %bb.28:
	ds_load_2addr_b64 v[8:11], v7 offset1:184
	s_waitcnt lgkmcnt(0)
	v_add_f64 v[8:9], v[10:11], v[8:9]
	ds_store_b64 v7, v[8:9]
.LBB486_29:
	s_or_b32 exec_lo, exec_lo, s1
	s_delay_alu instid0(SALU_CYCLE_1)
	s_mov_b32 s1, exec_lo
	s_waitcnt lgkmcnt(0)
	s_barrier
	buffer_gl0_inv
	v_cmpx_gt_u32_e32 0x5c, v0
	s_cbranch_execz .LBB486_31
; %bb.30:
	ds_load_2addr_b64 v[8:11], v7 offset1:92
	s_waitcnt lgkmcnt(0)
	v_add_f64 v[8:9], v[10:11], v[8:9]
	ds_store_b64 v7, v[8:9]
.LBB486_31:
	;; [unrolled: 14-line block ×3, first 2 shown]
	s_or_b32 exec_lo, exec_lo, s1
	s_delay_alu instid0(SALU_CYCLE_1)
	s_mov_b32 s1, exec_lo
	s_waitcnt lgkmcnt(0)
	buffer_gl0_inv
                                        ; implicit-def: $vgpr8
	v_cmpx_gt_u32_e32 23, v0
; %bb.34:
	v_add_nc_u32_e32 v8, 23, v0
	s_or_b32 s0, s0, exec_lo
                                        ; implicit-def: $vgpr5_vgpr6
; %bb.35:
	s_or_b32 exec_lo, exec_lo, s1
	v_mov_b32_e32 v9, v7
.LBB486_36:
	s_and_saveexec_b32 s1, s0
	s_cbranch_execnz .LBB486_39
; %bb.37:
	s_or_b32 exec_lo, exec_lo, s1
	v_cmp_gt_u32_e32 vcc_lo, 23, v0
	s_and_b32 exec_lo, exec_lo, vcc_lo
	s_cbranch_execnz .LBB486_40
.LBB486_38:
	s_nop 0
	s_sendmsg sendmsg(MSG_DEALLOC_VGPRS)
	s_endpgm
.LBB486_39:
	v_lshlrev_b32_e32 v7, 3, v8
	ds_load_b64 v[5:6], v9
	ds_load_b64 v[7:8], v7
	s_waitcnt lgkmcnt(0)
	v_add_f64 v[5:6], v[5:6], v[7:8]
	s_or_b32 exec_lo, exec_lo, s1
	v_cmp_gt_u32_e32 vcc_lo, 23, v0
	s_and_b32 exec_lo, exec_lo, vcc_lo
	s_cbranch_execz .LBB486_38
.LBB486_40:
	s_delay_alu instid0(VALU_DEP_2)
	v_mul_f64 v[3:4], v[3:4], v[5:6]
	s_mov_b32 s0, exec_lo
	v_cmpx_eq_f64_e32 0, v[1:2]
	s_xor_b32 s0, exec_lo, s0
	s_cbranch_execz .LBB486_42
; %bb.41:
	v_mad_u64_u32 v[1:2], null, s8, 23, v[0:1]
	v_mov_b32_e32 v2, 0
	s_delay_alu instid0(VALU_DEP_1) | instskip(NEXT) | instid1(VALU_DEP_1)
	v_lshlrev_b64 v[0:1], 3, v[1:2]
	v_add_co_u32 v0, vcc_lo, s2, v0
	s_delay_alu instid0(VALU_DEP_2)
	v_add_co_ci_u32_e32 v1, vcc_lo, s3, v1, vcc_lo
	global_store_b64 v[0:1], v[3:4], off
                                        ; implicit-def: $vgpr0
                                        ; implicit-def: $vgpr1_vgpr2
                                        ; implicit-def: $vgpr3_vgpr4
.LBB486_42:
	s_and_not1_saveexec_b32 s0, s0
	s_cbranch_execz .LBB486_38
; %bb.43:
	v_mad_u64_u32 v[5:6], null, s8, 23, v[0:1]
	v_mov_b32_e32 v6, 0
	s_delay_alu instid0(VALU_DEP_1) | instskip(NEXT) | instid1(VALU_DEP_1)
	v_lshlrev_b64 v[5:6], 3, v[5:6]
	v_add_co_u32 v5, vcc_lo, s2, v5
	s_delay_alu instid0(VALU_DEP_2)
	v_add_co_ci_u32_e32 v6, vcc_lo, s3, v6, vcc_lo
	global_load_b64 v[7:8], v[5:6], off
	s_waitcnt vmcnt(0)
	v_fma_f64 v[0:1], v[1:2], v[7:8], v[3:4]
	global_store_b64 v[5:6], v[0:1], off
	s_nop 0
	s_sendmsg sendmsg(MSG_DEALLOC_VGPRS)
	s_endpgm
	.section	.rodata,"a",@progbits
	.p2align	6, 0x0
	.amdhsa_kernel _ZN9rocsparseL20bsrxmvn_17_32_kernelILj23EdiifddEEvT2_20rocsparse_direction_NS_24const_host_device_scalarIT0_EES1_PKS1_PKT1_SA_S7_PKT3_PKT4_S5_PT5_21rocsparse_index_base_b
		.amdhsa_group_segment_fixed_size 4232
		.amdhsa_private_segment_fixed_size 0
		.amdhsa_kernarg_size 96
		.amdhsa_user_sgpr_count 15
		.amdhsa_user_sgpr_dispatch_ptr 0
		.amdhsa_user_sgpr_queue_ptr 0
		.amdhsa_user_sgpr_kernarg_segment_ptr 1
		.amdhsa_user_sgpr_dispatch_id 0
		.amdhsa_user_sgpr_private_segment_size 0
		.amdhsa_wavefront_size32 1
		.amdhsa_uses_dynamic_stack 0
		.amdhsa_enable_private_segment 0
		.amdhsa_system_sgpr_workgroup_id_x 1
		.amdhsa_system_sgpr_workgroup_id_y 0
		.amdhsa_system_sgpr_workgroup_id_z 0
		.amdhsa_system_sgpr_workgroup_info 0
		.amdhsa_system_vgpr_workitem_id 0
		.amdhsa_next_free_vgpr 16
		.amdhsa_next_free_sgpr 16
		.amdhsa_reserve_vcc 1
		.amdhsa_float_round_mode_32 0
		.amdhsa_float_round_mode_16_64 0
		.amdhsa_float_denorm_mode_32 3
		.amdhsa_float_denorm_mode_16_64 3
		.amdhsa_dx10_clamp 1
		.amdhsa_ieee_mode 1
		.amdhsa_fp16_overflow 0
		.amdhsa_workgroup_processor_mode 1
		.amdhsa_memory_ordered 1
		.amdhsa_forward_progress 0
		.amdhsa_shared_vgpr_count 0
		.amdhsa_exception_fp_ieee_invalid_op 0
		.amdhsa_exception_fp_denorm_src 0
		.amdhsa_exception_fp_ieee_div_zero 0
		.amdhsa_exception_fp_ieee_overflow 0
		.amdhsa_exception_fp_ieee_underflow 0
		.amdhsa_exception_fp_ieee_inexact 0
		.amdhsa_exception_int_div_zero 0
	.end_amdhsa_kernel
	.section	.text._ZN9rocsparseL20bsrxmvn_17_32_kernelILj23EdiifddEEvT2_20rocsparse_direction_NS_24const_host_device_scalarIT0_EES1_PKS1_PKT1_SA_S7_PKT3_PKT4_S5_PT5_21rocsparse_index_base_b,"axG",@progbits,_ZN9rocsparseL20bsrxmvn_17_32_kernelILj23EdiifddEEvT2_20rocsparse_direction_NS_24const_host_device_scalarIT0_EES1_PKS1_PKT1_SA_S7_PKT3_PKT4_S5_PT5_21rocsparse_index_base_b,comdat
.Lfunc_end486:
	.size	_ZN9rocsparseL20bsrxmvn_17_32_kernelILj23EdiifddEEvT2_20rocsparse_direction_NS_24const_host_device_scalarIT0_EES1_PKS1_PKT1_SA_S7_PKT3_PKT4_S5_PT5_21rocsparse_index_base_b, .Lfunc_end486-_ZN9rocsparseL20bsrxmvn_17_32_kernelILj23EdiifddEEvT2_20rocsparse_direction_NS_24const_host_device_scalarIT0_EES1_PKS1_PKT1_SA_S7_PKT3_PKT4_S5_PT5_21rocsparse_index_base_b
                                        ; -- End function
	.section	.AMDGPU.csdata,"",@progbits
; Kernel info:
; codeLenInByte = 1628
; NumSgprs: 18
; NumVgprs: 16
; ScratchSize: 0
; MemoryBound: 0
; FloatMode: 240
; IeeeMode: 1
; LDSByteSize: 4232 bytes/workgroup (compile time only)
; SGPRBlocks: 2
; VGPRBlocks: 1
; NumSGPRsForWavesPerEU: 18
; NumVGPRsForWavesPerEU: 16
; Occupancy: 13
; WaveLimiterHint : 1
; COMPUTE_PGM_RSRC2:SCRATCH_EN: 0
; COMPUTE_PGM_RSRC2:USER_SGPR: 15
; COMPUTE_PGM_RSRC2:TRAP_HANDLER: 0
; COMPUTE_PGM_RSRC2:TGID_X_EN: 1
; COMPUTE_PGM_RSRC2:TGID_Y_EN: 0
; COMPUTE_PGM_RSRC2:TGID_Z_EN: 0
; COMPUTE_PGM_RSRC2:TIDIG_COMP_CNT: 0
	.section	.text._ZN9rocsparseL20bsrxmvn_17_32_kernelILj24EdiifddEEvT2_20rocsparse_direction_NS_24const_host_device_scalarIT0_EES1_PKS1_PKT1_SA_S7_PKT3_PKT4_S5_PT5_21rocsparse_index_base_b,"axG",@progbits,_ZN9rocsparseL20bsrxmvn_17_32_kernelILj24EdiifddEEvT2_20rocsparse_direction_NS_24const_host_device_scalarIT0_EES1_PKS1_PKT1_SA_S7_PKT3_PKT4_S5_PT5_21rocsparse_index_base_b,comdat
	.globl	_ZN9rocsparseL20bsrxmvn_17_32_kernelILj24EdiifddEEvT2_20rocsparse_direction_NS_24const_host_device_scalarIT0_EES1_PKS1_PKT1_SA_S7_PKT3_PKT4_S5_PT5_21rocsparse_index_base_b ; -- Begin function _ZN9rocsparseL20bsrxmvn_17_32_kernelILj24EdiifddEEvT2_20rocsparse_direction_NS_24const_host_device_scalarIT0_EES1_PKS1_PKT1_SA_S7_PKT3_PKT4_S5_PT5_21rocsparse_index_base_b
	.p2align	8
	.type	_ZN9rocsparseL20bsrxmvn_17_32_kernelILj24EdiifddEEvT2_20rocsparse_direction_NS_24const_host_device_scalarIT0_EES1_PKS1_PKT1_SA_S7_PKT3_PKT4_S5_PT5_21rocsparse_index_base_b,@function
_ZN9rocsparseL20bsrxmvn_17_32_kernelILj24EdiifddEEvT2_20rocsparse_direction_NS_24const_host_device_scalarIT0_EES1_PKS1_PKT1_SA_S7_PKT3_PKT4_S5_PT5_21rocsparse_index_base_b: ; @_ZN9rocsparseL20bsrxmvn_17_32_kernelILj24EdiifddEEvT2_20rocsparse_direction_NS_24const_host_device_scalarIT0_EES1_PKS1_PKT1_SA_S7_PKT3_PKT4_S5_PT5_21rocsparse_index_base_b
; %bb.0:
	s_clause 0x2
	s_load_b64 s[10:11], s[0:1], 0x58
	s_load_b64 s[4:5], s[0:1], 0x8
	;; [unrolled: 1-line block ×3, first 2 shown]
	s_mov_b32 s8, s15
	s_waitcnt lgkmcnt(0)
	s_bitcmp1_b32 s11, 0
	v_dual_mov_b32 v3, s4 :: v_dual_mov_b32 v4, s5
	s_cselect_b32 s6, -1, 0
	s_delay_alu instid0(SALU_CYCLE_1)
	s_and_b32 vcc_lo, exec_lo, s6
	s_xor_b32 s6, s6, -1
	s_cbranch_vccnz .LBB487_2
; %bb.1:
	v_dual_mov_b32 v1, s4 :: v_dual_mov_b32 v2, s5
	flat_load_b64 v[3:4], v[1:2]
.LBB487_2:
	v_dual_mov_b32 v1, s2 :: v_dual_mov_b32 v2, s3
	s_and_not1_b32 vcc_lo, exec_lo, s6
	s_cbranch_vccnz .LBB487_4
; %bb.3:
	v_dual_mov_b32 v1, s2 :: v_dual_mov_b32 v2, s3
	flat_load_b64 v[1:2], v[1:2]
.LBB487_4:
	s_waitcnt vmcnt(0) lgkmcnt(0)
	v_cmp_neq_f64_e32 vcc_lo, 0, v[3:4]
	v_cmp_neq_f64_e64 s2, 1.0, v[1:2]
	s_delay_alu instid0(VALU_DEP_1) | instskip(NEXT) | instid1(SALU_CYCLE_1)
	s_or_b32 s2, vcc_lo, s2
	s_and_saveexec_b32 s3, s2
	s_cbranch_execz .LBB487_38
; %bb.5:
	s_clause 0x1
	s_load_b128 s[4:7], s[0:1], 0x18
	s_load_b64 s[2:3], s[0:1], 0x28
	s_waitcnt lgkmcnt(0)
	s_cmp_eq_u64 s[4:5], 0
	s_cbranch_scc1 .LBB487_7
; %bb.6:
	s_ashr_i32 s9, s8, 31
	s_delay_alu instid0(SALU_CYCLE_1) | instskip(NEXT) | instid1(SALU_CYCLE_1)
	s_lshl_b64 s[8:9], s[8:9], 2
	s_add_u32 s4, s4, s8
	s_addc_u32 s5, s5, s9
	s_load_b32 s4, s[4:5], 0x0
	s_waitcnt lgkmcnt(0)
	s_sub_i32 s8, s4, s10
.LBB487_7:
	s_load_b32 s4, s[0:1], 0x4
	v_mul_u32_u24_e32 v5, 0xaab, v0
	s_delay_alu instid0(VALU_DEP_1) | instskip(SKIP_2) | instid1(VALU_DEP_3)
	v_lshrrev_b32_e32 v7, 16, v5
	v_mov_b32_e32 v5, 0
	v_mov_b32_e32 v6, 0
	v_mul_lo_u16 v8, v7, 24
	s_delay_alu instid0(VALU_DEP_1)
	v_sub_nc_u16 v12, v0, v8
	s_waitcnt lgkmcnt(0)
	s_cmp_eq_u32 s4, 1
	s_cselect_b32 vcc_lo, -1, 0
	s_cmp_lg_u32 s4, 1
	s_cselect_b32 s11, -1, 0
	s_ashr_i32 s9, s8, 31
	s_delay_alu instid0(SALU_CYCLE_1) | instskip(NEXT) | instid1(SALU_CYCLE_1)
	s_lshl_b64 s[4:5], s[8:9], 2
	s_add_u32 s6, s6, s4
	s_addc_u32 s7, s7, s5
	s_add_u32 s9, s6, 4
	s_addc_u32 s12, s7, 0
	s_add_u32 s4, s2, s4
	s_addc_u32 s5, s3, s5
	s_cmp_eq_u64 s[2:3], 0
	s_cselect_b32 s3, s12, s5
	s_cselect_b32 s2, s9, s4
	s_load_b32 s9, s[6:7], 0x0
	s_load_b32 s14, s[2:3], 0x0
	s_load_b64 s[2:3], s[0:1], 0x50
	s_waitcnt lgkmcnt(0)
	s_cmp_ge_i32 s9, s14
	s_cbranch_scc1 .LBB487_12
; %bb.8:
	s_clause 0x1
	s_load_b128 s[4:7], s[0:1], 0x30
	s_load_b64 s[12:13], s[0:1], 0x40
	v_and_b32_e32 v5, 0xffff, v7
	v_cmp_gt_u32_e64 s0, 0x240, v0
	v_and_b32_e32 v7, 0xffff, v12
	s_sub_i32 s9, s9, s10
	v_lshlrev_b32_e32 v9, 2, v0
	v_subrev_nc_u32_e32 v6, 24, v5
	s_sub_i32 s1, s14, s10
	s_mul_i32 s14, s9, 0x900
	s_delay_alu instid0(VALU_DEP_1) | instskip(SKIP_3) | instid1(VALU_DEP_3)
	v_cndmask_b32_e64 v8, v6, v5, s0
	v_mov_b32_e32 v5, 0
	v_mov_b32_e32 v6, 0
	s_mul_hi_i32 s0, s9, 0x900
	v_cndmask_b32_e32 v7, v7, v8, vcc_lo
	v_cmp_lt_u32_e32 vcc_lo, 0x23f, v0
	s_waitcnt lgkmcnt(0)
	s_add_u32 s6, s6, s14
	s_addc_u32 s0, s7, s0
	v_add_co_u32 v8, s6, s6, v9
	s_delay_alu instid0(VALU_DEP_1)
	v_add_co_ci_u32_e64 v9, null, s0, 0, s6
	v_cndmask_b32_e64 v13, 0, 1, vcc_lo
	s_set_inst_prefetch_distance 0x1
	s_branch .LBB487_10
	.p2align	6
.LBB487_9:                              ;   in Loop: Header=BB487_10 Depth=1
	s_or_b32 exec_lo, exec_lo, s0
	s_add_i32 s9, s9, 1
	s_delay_alu instid0(SALU_CYCLE_1)
	s_cmp_lt_i32 s9, s1
	s_cbranch_scc0 .LBB487_12
.LBB487_10:                             ; =>This Inner Loop Header: Depth=1
	s_delay_alu instid0(VALU_DEP_1) | instskip(SKIP_1) | instid1(VALU_DEP_1)
	v_add_nc_u32_e32 v10, s9, v13
	s_mov_b32 s0, exec_lo
	v_cmpx_gt_i32_e64 s1, v10
	s_cbranch_execz .LBB487_9
; %bb.11:                               ;   in Loop: Header=BB487_10 Depth=1
	v_ashrrev_i32_e32 v11, 31, v10
	s_delay_alu instid0(VALU_DEP_1) | instskip(NEXT) | instid1(VALU_DEP_1)
	v_lshlrev_b64 v[10:11], 2, v[10:11]
	v_add_co_u32 v10, vcc_lo, s4, v10
	s_delay_alu instid0(VALU_DEP_2) | instskip(SKIP_4) | instid1(VALU_DEP_1)
	v_add_co_ci_u32_e32 v11, vcc_lo, s5, v11, vcc_lo
	global_load_b32 v10, v[10:11], off
	global_load_b32 v14, v[8:9], off
	s_waitcnt vmcnt(1)
	v_subrev_nc_u32_e32 v15, s10, v10
	v_mad_u64_u32 v[10:11], null, v15, 24, v[7:8]
	s_waitcnt vmcnt(0)
	v_cvt_f64_f32_e32 v[14:15], v14
	s_delay_alu instid0(VALU_DEP_2) | instskip(NEXT) | instid1(VALU_DEP_1)
	v_ashrrev_i32_e32 v11, 31, v10
	v_lshlrev_b64 v[10:11], 3, v[10:11]
	s_delay_alu instid0(VALU_DEP_1) | instskip(NEXT) | instid1(VALU_DEP_2)
	v_add_co_u32 v10, vcc_lo, s12, v10
	v_add_co_ci_u32_e32 v11, vcc_lo, s13, v11, vcc_lo
	v_add_co_u32 v8, vcc_lo, 0x900, v8
	v_add_co_ci_u32_e32 v9, vcc_lo, 0, v9, vcc_lo
	global_load_b64 v[10:11], v[10:11], off
	s_waitcnt vmcnt(0)
	v_fma_f64 v[5:6], v[14:15], v[10:11], v[5:6]
	s_branch .LBB487_9
.LBB487_12:
	s_set_inst_prefetch_distance 0x2
	v_lshlrev_b32_e32 v7, 3, v0
	s_and_b32 vcc_lo, exec_lo, s11
	ds_store_b64 v7, v[5:6]
	s_waitcnt lgkmcnt(0)
	s_barrier
	buffer_gl0_inv
	s_cbranch_vccz .LBB487_24
; %bb.13:
	v_cmp_gt_u16_e32 vcc_lo, 8, v12
	s_and_saveexec_b32 s0, vcc_lo
	s_cbranch_execz .LBB487_15
; %bb.14:
	ds_load_2addr_b64 v[8:11], v7 offset1:16
	s_waitcnt lgkmcnt(0)
	v_add_f64 v[8:9], v[10:11], v[8:9]
	ds_store_b64 v7, v[8:9]
.LBB487_15:
	s_or_b32 exec_lo, exec_lo, s0
	s_waitcnt lgkmcnt(0)
	s_barrier
	buffer_gl0_inv
	s_and_saveexec_b32 s0, vcc_lo
	s_cbranch_execz .LBB487_17
; %bb.16:
	ds_load_2addr_b64 v[8:11], v7 offset1:8
	s_waitcnt lgkmcnt(0)
	v_add_f64 v[8:9], v[10:11], v[8:9]
	ds_store_b64 v7, v[8:9]
.LBB487_17:
	s_or_b32 exec_lo, exec_lo, s0
	s_delay_alu instid0(SALU_CYCLE_1)
	s_mov_b32 s0, exec_lo
	s_waitcnt lgkmcnt(0)
	s_barrier
	buffer_gl0_inv
	v_cmpx_gt_u16_e32 4, v12
	s_cbranch_execz .LBB487_19
; %bb.18:
	ds_load_2addr_b64 v[8:11], v7 offset1:4
	s_waitcnt lgkmcnt(0)
	v_add_f64 v[8:9], v[10:11], v[8:9]
	ds_store_b64 v7, v[8:9]
.LBB487_19:
	s_or_b32 exec_lo, exec_lo, s0
	s_delay_alu instid0(SALU_CYCLE_1)
	s_mov_b32 s0, exec_lo
	s_waitcnt lgkmcnt(0)
	s_barrier
	buffer_gl0_inv
	v_cmpx_gt_u16_e32 2, v12
	s_cbranch_execz .LBB487_21
; %bb.20:
	ds_load_2addr_b64 v[8:11], v7 offset1:2
	s_waitcnt lgkmcnt(0)
	v_add_f64 v[8:9], v[10:11], v[8:9]
	ds_store_b64 v7, v[8:9]
.LBB487_21:
	s_or_b32 exec_lo, exec_lo, s0
	s_mov_b32 s1, 0
	s_mov_b32 s0, 0
	s_mov_b32 s4, exec_lo
	s_waitcnt lgkmcnt(0)
	s_barrier
	buffer_gl0_inv
                                        ; implicit-def: $vgpr8
                                        ; implicit-def: $vgpr9
	v_cmpx_gt_u32_e32 24, v0
	s_xor_b32 s4, exec_lo, s4
; %bb.22:
	v_mul_u32_u24_e32 v8, 24, v0
	v_mad_u32_u24 v9, 0xb8, v0, v7
	s_mov_b32 s0, exec_lo
	s_delay_alu instid0(VALU_DEP_2)
	v_or_b32_e32 v8, 1, v8
; %bb.23:
	s_or_b32 exec_lo, exec_lo, s4
	s_delay_alu instid0(SALU_CYCLE_1)
	s_and_b32 vcc_lo, exec_lo, s1
	s_cbranch_vccnz .LBB487_25
	s_branch .LBB487_36
.LBB487_24:
	s_mov_b32 s0, 0
                                        ; implicit-def: $vgpr8
                                        ; implicit-def: $vgpr9
	s_cbranch_execz .LBB487_36
.LBB487_25:
	v_cmp_gt_u32_e32 vcc_lo, 0xc0, v0
	s_and_saveexec_b32 s1, vcc_lo
	s_cbranch_execz .LBB487_27
; %bb.26:
	ds_load_2addr_stride64_b64 v[8:11], v7 offset1:6
	s_waitcnt lgkmcnt(0)
	v_add_f64 v[8:9], v[10:11], v[8:9]
	ds_store_b64 v7, v[8:9]
.LBB487_27:
	s_or_b32 exec_lo, exec_lo, s1
	s_waitcnt lgkmcnt(0)
	s_barrier
	buffer_gl0_inv
	s_and_saveexec_b32 s1, vcc_lo
	s_cbranch_execz .LBB487_29
; %bb.28:
	ds_load_2addr_stride64_b64 v[8:11], v7 offset1:3
	s_waitcnt lgkmcnt(0)
	v_add_f64 v[8:9], v[10:11], v[8:9]
	ds_store_b64 v7, v[8:9]
.LBB487_29:
	s_or_b32 exec_lo, exec_lo, s1
	s_delay_alu instid0(SALU_CYCLE_1)
	s_mov_b32 s1, exec_lo
	s_waitcnt lgkmcnt(0)
	s_barrier
	buffer_gl0_inv
	v_cmpx_gt_u32_e32 0x60, v0
	s_cbranch_execz .LBB487_31
; %bb.30:
	ds_load_2addr_b64 v[8:11], v7 offset1:96
	s_waitcnt lgkmcnt(0)
	v_add_f64 v[8:9], v[10:11], v[8:9]
	ds_store_b64 v7, v[8:9]
.LBB487_31:
	s_or_b32 exec_lo, exec_lo, s1
	s_delay_alu instid0(SALU_CYCLE_1)
	s_mov_b32 s1, exec_lo
	s_waitcnt lgkmcnt(0)
	s_barrier
	buffer_gl0_inv
	v_cmpx_gt_u32_e32 48, v0
	s_cbranch_execz .LBB487_33
; %bb.32:
	ds_load_2addr_b64 v[8:11], v7 offset1:48
	s_waitcnt lgkmcnt(0)
	v_add_f64 v[8:9], v[10:11], v[8:9]
	ds_store_b64 v7, v[8:9]
.LBB487_33:
	s_or_b32 exec_lo, exec_lo, s1
	s_delay_alu instid0(SALU_CYCLE_1)
	s_mov_b32 s1, exec_lo
	s_waitcnt lgkmcnt(0)
	buffer_gl0_inv
                                        ; implicit-def: $vgpr8
	v_cmpx_gt_u32_e32 24, v0
; %bb.34:
	v_add_nc_u32_e32 v8, 24, v0
	s_or_b32 s0, s0, exec_lo
                                        ; implicit-def: $vgpr5_vgpr6
; %bb.35:
	s_or_b32 exec_lo, exec_lo, s1
	v_mov_b32_e32 v9, v7
.LBB487_36:
	s_and_saveexec_b32 s1, s0
	s_cbranch_execnz .LBB487_39
; %bb.37:
	s_or_b32 exec_lo, exec_lo, s1
	v_cmp_gt_u32_e32 vcc_lo, 24, v0
	s_and_b32 exec_lo, exec_lo, vcc_lo
	s_cbranch_execnz .LBB487_40
.LBB487_38:
	s_nop 0
	s_sendmsg sendmsg(MSG_DEALLOC_VGPRS)
	s_endpgm
.LBB487_39:
	v_lshlrev_b32_e32 v7, 3, v8
	ds_load_b64 v[5:6], v9
	ds_load_b64 v[7:8], v7
	s_waitcnt lgkmcnt(0)
	v_add_f64 v[5:6], v[5:6], v[7:8]
	s_or_b32 exec_lo, exec_lo, s1
	v_cmp_gt_u32_e32 vcc_lo, 24, v0
	s_and_b32 exec_lo, exec_lo, vcc_lo
	s_cbranch_execz .LBB487_38
.LBB487_40:
	s_delay_alu instid0(VALU_DEP_2)
	v_mul_f64 v[3:4], v[3:4], v[5:6]
	s_mov_b32 s0, exec_lo
	v_cmpx_eq_f64_e32 0, v[1:2]
	s_xor_b32 s0, exec_lo, s0
	s_cbranch_execz .LBB487_42
; %bb.41:
	v_mad_u64_u32 v[1:2], null, s8, 24, v[0:1]
	v_mov_b32_e32 v2, 0
	s_delay_alu instid0(VALU_DEP_1) | instskip(NEXT) | instid1(VALU_DEP_1)
	v_lshlrev_b64 v[0:1], 3, v[1:2]
	v_add_co_u32 v0, vcc_lo, s2, v0
	s_delay_alu instid0(VALU_DEP_2)
	v_add_co_ci_u32_e32 v1, vcc_lo, s3, v1, vcc_lo
	global_store_b64 v[0:1], v[3:4], off
                                        ; implicit-def: $vgpr0
                                        ; implicit-def: $vgpr1_vgpr2
                                        ; implicit-def: $vgpr3_vgpr4
.LBB487_42:
	s_and_not1_saveexec_b32 s0, s0
	s_cbranch_execz .LBB487_38
; %bb.43:
	v_mad_u64_u32 v[5:6], null, s8, 24, v[0:1]
	v_mov_b32_e32 v6, 0
	s_delay_alu instid0(VALU_DEP_1) | instskip(NEXT) | instid1(VALU_DEP_1)
	v_lshlrev_b64 v[5:6], 3, v[5:6]
	v_add_co_u32 v5, vcc_lo, s2, v5
	s_delay_alu instid0(VALU_DEP_2)
	v_add_co_ci_u32_e32 v6, vcc_lo, s3, v6, vcc_lo
	global_load_b64 v[7:8], v[5:6], off
	s_waitcnt vmcnt(0)
	v_fma_f64 v[0:1], v[1:2], v[7:8], v[3:4]
	global_store_b64 v[5:6], v[0:1], off
	s_nop 0
	s_sendmsg sendmsg(MSG_DEALLOC_VGPRS)
	s_endpgm
	.section	.rodata,"a",@progbits
	.p2align	6, 0x0
	.amdhsa_kernel _ZN9rocsparseL20bsrxmvn_17_32_kernelILj24EdiifddEEvT2_20rocsparse_direction_NS_24const_host_device_scalarIT0_EES1_PKS1_PKT1_SA_S7_PKT3_PKT4_S5_PT5_21rocsparse_index_base_b
		.amdhsa_group_segment_fixed_size 4608
		.amdhsa_private_segment_fixed_size 0
		.amdhsa_kernarg_size 96
		.amdhsa_user_sgpr_count 15
		.amdhsa_user_sgpr_dispatch_ptr 0
		.amdhsa_user_sgpr_queue_ptr 0
		.amdhsa_user_sgpr_kernarg_segment_ptr 1
		.amdhsa_user_sgpr_dispatch_id 0
		.amdhsa_user_sgpr_private_segment_size 0
		.amdhsa_wavefront_size32 1
		.amdhsa_uses_dynamic_stack 0
		.amdhsa_enable_private_segment 0
		.amdhsa_system_sgpr_workgroup_id_x 1
		.amdhsa_system_sgpr_workgroup_id_y 0
		.amdhsa_system_sgpr_workgroup_id_z 0
		.amdhsa_system_sgpr_workgroup_info 0
		.amdhsa_system_vgpr_workitem_id 0
		.amdhsa_next_free_vgpr 16
		.amdhsa_next_free_sgpr 16
		.amdhsa_reserve_vcc 1
		.amdhsa_float_round_mode_32 0
		.amdhsa_float_round_mode_16_64 0
		.amdhsa_float_denorm_mode_32 3
		.amdhsa_float_denorm_mode_16_64 3
		.amdhsa_dx10_clamp 1
		.amdhsa_ieee_mode 1
		.amdhsa_fp16_overflow 0
		.amdhsa_workgroup_processor_mode 1
		.amdhsa_memory_ordered 1
		.amdhsa_forward_progress 0
		.amdhsa_shared_vgpr_count 0
		.amdhsa_exception_fp_ieee_invalid_op 0
		.amdhsa_exception_fp_denorm_src 0
		.amdhsa_exception_fp_ieee_div_zero 0
		.amdhsa_exception_fp_ieee_overflow 0
		.amdhsa_exception_fp_ieee_underflow 0
		.amdhsa_exception_fp_ieee_inexact 0
		.amdhsa_exception_int_div_zero 0
	.end_amdhsa_kernel
	.section	.text._ZN9rocsparseL20bsrxmvn_17_32_kernelILj24EdiifddEEvT2_20rocsparse_direction_NS_24const_host_device_scalarIT0_EES1_PKS1_PKT1_SA_S7_PKT3_PKT4_S5_PT5_21rocsparse_index_base_b,"axG",@progbits,_ZN9rocsparseL20bsrxmvn_17_32_kernelILj24EdiifddEEvT2_20rocsparse_direction_NS_24const_host_device_scalarIT0_EES1_PKS1_PKT1_SA_S7_PKT3_PKT4_S5_PT5_21rocsparse_index_base_b,comdat
.Lfunc_end487:
	.size	_ZN9rocsparseL20bsrxmvn_17_32_kernelILj24EdiifddEEvT2_20rocsparse_direction_NS_24const_host_device_scalarIT0_EES1_PKS1_PKT1_SA_S7_PKT3_PKT4_S5_PT5_21rocsparse_index_base_b, .Lfunc_end487-_ZN9rocsparseL20bsrxmvn_17_32_kernelILj24EdiifddEEvT2_20rocsparse_direction_NS_24const_host_device_scalarIT0_EES1_PKS1_PKT1_SA_S7_PKT3_PKT4_S5_PT5_21rocsparse_index_base_b
                                        ; -- End function
	.section	.AMDGPU.csdata,"",@progbits
; Kernel info:
; codeLenInByte = 1604
; NumSgprs: 18
; NumVgprs: 16
; ScratchSize: 0
; MemoryBound: 0
; FloatMode: 240
; IeeeMode: 1
; LDSByteSize: 4608 bytes/workgroup (compile time only)
; SGPRBlocks: 2
; VGPRBlocks: 1
; NumSGPRsForWavesPerEU: 18
; NumVGPRsForWavesPerEU: 16
; Occupancy: 14
; WaveLimiterHint : 1
; COMPUTE_PGM_RSRC2:SCRATCH_EN: 0
; COMPUTE_PGM_RSRC2:USER_SGPR: 15
; COMPUTE_PGM_RSRC2:TRAP_HANDLER: 0
; COMPUTE_PGM_RSRC2:TGID_X_EN: 1
; COMPUTE_PGM_RSRC2:TGID_Y_EN: 0
; COMPUTE_PGM_RSRC2:TGID_Z_EN: 0
; COMPUTE_PGM_RSRC2:TIDIG_COMP_CNT: 0
	.section	.text._ZN9rocsparseL20bsrxmvn_17_32_kernelILj25EdiifddEEvT2_20rocsparse_direction_NS_24const_host_device_scalarIT0_EES1_PKS1_PKT1_SA_S7_PKT3_PKT4_S5_PT5_21rocsparse_index_base_b,"axG",@progbits,_ZN9rocsparseL20bsrxmvn_17_32_kernelILj25EdiifddEEvT2_20rocsparse_direction_NS_24const_host_device_scalarIT0_EES1_PKS1_PKT1_SA_S7_PKT3_PKT4_S5_PT5_21rocsparse_index_base_b,comdat
	.globl	_ZN9rocsparseL20bsrxmvn_17_32_kernelILj25EdiifddEEvT2_20rocsparse_direction_NS_24const_host_device_scalarIT0_EES1_PKS1_PKT1_SA_S7_PKT3_PKT4_S5_PT5_21rocsparse_index_base_b ; -- Begin function _ZN9rocsparseL20bsrxmvn_17_32_kernelILj25EdiifddEEvT2_20rocsparse_direction_NS_24const_host_device_scalarIT0_EES1_PKS1_PKT1_SA_S7_PKT3_PKT4_S5_PT5_21rocsparse_index_base_b
	.p2align	8
	.type	_ZN9rocsparseL20bsrxmvn_17_32_kernelILj25EdiifddEEvT2_20rocsparse_direction_NS_24const_host_device_scalarIT0_EES1_PKS1_PKT1_SA_S7_PKT3_PKT4_S5_PT5_21rocsparse_index_base_b,@function
_ZN9rocsparseL20bsrxmvn_17_32_kernelILj25EdiifddEEvT2_20rocsparse_direction_NS_24const_host_device_scalarIT0_EES1_PKS1_PKT1_SA_S7_PKT3_PKT4_S5_PT5_21rocsparse_index_base_b: ; @_ZN9rocsparseL20bsrxmvn_17_32_kernelILj25EdiifddEEvT2_20rocsparse_direction_NS_24const_host_device_scalarIT0_EES1_PKS1_PKT1_SA_S7_PKT3_PKT4_S5_PT5_21rocsparse_index_base_b
; %bb.0:
	s_clause 0x2
	s_load_b64 s[10:11], s[0:1], 0x58
	s_load_b64 s[4:5], s[0:1], 0x8
	;; [unrolled: 1-line block ×3, first 2 shown]
	s_mov_b32 s8, s15
	s_waitcnt lgkmcnt(0)
	s_bitcmp1_b32 s11, 0
	v_dual_mov_b32 v3, s4 :: v_dual_mov_b32 v4, s5
	s_cselect_b32 s6, -1, 0
	s_delay_alu instid0(SALU_CYCLE_1)
	s_and_b32 vcc_lo, exec_lo, s6
	s_xor_b32 s6, s6, -1
	s_cbranch_vccnz .LBB488_2
; %bb.1:
	v_dual_mov_b32 v1, s4 :: v_dual_mov_b32 v2, s5
	flat_load_b64 v[3:4], v[1:2]
.LBB488_2:
	v_dual_mov_b32 v1, s2 :: v_dual_mov_b32 v2, s3
	s_and_not1_b32 vcc_lo, exec_lo, s6
	s_cbranch_vccnz .LBB488_4
; %bb.3:
	v_dual_mov_b32 v1, s2 :: v_dual_mov_b32 v2, s3
	flat_load_b64 v[1:2], v[1:2]
.LBB488_4:
	s_waitcnt vmcnt(0) lgkmcnt(0)
	v_cmp_neq_f64_e32 vcc_lo, 0, v[3:4]
	v_cmp_neq_f64_e64 s2, 1.0, v[1:2]
	s_delay_alu instid0(VALU_DEP_1) | instskip(NEXT) | instid1(SALU_CYCLE_1)
	s_or_b32 s2, vcc_lo, s2
	s_and_saveexec_b32 s3, s2
	s_cbranch_execz .LBB488_38
; %bb.5:
	s_clause 0x1
	s_load_b128 s[4:7], s[0:1], 0x18
	s_load_b64 s[2:3], s[0:1], 0x28
	s_waitcnt lgkmcnt(0)
	s_cmp_eq_u64 s[4:5], 0
	s_cbranch_scc1 .LBB488_7
; %bb.6:
	s_ashr_i32 s9, s8, 31
	s_delay_alu instid0(SALU_CYCLE_1) | instskip(NEXT) | instid1(SALU_CYCLE_1)
	s_lshl_b64 s[8:9], s[8:9], 2
	s_add_u32 s4, s4, s8
	s_addc_u32 s5, s5, s9
	s_load_b32 s4, s[4:5], 0x0
	s_waitcnt lgkmcnt(0)
	s_sub_i32 s8, s4, s10
.LBB488_7:
	s_load_b32 s4, s[0:1], 0x4
	v_mul_u32_u24_e32 v5, 0xa3e, v0
	s_delay_alu instid0(VALU_DEP_1) | instskip(SKIP_2) | instid1(VALU_DEP_3)
	v_lshrrev_b32_e32 v7, 16, v5
	v_mov_b32_e32 v5, 0
	v_mov_b32_e32 v6, 0
	v_mul_lo_u16 v8, v7, 25
	s_delay_alu instid0(VALU_DEP_1)
	v_sub_nc_u16 v12, v0, v8
	s_waitcnt lgkmcnt(0)
	s_cmp_eq_u32 s4, 1
	s_cselect_b32 vcc_lo, -1, 0
	s_cmp_lg_u32 s4, 1
	s_cselect_b32 s11, -1, 0
	s_ashr_i32 s9, s8, 31
	s_delay_alu instid0(SALU_CYCLE_1) | instskip(NEXT) | instid1(SALU_CYCLE_1)
	s_lshl_b64 s[4:5], s[8:9], 2
	s_add_u32 s6, s6, s4
	s_addc_u32 s7, s7, s5
	s_add_u32 s9, s6, 4
	s_addc_u32 s12, s7, 0
	;; [unrolled: 2-line block ×3, first 2 shown]
	s_cmp_eq_u64 s[2:3], 0
	s_cselect_b32 s3, s12, s5
	s_cselect_b32 s2, s9, s4
	s_load_b32 s9, s[6:7], 0x0
	s_load_b32 s14, s[2:3], 0x0
	s_load_b64 s[2:3], s[0:1], 0x50
	s_waitcnt lgkmcnt(0)
	s_cmp_ge_i32 s9, s14
	s_cbranch_scc1 .LBB488_12
; %bb.8:
	s_clause 0x1
	s_load_b128 s[4:7], s[0:1], 0x30
	s_load_b64 s[12:13], s[0:1], 0x40
	v_and_b32_e32 v5, 0xffff, v7
	v_cmp_gt_u32_e64 s0, 0x271, v0
	v_and_b32_e32 v7, 0xffff, v12
	s_sub_i32 s9, s9, s10
	v_lshlrev_b32_e32 v9, 2, v0
	v_subrev_nc_u32_e32 v6, 25, v5
	s_sub_i32 s1, s14, s10
	s_mul_i32 s14, s9, 0x9c4
	s_delay_alu instid0(VALU_DEP_1) | instskip(SKIP_3) | instid1(VALU_DEP_3)
	v_cndmask_b32_e64 v8, v6, v5, s0
	v_mov_b32_e32 v5, 0
	v_mov_b32_e32 v6, 0
	s_mul_hi_i32 s0, s9, 0x9c4
	v_cndmask_b32_e32 v7, v7, v8, vcc_lo
	v_cmp_lt_u32_e32 vcc_lo, 0x270, v0
	s_waitcnt lgkmcnt(0)
	s_add_u32 s6, s6, s14
	s_addc_u32 s0, s7, s0
	v_add_co_u32 v8, s6, s6, v9
	s_delay_alu instid0(VALU_DEP_1)
	v_add_co_ci_u32_e64 v9, null, s0, 0, s6
	v_cndmask_b32_e64 v13, 0, 1, vcc_lo
	s_set_inst_prefetch_distance 0x1
	s_branch .LBB488_10
	.p2align	6
.LBB488_9:                              ;   in Loop: Header=BB488_10 Depth=1
	s_or_b32 exec_lo, exec_lo, s0
	s_add_i32 s9, s9, 1
	s_delay_alu instid0(SALU_CYCLE_1)
	s_cmp_lt_i32 s9, s1
	s_cbranch_scc0 .LBB488_12
.LBB488_10:                             ; =>This Inner Loop Header: Depth=1
	s_delay_alu instid0(VALU_DEP_1) | instskip(SKIP_1) | instid1(VALU_DEP_1)
	v_add_nc_u32_e32 v10, s9, v13
	s_mov_b32 s0, exec_lo
	v_cmpx_gt_i32_e64 s1, v10
	s_cbranch_execz .LBB488_9
; %bb.11:                               ;   in Loop: Header=BB488_10 Depth=1
	v_ashrrev_i32_e32 v11, 31, v10
	s_delay_alu instid0(VALU_DEP_1) | instskip(NEXT) | instid1(VALU_DEP_1)
	v_lshlrev_b64 v[10:11], 2, v[10:11]
	v_add_co_u32 v10, vcc_lo, s4, v10
	s_delay_alu instid0(VALU_DEP_2) | instskip(SKIP_4) | instid1(VALU_DEP_1)
	v_add_co_ci_u32_e32 v11, vcc_lo, s5, v11, vcc_lo
	global_load_b32 v10, v[10:11], off
	global_load_b32 v14, v[8:9], off
	s_waitcnt vmcnt(1)
	v_subrev_nc_u32_e32 v15, s10, v10
	v_mad_u64_u32 v[10:11], null, v15, 25, v[7:8]
	s_waitcnt vmcnt(0)
	v_cvt_f64_f32_e32 v[14:15], v14
	s_delay_alu instid0(VALU_DEP_2) | instskip(NEXT) | instid1(VALU_DEP_1)
	v_ashrrev_i32_e32 v11, 31, v10
	v_lshlrev_b64 v[10:11], 3, v[10:11]
	s_delay_alu instid0(VALU_DEP_1) | instskip(NEXT) | instid1(VALU_DEP_2)
	v_add_co_u32 v10, vcc_lo, s12, v10
	v_add_co_ci_u32_e32 v11, vcc_lo, s13, v11, vcc_lo
	v_add_co_u32 v8, vcc_lo, 0x9c4, v8
	v_add_co_ci_u32_e32 v9, vcc_lo, 0, v9, vcc_lo
	global_load_b64 v[10:11], v[10:11], off
	s_waitcnt vmcnt(0)
	v_fma_f64 v[5:6], v[14:15], v[10:11], v[5:6]
	s_branch .LBB488_9
.LBB488_12:
	s_set_inst_prefetch_distance 0x2
	v_lshlrev_b32_e32 v7, 3, v0
	s_and_b32 vcc_lo, exec_lo, s11
	ds_store_b64 v7, v[5:6]
	s_waitcnt lgkmcnt(0)
	s_barrier
	buffer_gl0_inv
	s_cbranch_vccz .LBB488_24
; %bb.13:
	s_mov_b32 s0, exec_lo
	v_cmpx_gt_u16_e32 9, v12
	s_cbranch_execz .LBB488_15
; %bb.14:
	ds_load_2addr_b64 v[8:11], v7 offset1:16
	s_waitcnt lgkmcnt(0)
	v_add_f64 v[8:9], v[10:11], v[8:9]
	ds_store_b64 v7, v[8:9]
.LBB488_15:
	s_or_b32 exec_lo, exec_lo, s0
	s_delay_alu instid0(SALU_CYCLE_1)
	s_mov_b32 s0, exec_lo
	s_waitcnt lgkmcnt(0)
	s_barrier
	buffer_gl0_inv
	v_cmpx_gt_u16_e32 8, v12
	s_cbranch_execz .LBB488_17
; %bb.16:
	ds_load_2addr_b64 v[8:11], v7 offset1:8
	s_waitcnt lgkmcnt(0)
	v_add_f64 v[8:9], v[10:11], v[8:9]
	ds_store_b64 v7, v[8:9]
.LBB488_17:
	s_or_b32 exec_lo, exec_lo, s0
	s_delay_alu instid0(SALU_CYCLE_1)
	s_mov_b32 s0, exec_lo
	s_waitcnt lgkmcnt(0)
	s_barrier
	buffer_gl0_inv
	;; [unrolled: 14-line block ×3, first 2 shown]
	v_cmpx_gt_u16_e32 2, v12
	s_cbranch_execz .LBB488_21
; %bb.20:
	ds_load_2addr_b64 v[8:11], v7 offset1:2
	s_waitcnt lgkmcnt(0)
	v_add_f64 v[8:9], v[10:11], v[8:9]
	ds_store_b64 v7, v[8:9]
.LBB488_21:
	s_or_b32 exec_lo, exec_lo, s0
	s_mov_b32 s1, 0
	s_mov_b32 s0, 0
	s_mov_b32 s4, exec_lo
	s_waitcnt lgkmcnt(0)
	s_barrier
	buffer_gl0_inv
                                        ; implicit-def: $vgpr8
                                        ; implicit-def: $vgpr9
	v_cmpx_gt_u32_e32 25, v0
	s_xor_b32 s4, exec_lo, s4
; %bb.22:
	v_mad_u32_u24 v8, v0, 25, 1
	v_mad_u32_u24 v9, 0xc0, v0, v7
	s_mov_b32 s0, exec_lo
; %bb.23:
	s_or_b32 exec_lo, exec_lo, s4
	s_delay_alu instid0(SALU_CYCLE_1)
	s_and_b32 vcc_lo, exec_lo, s1
	s_cbranch_vccnz .LBB488_25
	s_branch .LBB488_36
.LBB488_24:
	s_mov_b32 s0, 0
                                        ; implicit-def: $vgpr8
                                        ; implicit-def: $vgpr9
	s_cbranch_execz .LBB488_36
.LBB488_25:
	s_mov_b32 s1, exec_lo
	v_cmpx_gt_u32_e32 0xe1, v0
	s_cbranch_execz .LBB488_27
; %bb.26:
	ds_load_b64 v[8:9], v7 offset:3200
	ds_load_b64 v[10:11], v7
	s_waitcnt lgkmcnt(0)
	v_add_f64 v[8:9], v[8:9], v[10:11]
	ds_store_b64 v7, v[8:9]
.LBB488_27:
	s_or_b32 exec_lo, exec_lo, s1
	s_delay_alu instid0(SALU_CYCLE_1)
	s_mov_b32 s1, exec_lo
	s_waitcnt lgkmcnt(0)
	s_barrier
	buffer_gl0_inv
	v_cmpx_gt_u32_e32 0xc8, v0
	s_cbranch_execz .LBB488_29
; %bb.28:
	ds_load_2addr_b64 v[8:11], v7 offset1:200
	s_waitcnt lgkmcnt(0)
	v_add_f64 v[8:9], v[10:11], v[8:9]
	ds_store_b64 v7, v[8:9]
.LBB488_29:
	s_or_b32 exec_lo, exec_lo, s1
	s_delay_alu instid0(SALU_CYCLE_1)
	s_mov_b32 s1, exec_lo
	s_waitcnt lgkmcnt(0)
	s_barrier
	buffer_gl0_inv
	v_cmpx_gt_u32_e32 0x64, v0
	s_cbranch_execz .LBB488_31
; %bb.30:
	ds_load_2addr_b64 v[8:11], v7 offset1:100
	s_waitcnt lgkmcnt(0)
	v_add_f64 v[8:9], v[10:11], v[8:9]
	ds_store_b64 v7, v[8:9]
.LBB488_31:
	;; [unrolled: 14-line block ×3, first 2 shown]
	s_or_b32 exec_lo, exec_lo, s1
	s_delay_alu instid0(SALU_CYCLE_1)
	s_mov_b32 s1, exec_lo
	s_waitcnt lgkmcnt(0)
	buffer_gl0_inv
                                        ; implicit-def: $vgpr8
	v_cmpx_gt_u32_e32 25, v0
; %bb.34:
	v_add_nc_u32_e32 v8, 25, v0
	s_or_b32 s0, s0, exec_lo
                                        ; implicit-def: $vgpr5_vgpr6
; %bb.35:
	s_or_b32 exec_lo, exec_lo, s1
	v_mov_b32_e32 v9, v7
.LBB488_36:
	s_and_saveexec_b32 s1, s0
	s_cbranch_execnz .LBB488_39
; %bb.37:
	s_or_b32 exec_lo, exec_lo, s1
	v_cmp_gt_u32_e32 vcc_lo, 25, v0
	s_and_b32 exec_lo, exec_lo, vcc_lo
	s_cbranch_execnz .LBB488_40
.LBB488_38:
	s_nop 0
	s_sendmsg sendmsg(MSG_DEALLOC_VGPRS)
	s_endpgm
.LBB488_39:
	v_lshlrev_b32_e32 v7, 3, v8
	ds_load_b64 v[5:6], v9
	ds_load_b64 v[7:8], v7
	s_waitcnt lgkmcnt(0)
	v_add_f64 v[5:6], v[5:6], v[7:8]
	s_or_b32 exec_lo, exec_lo, s1
	v_cmp_gt_u32_e32 vcc_lo, 25, v0
	s_and_b32 exec_lo, exec_lo, vcc_lo
	s_cbranch_execz .LBB488_38
.LBB488_40:
	s_delay_alu instid0(VALU_DEP_2)
	v_mul_f64 v[3:4], v[3:4], v[5:6]
	s_mov_b32 s0, exec_lo
	v_cmpx_eq_f64_e32 0, v[1:2]
	s_xor_b32 s0, exec_lo, s0
	s_cbranch_execz .LBB488_42
; %bb.41:
	v_mad_u64_u32 v[1:2], null, s8, 25, v[0:1]
	v_mov_b32_e32 v2, 0
	s_delay_alu instid0(VALU_DEP_1) | instskip(NEXT) | instid1(VALU_DEP_1)
	v_lshlrev_b64 v[0:1], 3, v[1:2]
	v_add_co_u32 v0, vcc_lo, s2, v0
	s_delay_alu instid0(VALU_DEP_2)
	v_add_co_ci_u32_e32 v1, vcc_lo, s3, v1, vcc_lo
	global_store_b64 v[0:1], v[3:4], off
                                        ; implicit-def: $vgpr0
                                        ; implicit-def: $vgpr1_vgpr2
                                        ; implicit-def: $vgpr3_vgpr4
.LBB488_42:
	s_and_not1_saveexec_b32 s0, s0
	s_cbranch_execz .LBB488_38
; %bb.43:
	v_mad_u64_u32 v[5:6], null, s8, 25, v[0:1]
	v_mov_b32_e32 v6, 0
	s_delay_alu instid0(VALU_DEP_1) | instskip(NEXT) | instid1(VALU_DEP_1)
	v_lshlrev_b64 v[5:6], 3, v[5:6]
	v_add_co_u32 v5, vcc_lo, s2, v5
	s_delay_alu instid0(VALU_DEP_2)
	v_add_co_ci_u32_e32 v6, vcc_lo, s3, v6, vcc_lo
	global_load_b64 v[7:8], v[5:6], off
	s_waitcnt vmcnt(0)
	v_fma_f64 v[0:1], v[1:2], v[7:8], v[3:4]
	global_store_b64 v[5:6], v[0:1], off
	s_nop 0
	s_sendmsg sendmsg(MSG_DEALLOC_VGPRS)
	s_endpgm
	.section	.rodata,"a",@progbits
	.p2align	6, 0x0
	.amdhsa_kernel _ZN9rocsparseL20bsrxmvn_17_32_kernelILj25EdiifddEEvT2_20rocsparse_direction_NS_24const_host_device_scalarIT0_EES1_PKS1_PKT1_SA_S7_PKT3_PKT4_S5_PT5_21rocsparse_index_base_b
		.amdhsa_group_segment_fixed_size 5000
		.amdhsa_private_segment_fixed_size 0
		.amdhsa_kernarg_size 96
		.amdhsa_user_sgpr_count 15
		.amdhsa_user_sgpr_dispatch_ptr 0
		.amdhsa_user_sgpr_queue_ptr 0
		.amdhsa_user_sgpr_kernarg_segment_ptr 1
		.amdhsa_user_sgpr_dispatch_id 0
		.amdhsa_user_sgpr_private_segment_size 0
		.amdhsa_wavefront_size32 1
		.amdhsa_uses_dynamic_stack 0
		.amdhsa_enable_private_segment 0
		.amdhsa_system_sgpr_workgroup_id_x 1
		.amdhsa_system_sgpr_workgroup_id_y 0
		.amdhsa_system_sgpr_workgroup_id_z 0
		.amdhsa_system_sgpr_workgroup_info 0
		.amdhsa_system_vgpr_workitem_id 0
		.amdhsa_next_free_vgpr 16
		.amdhsa_next_free_sgpr 16
		.amdhsa_reserve_vcc 1
		.amdhsa_float_round_mode_32 0
		.amdhsa_float_round_mode_16_64 0
		.amdhsa_float_denorm_mode_32 3
		.amdhsa_float_denorm_mode_16_64 3
		.amdhsa_dx10_clamp 1
		.amdhsa_ieee_mode 1
		.amdhsa_fp16_overflow 0
		.amdhsa_workgroup_processor_mode 1
		.amdhsa_memory_ordered 1
		.amdhsa_forward_progress 0
		.amdhsa_shared_vgpr_count 0
		.amdhsa_exception_fp_ieee_invalid_op 0
		.amdhsa_exception_fp_denorm_src 0
		.amdhsa_exception_fp_ieee_div_zero 0
		.amdhsa_exception_fp_ieee_overflow 0
		.amdhsa_exception_fp_ieee_underflow 0
		.amdhsa_exception_fp_ieee_inexact 0
		.amdhsa_exception_int_div_zero 0
	.end_amdhsa_kernel
	.section	.text._ZN9rocsparseL20bsrxmvn_17_32_kernelILj25EdiifddEEvT2_20rocsparse_direction_NS_24const_host_device_scalarIT0_EES1_PKS1_PKT1_SA_S7_PKT3_PKT4_S5_PT5_21rocsparse_index_base_b,"axG",@progbits,_ZN9rocsparseL20bsrxmvn_17_32_kernelILj25EdiifddEEvT2_20rocsparse_direction_NS_24const_host_device_scalarIT0_EES1_PKS1_PKT1_SA_S7_PKT3_PKT4_S5_PT5_21rocsparse_index_base_b,comdat
.Lfunc_end488:
	.size	_ZN9rocsparseL20bsrxmvn_17_32_kernelILj25EdiifddEEvT2_20rocsparse_direction_NS_24const_host_device_scalarIT0_EES1_PKS1_PKT1_SA_S7_PKT3_PKT4_S5_PT5_21rocsparse_index_base_b, .Lfunc_end488-_ZN9rocsparseL20bsrxmvn_17_32_kernelILj25EdiifddEEvT2_20rocsparse_direction_NS_24const_host_device_scalarIT0_EES1_PKS1_PKT1_SA_S7_PKT3_PKT4_S5_PT5_21rocsparse_index_base_b
                                        ; -- End function
	.section	.AMDGPU.csdata,"",@progbits
; Kernel info:
; codeLenInByte = 1628
; NumSgprs: 18
; NumVgprs: 16
; ScratchSize: 0
; MemoryBound: 0
; FloatMode: 240
; IeeeMode: 1
; LDSByteSize: 5000 bytes/workgroup (compile time only)
; SGPRBlocks: 2
; VGPRBlocks: 1
; NumSGPRsForWavesPerEU: 18
; NumVGPRsForWavesPerEU: 16
; Occupancy: 15
; WaveLimiterHint : 1
; COMPUTE_PGM_RSRC2:SCRATCH_EN: 0
; COMPUTE_PGM_RSRC2:USER_SGPR: 15
; COMPUTE_PGM_RSRC2:TRAP_HANDLER: 0
; COMPUTE_PGM_RSRC2:TGID_X_EN: 1
; COMPUTE_PGM_RSRC2:TGID_Y_EN: 0
; COMPUTE_PGM_RSRC2:TGID_Z_EN: 0
; COMPUTE_PGM_RSRC2:TIDIG_COMP_CNT: 0
	.section	.text._ZN9rocsparseL20bsrxmvn_17_32_kernelILj26EdiifddEEvT2_20rocsparse_direction_NS_24const_host_device_scalarIT0_EES1_PKS1_PKT1_SA_S7_PKT3_PKT4_S5_PT5_21rocsparse_index_base_b,"axG",@progbits,_ZN9rocsparseL20bsrxmvn_17_32_kernelILj26EdiifddEEvT2_20rocsparse_direction_NS_24const_host_device_scalarIT0_EES1_PKS1_PKT1_SA_S7_PKT3_PKT4_S5_PT5_21rocsparse_index_base_b,comdat
	.globl	_ZN9rocsparseL20bsrxmvn_17_32_kernelILj26EdiifddEEvT2_20rocsparse_direction_NS_24const_host_device_scalarIT0_EES1_PKS1_PKT1_SA_S7_PKT3_PKT4_S5_PT5_21rocsparse_index_base_b ; -- Begin function _ZN9rocsparseL20bsrxmvn_17_32_kernelILj26EdiifddEEvT2_20rocsparse_direction_NS_24const_host_device_scalarIT0_EES1_PKS1_PKT1_SA_S7_PKT3_PKT4_S5_PT5_21rocsparse_index_base_b
	.p2align	8
	.type	_ZN9rocsparseL20bsrxmvn_17_32_kernelILj26EdiifddEEvT2_20rocsparse_direction_NS_24const_host_device_scalarIT0_EES1_PKS1_PKT1_SA_S7_PKT3_PKT4_S5_PT5_21rocsparse_index_base_b,@function
_ZN9rocsparseL20bsrxmvn_17_32_kernelILj26EdiifddEEvT2_20rocsparse_direction_NS_24const_host_device_scalarIT0_EES1_PKS1_PKT1_SA_S7_PKT3_PKT4_S5_PT5_21rocsparse_index_base_b: ; @_ZN9rocsparseL20bsrxmvn_17_32_kernelILj26EdiifddEEvT2_20rocsparse_direction_NS_24const_host_device_scalarIT0_EES1_PKS1_PKT1_SA_S7_PKT3_PKT4_S5_PT5_21rocsparse_index_base_b
; %bb.0:
	s_clause 0x2
	s_load_b64 s[10:11], s[0:1], 0x58
	s_load_b64 s[4:5], s[0:1], 0x8
	;; [unrolled: 1-line block ×3, first 2 shown]
	s_mov_b32 s8, s15
	s_waitcnt lgkmcnt(0)
	s_bitcmp1_b32 s11, 0
	v_dual_mov_b32 v3, s4 :: v_dual_mov_b32 v4, s5
	s_cselect_b32 s6, -1, 0
	s_delay_alu instid0(SALU_CYCLE_1)
	s_and_b32 vcc_lo, exec_lo, s6
	s_xor_b32 s6, s6, -1
	s_cbranch_vccnz .LBB489_2
; %bb.1:
	v_dual_mov_b32 v1, s4 :: v_dual_mov_b32 v2, s5
	flat_load_b64 v[3:4], v[1:2]
.LBB489_2:
	v_dual_mov_b32 v1, s2 :: v_dual_mov_b32 v2, s3
	s_and_not1_b32 vcc_lo, exec_lo, s6
	s_cbranch_vccnz .LBB489_4
; %bb.3:
	v_dual_mov_b32 v1, s2 :: v_dual_mov_b32 v2, s3
	flat_load_b64 v[1:2], v[1:2]
.LBB489_4:
	s_waitcnt vmcnt(0) lgkmcnt(0)
	v_cmp_neq_f64_e32 vcc_lo, 0, v[3:4]
	v_cmp_neq_f64_e64 s2, 1.0, v[1:2]
	s_delay_alu instid0(VALU_DEP_1) | instskip(NEXT) | instid1(SALU_CYCLE_1)
	s_or_b32 s2, vcc_lo, s2
	s_and_saveexec_b32 s3, s2
	s_cbranch_execz .LBB489_38
; %bb.5:
	s_clause 0x1
	s_load_b128 s[4:7], s[0:1], 0x18
	s_load_b64 s[2:3], s[0:1], 0x28
	s_waitcnt lgkmcnt(0)
	s_cmp_eq_u64 s[4:5], 0
	s_cbranch_scc1 .LBB489_7
; %bb.6:
	s_ashr_i32 s9, s8, 31
	s_delay_alu instid0(SALU_CYCLE_1) | instskip(NEXT) | instid1(SALU_CYCLE_1)
	s_lshl_b64 s[8:9], s[8:9], 2
	s_add_u32 s4, s4, s8
	s_addc_u32 s5, s5, s9
	s_load_b32 s4, s[4:5], 0x0
	s_waitcnt lgkmcnt(0)
	s_sub_i32 s8, s4, s10
.LBB489_7:
	s_load_b32 s4, s[0:1], 0x4
	v_mul_u32_u24_e32 v5, 0x9d9, v0
	s_delay_alu instid0(VALU_DEP_1) | instskip(SKIP_2) | instid1(VALU_DEP_3)
	v_lshrrev_b32_e32 v7, 16, v5
	v_mov_b32_e32 v5, 0
	v_mov_b32_e32 v6, 0
	v_mul_lo_u16 v8, v7, 26
	s_delay_alu instid0(VALU_DEP_1)
	v_sub_nc_u16 v12, v0, v8
	s_waitcnt lgkmcnt(0)
	s_cmp_eq_u32 s4, 1
	s_cselect_b32 vcc_lo, -1, 0
	s_cmp_lg_u32 s4, 1
	s_cselect_b32 s11, -1, 0
	s_ashr_i32 s9, s8, 31
	s_delay_alu instid0(SALU_CYCLE_1) | instskip(NEXT) | instid1(SALU_CYCLE_1)
	s_lshl_b64 s[4:5], s[8:9], 2
	s_add_u32 s6, s6, s4
	s_addc_u32 s7, s7, s5
	s_add_u32 s9, s6, 4
	s_addc_u32 s12, s7, 0
	;; [unrolled: 2-line block ×3, first 2 shown]
	s_cmp_eq_u64 s[2:3], 0
	s_cselect_b32 s3, s12, s5
	s_cselect_b32 s2, s9, s4
	s_load_b32 s9, s[6:7], 0x0
	s_load_b32 s14, s[2:3], 0x0
	s_load_b64 s[2:3], s[0:1], 0x50
	s_waitcnt lgkmcnt(0)
	s_cmp_ge_i32 s9, s14
	s_cbranch_scc1 .LBB489_12
; %bb.8:
	s_clause 0x1
	s_load_b128 s[4:7], s[0:1], 0x30
	s_load_b64 s[12:13], s[0:1], 0x40
	v_and_b32_e32 v5, 0xffff, v7
	v_cmp_gt_u32_e64 s0, 0x2a4, v0
	v_and_b32_e32 v7, 0xffff, v12
	s_sub_i32 s9, s9, s10
	v_lshlrev_b32_e32 v9, 2, v0
	v_subrev_nc_u32_e32 v6, 26, v5
	s_sub_i32 s1, s14, s10
	s_mul_i32 s14, s9, 0xa90
	s_delay_alu instid0(VALU_DEP_1) | instskip(SKIP_3) | instid1(VALU_DEP_3)
	v_cndmask_b32_e64 v8, v6, v5, s0
	v_mov_b32_e32 v5, 0
	v_mov_b32_e32 v6, 0
	s_mul_hi_i32 s0, s9, 0xa90
	v_cndmask_b32_e32 v7, v7, v8, vcc_lo
	v_cmp_lt_u32_e32 vcc_lo, 0x2a3, v0
	s_waitcnt lgkmcnt(0)
	s_add_u32 s6, s6, s14
	s_addc_u32 s0, s7, s0
	v_add_co_u32 v8, s6, s6, v9
	s_delay_alu instid0(VALU_DEP_1)
	v_add_co_ci_u32_e64 v9, null, s0, 0, s6
	v_cndmask_b32_e64 v13, 0, 1, vcc_lo
	s_set_inst_prefetch_distance 0x1
	s_branch .LBB489_10
	.p2align	6
.LBB489_9:                              ;   in Loop: Header=BB489_10 Depth=1
	s_or_b32 exec_lo, exec_lo, s0
	s_add_i32 s9, s9, 1
	s_delay_alu instid0(SALU_CYCLE_1)
	s_cmp_lt_i32 s9, s1
	s_cbranch_scc0 .LBB489_12
.LBB489_10:                             ; =>This Inner Loop Header: Depth=1
	s_delay_alu instid0(VALU_DEP_1) | instskip(SKIP_1) | instid1(VALU_DEP_1)
	v_add_nc_u32_e32 v10, s9, v13
	s_mov_b32 s0, exec_lo
	v_cmpx_gt_i32_e64 s1, v10
	s_cbranch_execz .LBB489_9
; %bb.11:                               ;   in Loop: Header=BB489_10 Depth=1
	v_ashrrev_i32_e32 v11, 31, v10
	s_delay_alu instid0(VALU_DEP_1) | instskip(NEXT) | instid1(VALU_DEP_1)
	v_lshlrev_b64 v[10:11], 2, v[10:11]
	v_add_co_u32 v10, vcc_lo, s4, v10
	s_delay_alu instid0(VALU_DEP_2) | instskip(SKIP_4) | instid1(VALU_DEP_1)
	v_add_co_ci_u32_e32 v11, vcc_lo, s5, v11, vcc_lo
	global_load_b32 v10, v[10:11], off
	global_load_b32 v14, v[8:9], off
	s_waitcnt vmcnt(1)
	v_subrev_nc_u32_e32 v15, s10, v10
	v_mad_u64_u32 v[10:11], null, v15, 26, v[7:8]
	s_waitcnt vmcnt(0)
	v_cvt_f64_f32_e32 v[14:15], v14
	s_delay_alu instid0(VALU_DEP_2) | instskip(NEXT) | instid1(VALU_DEP_1)
	v_ashrrev_i32_e32 v11, 31, v10
	v_lshlrev_b64 v[10:11], 3, v[10:11]
	s_delay_alu instid0(VALU_DEP_1) | instskip(NEXT) | instid1(VALU_DEP_2)
	v_add_co_u32 v10, vcc_lo, s12, v10
	v_add_co_ci_u32_e32 v11, vcc_lo, s13, v11, vcc_lo
	v_add_co_u32 v8, vcc_lo, 0xa90, v8
	v_add_co_ci_u32_e32 v9, vcc_lo, 0, v9, vcc_lo
	global_load_b64 v[10:11], v[10:11], off
	s_waitcnt vmcnt(0)
	v_fma_f64 v[5:6], v[14:15], v[10:11], v[5:6]
	s_branch .LBB489_9
.LBB489_12:
	s_set_inst_prefetch_distance 0x2
	v_lshlrev_b32_e32 v7, 3, v0
	s_and_b32 vcc_lo, exec_lo, s11
	ds_store_b64 v7, v[5:6]
	s_waitcnt lgkmcnt(0)
	s_barrier
	buffer_gl0_inv
	s_cbranch_vccz .LBB489_24
; %bb.13:
	s_mov_b32 s0, exec_lo
	v_cmpx_gt_u16_e32 10, v12
	s_cbranch_execz .LBB489_15
; %bb.14:
	ds_load_2addr_b64 v[8:11], v7 offset1:16
	s_waitcnt lgkmcnt(0)
	v_add_f64 v[8:9], v[10:11], v[8:9]
	ds_store_b64 v7, v[8:9]
.LBB489_15:
	s_or_b32 exec_lo, exec_lo, s0
	s_delay_alu instid0(SALU_CYCLE_1)
	s_mov_b32 s0, exec_lo
	s_waitcnt lgkmcnt(0)
	s_barrier
	buffer_gl0_inv
	v_cmpx_gt_u16_e32 8, v12
	s_cbranch_execz .LBB489_17
; %bb.16:
	ds_load_2addr_b64 v[8:11], v7 offset1:8
	s_waitcnt lgkmcnt(0)
	v_add_f64 v[8:9], v[10:11], v[8:9]
	ds_store_b64 v7, v[8:9]
.LBB489_17:
	s_or_b32 exec_lo, exec_lo, s0
	s_delay_alu instid0(SALU_CYCLE_1)
	s_mov_b32 s0, exec_lo
	s_waitcnt lgkmcnt(0)
	s_barrier
	buffer_gl0_inv
	;; [unrolled: 14-line block ×3, first 2 shown]
	v_cmpx_gt_u16_e32 2, v12
	s_cbranch_execz .LBB489_21
; %bb.20:
	ds_load_2addr_b64 v[8:11], v7 offset1:2
	s_waitcnt lgkmcnt(0)
	v_add_f64 v[8:9], v[10:11], v[8:9]
	ds_store_b64 v7, v[8:9]
.LBB489_21:
	s_or_b32 exec_lo, exec_lo, s0
	s_mov_b32 s1, 0
	s_mov_b32 s0, 0
	s_mov_b32 s4, exec_lo
	s_waitcnt lgkmcnt(0)
	s_barrier
	buffer_gl0_inv
                                        ; implicit-def: $vgpr8
                                        ; implicit-def: $vgpr9
	v_cmpx_gt_u32_e32 26, v0
	s_xor_b32 s4, exec_lo, s4
; %bb.22:
	v_mul_u32_u24_e32 v8, 26, v0
	v_mad_u32_u24 v9, 0xc8, v0, v7
	s_mov_b32 s0, exec_lo
	s_delay_alu instid0(VALU_DEP_2)
	v_or_b32_e32 v8, 1, v8
; %bb.23:
	s_or_b32 exec_lo, exec_lo, s4
	s_delay_alu instid0(SALU_CYCLE_1)
	s_and_b32 vcc_lo, exec_lo, s1
	s_cbranch_vccnz .LBB489_25
	s_branch .LBB489_36
.LBB489_24:
	s_mov_b32 s0, 0
                                        ; implicit-def: $vgpr8
                                        ; implicit-def: $vgpr9
	s_cbranch_execz .LBB489_36
.LBB489_25:
	s_mov_b32 s1, exec_lo
	v_cmpx_gt_u32_e32 0x104, v0
	s_cbranch_execz .LBB489_27
; %bb.26:
	ds_load_b64 v[8:9], v7 offset:3328
	ds_load_b64 v[10:11], v7
	s_waitcnt lgkmcnt(0)
	v_add_f64 v[8:9], v[8:9], v[10:11]
	ds_store_b64 v7, v[8:9]
.LBB489_27:
	s_or_b32 exec_lo, exec_lo, s1
	s_delay_alu instid0(SALU_CYCLE_1)
	s_mov_b32 s1, exec_lo
	s_waitcnt lgkmcnt(0)
	s_barrier
	buffer_gl0_inv
	v_cmpx_gt_u32_e32 0xd0, v0
	s_cbranch_execz .LBB489_29
; %bb.28:
	ds_load_2addr_b64 v[8:11], v7 offset1:208
	s_waitcnt lgkmcnt(0)
	v_add_f64 v[8:9], v[10:11], v[8:9]
	ds_store_b64 v7, v[8:9]
.LBB489_29:
	s_or_b32 exec_lo, exec_lo, s1
	s_delay_alu instid0(SALU_CYCLE_1)
	s_mov_b32 s1, exec_lo
	s_waitcnt lgkmcnt(0)
	s_barrier
	buffer_gl0_inv
	v_cmpx_gt_u32_e32 0x68, v0
	s_cbranch_execz .LBB489_31
; %bb.30:
	ds_load_2addr_b64 v[8:11], v7 offset1:104
	s_waitcnt lgkmcnt(0)
	v_add_f64 v[8:9], v[10:11], v[8:9]
	ds_store_b64 v7, v[8:9]
.LBB489_31:
	;; [unrolled: 14-line block ×3, first 2 shown]
	s_or_b32 exec_lo, exec_lo, s1
	s_delay_alu instid0(SALU_CYCLE_1)
	s_mov_b32 s1, exec_lo
	s_waitcnt lgkmcnt(0)
	buffer_gl0_inv
                                        ; implicit-def: $vgpr8
	v_cmpx_gt_u32_e32 26, v0
; %bb.34:
	v_add_nc_u32_e32 v8, 26, v0
	s_or_b32 s0, s0, exec_lo
                                        ; implicit-def: $vgpr5_vgpr6
; %bb.35:
	s_or_b32 exec_lo, exec_lo, s1
	v_mov_b32_e32 v9, v7
.LBB489_36:
	s_and_saveexec_b32 s1, s0
	s_cbranch_execnz .LBB489_39
; %bb.37:
	s_or_b32 exec_lo, exec_lo, s1
	v_cmp_gt_u32_e32 vcc_lo, 26, v0
	s_and_b32 exec_lo, exec_lo, vcc_lo
	s_cbranch_execnz .LBB489_40
.LBB489_38:
	s_nop 0
	s_sendmsg sendmsg(MSG_DEALLOC_VGPRS)
	s_endpgm
.LBB489_39:
	v_lshlrev_b32_e32 v7, 3, v8
	ds_load_b64 v[5:6], v9
	ds_load_b64 v[7:8], v7
	s_waitcnt lgkmcnt(0)
	v_add_f64 v[5:6], v[5:6], v[7:8]
	s_or_b32 exec_lo, exec_lo, s1
	v_cmp_gt_u32_e32 vcc_lo, 26, v0
	s_and_b32 exec_lo, exec_lo, vcc_lo
	s_cbranch_execz .LBB489_38
.LBB489_40:
	s_delay_alu instid0(VALU_DEP_2)
	v_mul_f64 v[3:4], v[3:4], v[5:6]
	s_mov_b32 s0, exec_lo
	v_cmpx_eq_f64_e32 0, v[1:2]
	s_xor_b32 s0, exec_lo, s0
	s_cbranch_execz .LBB489_42
; %bb.41:
	v_mad_u64_u32 v[1:2], null, s8, 26, v[0:1]
	v_mov_b32_e32 v2, 0
	s_delay_alu instid0(VALU_DEP_1) | instskip(NEXT) | instid1(VALU_DEP_1)
	v_lshlrev_b64 v[0:1], 3, v[1:2]
	v_add_co_u32 v0, vcc_lo, s2, v0
	s_delay_alu instid0(VALU_DEP_2)
	v_add_co_ci_u32_e32 v1, vcc_lo, s3, v1, vcc_lo
	global_store_b64 v[0:1], v[3:4], off
                                        ; implicit-def: $vgpr0
                                        ; implicit-def: $vgpr1_vgpr2
                                        ; implicit-def: $vgpr3_vgpr4
.LBB489_42:
	s_and_not1_saveexec_b32 s0, s0
	s_cbranch_execz .LBB489_38
; %bb.43:
	v_mad_u64_u32 v[5:6], null, s8, 26, v[0:1]
	v_mov_b32_e32 v6, 0
	s_delay_alu instid0(VALU_DEP_1) | instskip(NEXT) | instid1(VALU_DEP_1)
	v_lshlrev_b64 v[5:6], 3, v[5:6]
	v_add_co_u32 v5, vcc_lo, s2, v5
	s_delay_alu instid0(VALU_DEP_2)
	v_add_co_ci_u32_e32 v6, vcc_lo, s3, v6, vcc_lo
	global_load_b64 v[7:8], v[5:6], off
	s_waitcnt vmcnt(0)
	v_fma_f64 v[0:1], v[1:2], v[7:8], v[3:4]
	global_store_b64 v[5:6], v[0:1], off
	s_nop 0
	s_sendmsg sendmsg(MSG_DEALLOC_VGPRS)
	s_endpgm
	.section	.rodata,"a",@progbits
	.p2align	6, 0x0
	.amdhsa_kernel _ZN9rocsparseL20bsrxmvn_17_32_kernelILj26EdiifddEEvT2_20rocsparse_direction_NS_24const_host_device_scalarIT0_EES1_PKS1_PKT1_SA_S7_PKT3_PKT4_S5_PT5_21rocsparse_index_base_b
		.amdhsa_group_segment_fixed_size 5408
		.amdhsa_private_segment_fixed_size 0
		.amdhsa_kernarg_size 96
		.amdhsa_user_sgpr_count 15
		.amdhsa_user_sgpr_dispatch_ptr 0
		.amdhsa_user_sgpr_queue_ptr 0
		.amdhsa_user_sgpr_kernarg_segment_ptr 1
		.amdhsa_user_sgpr_dispatch_id 0
		.amdhsa_user_sgpr_private_segment_size 0
		.amdhsa_wavefront_size32 1
		.amdhsa_uses_dynamic_stack 0
		.amdhsa_enable_private_segment 0
		.amdhsa_system_sgpr_workgroup_id_x 1
		.amdhsa_system_sgpr_workgroup_id_y 0
		.amdhsa_system_sgpr_workgroup_id_z 0
		.amdhsa_system_sgpr_workgroup_info 0
		.amdhsa_system_vgpr_workitem_id 0
		.amdhsa_next_free_vgpr 16
		.amdhsa_next_free_sgpr 16
		.amdhsa_reserve_vcc 1
		.amdhsa_float_round_mode_32 0
		.amdhsa_float_round_mode_16_64 0
		.amdhsa_float_denorm_mode_32 3
		.amdhsa_float_denorm_mode_16_64 3
		.amdhsa_dx10_clamp 1
		.amdhsa_ieee_mode 1
		.amdhsa_fp16_overflow 0
		.amdhsa_workgroup_processor_mode 1
		.amdhsa_memory_ordered 1
		.amdhsa_forward_progress 0
		.amdhsa_shared_vgpr_count 0
		.amdhsa_exception_fp_ieee_invalid_op 0
		.amdhsa_exception_fp_denorm_src 0
		.amdhsa_exception_fp_ieee_div_zero 0
		.amdhsa_exception_fp_ieee_overflow 0
		.amdhsa_exception_fp_ieee_underflow 0
		.amdhsa_exception_fp_ieee_inexact 0
		.amdhsa_exception_int_div_zero 0
	.end_amdhsa_kernel
	.section	.text._ZN9rocsparseL20bsrxmvn_17_32_kernelILj26EdiifddEEvT2_20rocsparse_direction_NS_24const_host_device_scalarIT0_EES1_PKS1_PKT1_SA_S7_PKT3_PKT4_S5_PT5_21rocsparse_index_base_b,"axG",@progbits,_ZN9rocsparseL20bsrxmvn_17_32_kernelILj26EdiifddEEvT2_20rocsparse_direction_NS_24const_host_device_scalarIT0_EES1_PKS1_PKT1_SA_S7_PKT3_PKT4_S5_PT5_21rocsparse_index_base_b,comdat
.Lfunc_end489:
	.size	_ZN9rocsparseL20bsrxmvn_17_32_kernelILj26EdiifddEEvT2_20rocsparse_direction_NS_24const_host_device_scalarIT0_EES1_PKS1_PKT1_SA_S7_PKT3_PKT4_S5_PT5_21rocsparse_index_base_b, .Lfunc_end489-_ZN9rocsparseL20bsrxmvn_17_32_kernelILj26EdiifddEEvT2_20rocsparse_direction_NS_24const_host_device_scalarIT0_EES1_PKS1_PKT1_SA_S7_PKT3_PKT4_S5_PT5_21rocsparse_index_base_b
                                        ; -- End function
	.section	.AMDGPU.csdata,"",@progbits
; Kernel info:
; codeLenInByte = 1632
; NumSgprs: 18
; NumVgprs: 16
; ScratchSize: 0
; MemoryBound: 0
; FloatMode: 240
; IeeeMode: 1
; LDSByteSize: 5408 bytes/workgroup (compile time only)
; SGPRBlocks: 2
; VGPRBlocks: 1
; NumSGPRsForWavesPerEU: 18
; NumVGPRsForWavesPerEU: 16
; Occupancy: 11
; WaveLimiterHint : 1
; COMPUTE_PGM_RSRC2:SCRATCH_EN: 0
; COMPUTE_PGM_RSRC2:USER_SGPR: 15
; COMPUTE_PGM_RSRC2:TRAP_HANDLER: 0
; COMPUTE_PGM_RSRC2:TGID_X_EN: 1
; COMPUTE_PGM_RSRC2:TGID_Y_EN: 0
; COMPUTE_PGM_RSRC2:TGID_Z_EN: 0
; COMPUTE_PGM_RSRC2:TIDIG_COMP_CNT: 0
	.section	.text._ZN9rocsparseL20bsrxmvn_17_32_kernelILj27EdiifddEEvT2_20rocsparse_direction_NS_24const_host_device_scalarIT0_EES1_PKS1_PKT1_SA_S7_PKT3_PKT4_S5_PT5_21rocsparse_index_base_b,"axG",@progbits,_ZN9rocsparseL20bsrxmvn_17_32_kernelILj27EdiifddEEvT2_20rocsparse_direction_NS_24const_host_device_scalarIT0_EES1_PKS1_PKT1_SA_S7_PKT3_PKT4_S5_PT5_21rocsparse_index_base_b,comdat
	.globl	_ZN9rocsparseL20bsrxmvn_17_32_kernelILj27EdiifddEEvT2_20rocsparse_direction_NS_24const_host_device_scalarIT0_EES1_PKS1_PKT1_SA_S7_PKT3_PKT4_S5_PT5_21rocsparse_index_base_b ; -- Begin function _ZN9rocsparseL20bsrxmvn_17_32_kernelILj27EdiifddEEvT2_20rocsparse_direction_NS_24const_host_device_scalarIT0_EES1_PKS1_PKT1_SA_S7_PKT3_PKT4_S5_PT5_21rocsparse_index_base_b
	.p2align	8
	.type	_ZN9rocsparseL20bsrxmvn_17_32_kernelILj27EdiifddEEvT2_20rocsparse_direction_NS_24const_host_device_scalarIT0_EES1_PKS1_PKT1_SA_S7_PKT3_PKT4_S5_PT5_21rocsparse_index_base_b,@function
_ZN9rocsparseL20bsrxmvn_17_32_kernelILj27EdiifddEEvT2_20rocsparse_direction_NS_24const_host_device_scalarIT0_EES1_PKS1_PKT1_SA_S7_PKT3_PKT4_S5_PT5_21rocsparse_index_base_b: ; @_ZN9rocsparseL20bsrxmvn_17_32_kernelILj27EdiifddEEvT2_20rocsparse_direction_NS_24const_host_device_scalarIT0_EES1_PKS1_PKT1_SA_S7_PKT3_PKT4_S5_PT5_21rocsparse_index_base_b
; %bb.0:
	s_clause 0x2
	s_load_b64 s[10:11], s[0:1], 0x58
	s_load_b64 s[4:5], s[0:1], 0x8
	;; [unrolled: 1-line block ×3, first 2 shown]
	s_mov_b32 s8, s15
	s_waitcnt lgkmcnt(0)
	s_bitcmp1_b32 s11, 0
	v_dual_mov_b32 v3, s4 :: v_dual_mov_b32 v4, s5
	s_cselect_b32 s6, -1, 0
	s_delay_alu instid0(SALU_CYCLE_1)
	s_and_b32 vcc_lo, exec_lo, s6
	s_xor_b32 s6, s6, -1
	s_cbranch_vccnz .LBB490_2
; %bb.1:
	v_dual_mov_b32 v1, s4 :: v_dual_mov_b32 v2, s5
	flat_load_b64 v[3:4], v[1:2]
.LBB490_2:
	v_dual_mov_b32 v1, s2 :: v_dual_mov_b32 v2, s3
	s_and_not1_b32 vcc_lo, exec_lo, s6
	s_cbranch_vccnz .LBB490_4
; %bb.3:
	v_dual_mov_b32 v1, s2 :: v_dual_mov_b32 v2, s3
	flat_load_b64 v[1:2], v[1:2]
.LBB490_4:
	s_waitcnt vmcnt(0) lgkmcnt(0)
	v_cmp_neq_f64_e32 vcc_lo, 0, v[3:4]
	v_cmp_neq_f64_e64 s2, 1.0, v[1:2]
	s_delay_alu instid0(VALU_DEP_1) | instskip(NEXT) | instid1(SALU_CYCLE_1)
	s_or_b32 s2, vcc_lo, s2
	s_and_saveexec_b32 s3, s2
	s_cbranch_execz .LBB490_38
; %bb.5:
	s_clause 0x1
	s_load_b128 s[4:7], s[0:1], 0x18
	s_load_b64 s[2:3], s[0:1], 0x28
	s_waitcnt lgkmcnt(0)
	s_cmp_eq_u64 s[4:5], 0
	s_cbranch_scc1 .LBB490_7
; %bb.6:
	s_ashr_i32 s9, s8, 31
	s_delay_alu instid0(SALU_CYCLE_1) | instskip(NEXT) | instid1(SALU_CYCLE_1)
	s_lshl_b64 s[8:9], s[8:9], 2
	s_add_u32 s4, s4, s8
	s_addc_u32 s5, s5, s9
	s_load_b32 s4, s[4:5], 0x0
	s_waitcnt lgkmcnt(0)
	s_sub_i32 s8, s4, s10
.LBB490_7:
	s_load_b32 s4, s[0:1], 0x4
	v_mul_u32_u24_e32 v5, 0x97c, v0
	s_delay_alu instid0(VALU_DEP_1) | instskip(SKIP_2) | instid1(VALU_DEP_3)
	v_lshrrev_b32_e32 v7, 16, v5
	v_mov_b32_e32 v5, 0
	v_mov_b32_e32 v6, 0
	v_mul_lo_u16 v8, v7, 27
	s_delay_alu instid0(VALU_DEP_1)
	v_sub_nc_u16 v12, v0, v8
	s_waitcnt lgkmcnt(0)
	s_cmp_eq_u32 s4, 1
	s_cselect_b32 vcc_lo, -1, 0
	s_cmp_lg_u32 s4, 1
	s_cselect_b32 s11, -1, 0
	s_ashr_i32 s9, s8, 31
	s_delay_alu instid0(SALU_CYCLE_1) | instskip(NEXT) | instid1(SALU_CYCLE_1)
	s_lshl_b64 s[4:5], s[8:9], 2
	s_add_u32 s6, s6, s4
	s_addc_u32 s7, s7, s5
	s_add_u32 s9, s6, 4
	s_addc_u32 s12, s7, 0
	;; [unrolled: 2-line block ×3, first 2 shown]
	s_cmp_eq_u64 s[2:3], 0
	s_cselect_b32 s3, s12, s5
	s_cselect_b32 s2, s9, s4
	s_load_b32 s9, s[6:7], 0x0
	s_load_b32 s14, s[2:3], 0x0
	s_load_b64 s[2:3], s[0:1], 0x50
	s_waitcnt lgkmcnt(0)
	s_cmp_ge_i32 s9, s14
	s_cbranch_scc1 .LBB490_12
; %bb.8:
	s_clause 0x1
	s_load_b128 s[4:7], s[0:1], 0x30
	s_load_b64 s[12:13], s[0:1], 0x40
	v_and_b32_e32 v5, 0xffff, v7
	v_cmp_gt_u32_e64 s0, 0x2d9, v0
	v_and_b32_e32 v7, 0xffff, v12
	s_sub_i32 s9, s9, s10
	v_lshlrev_b32_e32 v9, 2, v0
	v_subrev_nc_u32_e32 v6, 27, v5
	s_sub_i32 s1, s14, s10
	s_mul_i32 s14, s9, 0xb64
	s_delay_alu instid0(VALU_DEP_1) | instskip(SKIP_3) | instid1(VALU_DEP_3)
	v_cndmask_b32_e64 v8, v6, v5, s0
	v_mov_b32_e32 v5, 0
	v_mov_b32_e32 v6, 0
	s_mul_hi_i32 s0, s9, 0xb64
	v_cndmask_b32_e32 v7, v7, v8, vcc_lo
	v_cmp_lt_u32_e32 vcc_lo, 0x2d8, v0
	s_waitcnt lgkmcnt(0)
	s_add_u32 s6, s6, s14
	s_addc_u32 s0, s7, s0
	v_add_co_u32 v8, s6, s6, v9
	s_delay_alu instid0(VALU_DEP_1)
	v_add_co_ci_u32_e64 v9, null, s0, 0, s6
	v_cndmask_b32_e64 v13, 0, 1, vcc_lo
	s_set_inst_prefetch_distance 0x1
	s_branch .LBB490_10
	.p2align	6
.LBB490_9:                              ;   in Loop: Header=BB490_10 Depth=1
	s_or_b32 exec_lo, exec_lo, s0
	s_add_i32 s9, s9, 1
	s_delay_alu instid0(SALU_CYCLE_1)
	s_cmp_lt_i32 s9, s1
	s_cbranch_scc0 .LBB490_12
.LBB490_10:                             ; =>This Inner Loop Header: Depth=1
	s_delay_alu instid0(VALU_DEP_1) | instskip(SKIP_1) | instid1(VALU_DEP_1)
	v_add_nc_u32_e32 v10, s9, v13
	s_mov_b32 s0, exec_lo
	v_cmpx_gt_i32_e64 s1, v10
	s_cbranch_execz .LBB490_9
; %bb.11:                               ;   in Loop: Header=BB490_10 Depth=1
	v_ashrrev_i32_e32 v11, 31, v10
	s_delay_alu instid0(VALU_DEP_1) | instskip(NEXT) | instid1(VALU_DEP_1)
	v_lshlrev_b64 v[10:11], 2, v[10:11]
	v_add_co_u32 v10, vcc_lo, s4, v10
	s_delay_alu instid0(VALU_DEP_2) | instskip(SKIP_4) | instid1(VALU_DEP_1)
	v_add_co_ci_u32_e32 v11, vcc_lo, s5, v11, vcc_lo
	global_load_b32 v10, v[10:11], off
	global_load_b32 v14, v[8:9], off
	s_waitcnt vmcnt(1)
	v_subrev_nc_u32_e32 v15, s10, v10
	v_mad_u64_u32 v[10:11], null, v15, 27, v[7:8]
	s_waitcnt vmcnt(0)
	v_cvt_f64_f32_e32 v[14:15], v14
	s_delay_alu instid0(VALU_DEP_2) | instskip(NEXT) | instid1(VALU_DEP_1)
	v_ashrrev_i32_e32 v11, 31, v10
	v_lshlrev_b64 v[10:11], 3, v[10:11]
	s_delay_alu instid0(VALU_DEP_1) | instskip(NEXT) | instid1(VALU_DEP_2)
	v_add_co_u32 v10, vcc_lo, s12, v10
	v_add_co_ci_u32_e32 v11, vcc_lo, s13, v11, vcc_lo
	v_add_co_u32 v8, vcc_lo, 0xb64, v8
	v_add_co_ci_u32_e32 v9, vcc_lo, 0, v9, vcc_lo
	global_load_b64 v[10:11], v[10:11], off
	s_waitcnt vmcnt(0)
	v_fma_f64 v[5:6], v[14:15], v[10:11], v[5:6]
	s_branch .LBB490_9
.LBB490_12:
	s_set_inst_prefetch_distance 0x2
	v_lshlrev_b32_e32 v7, 3, v0
	s_and_b32 vcc_lo, exec_lo, s11
	ds_store_b64 v7, v[5:6]
	s_waitcnt lgkmcnt(0)
	s_barrier
	buffer_gl0_inv
	s_cbranch_vccz .LBB490_24
; %bb.13:
	s_mov_b32 s0, exec_lo
	v_cmpx_gt_u16_e32 11, v12
	s_cbranch_execz .LBB490_15
; %bb.14:
	ds_load_2addr_b64 v[8:11], v7 offset1:16
	s_waitcnt lgkmcnt(0)
	v_add_f64 v[8:9], v[10:11], v[8:9]
	ds_store_b64 v7, v[8:9]
.LBB490_15:
	s_or_b32 exec_lo, exec_lo, s0
	s_delay_alu instid0(SALU_CYCLE_1)
	s_mov_b32 s0, exec_lo
	s_waitcnt lgkmcnt(0)
	s_barrier
	buffer_gl0_inv
	v_cmpx_gt_u16_e32 8, v12
	s_cbranch_execz .LBB490_17
; %bb.16:
	ds_load_2addr_b64 v[8:11], v7 offset1:8
	s_waitcnt lgkmcnt(0)
	v_add_f64 v[8:9], v[10:11], v[8:9]
	ds_store_b64 v7, v[8:9]
.LBB490_17:
	s_or_b32 exec_lo, exec_lo, s0
	s_delay_alu instid0(SALU_CYCLE_1)
	s_mov_b32 s0, exec_lo
	s_waitcnt lgkmcnt(0)
	s_barrier
	buffer_gl0_inv
	;; [unrolled: 14-line block ×3, first 2 shown]
	v_cmpx_gt_u16_e32 2, v12
	s_cbranch_execz .LBB490_21
; %bb.20:
	ds_load_2addr_b64 v[8:11], v7 offset1:2
	s_waitcnt lgkmcnt(0)
	v_add_f64 v[8:9], v[10:11], v[8:9]
	ds_store_b64 v7, v[8:9]
.LBB490_21:
	s_or_b32 exec_lo, exec_lo, s0
	s_mov_b32 s1, 0
	s_mov_b32 s0, 0
	s_mov_b32 s4, exec_lo
	s_waitcnt lgkmcnt(0)
	s_barrier
	buffer_gl0_inv
                                        ; implicit-def: $vgpr8
                                        ; implicit-def: $vgpr9
	v_cmpx_gt_u32_e32 27, v0
	s_xor_b32 s4, exec_lo, s4
; %bb.22:
	v_mad_u32_u24 v8, v0, 27, 1
	v_mad_u32_u24 v9, 0xd0, v0, v7
	s_mov_b32 s0, exec_lo
; %bb.23:
	s_or_b32 exec_lo, exec_lo, s4
	s_delay_alu instid0(SALU_CYCLE_1)
	s_and_b32 vcc_lo, exec_lo, s1
	s_cbranch_vccnz .LBB490_25
	s_branch .LBB490_36
.LBB490_24:
	s_mov_b32 s0, 0
                                        ; implicit-def: $vgpr8
                                        ; implicit-def: $vgpr9
	s_cbranch_execz .LBB490_36
.LBB490_25:
	s_mov_b32 s1, exec_lo
	v_cmpx_gt_u32_e32 0x129, v0
	s_cbranch_execz .LBB490_27
; %bb.26:
	ds_load_b64 v[8:9], v7 offset:3456
	ds_load_b64 v[10:11], v7
	s_waitcnt lgkmcnt(0)
	v_add_f64 v[8:9], v[8:9], v[10:11]
	ds_store_b64 v7, v[8:9]
.LBB490_27:
	s_or_b32 exec_lo, exec_lo, s1
	s_delay_alu instid0(SALU_CYCLE_1)
	s_mov_b32 s1, exec_lo
	s_waitcnt lgkmcnt(0)
	s_barrier
	buffer_gl0_inv
	v_cmpx_gt_u32_e32 0xd8, v0
	s_cbranch_execz .LBB490_29
; %bb.28:
	ds_load_2addr_b64 v[8:11], v7 offset1:216
	s_waitcnt lgkmcnt(0)
	v_add_f64 v[8:9], v[10:11], v[8:9]
	ds_store_b64 v7, v[8:9]
.LBB490_29:
	s_or_b32 exec_lo, exec_lo, s1
	s_delay_alu instid0(SALU_CYCLE_1)
	s_mov_b32 s1, exec_lo
	s_waitcnt lgkmcnt(0)
	s_barrier
	buffer_gl0_inv
	v_cmpx_gt_u32_e32 0x6c, v0
	s_cbranch_execz .LBB490_31
; %bb.30:
	ds_load_2addr_b64 v[8:11], v7 offset1:108
	s_waitcnt lgkmcnt(0)
	v_add_f64 v[8:9], v[10:11], v[8:9]
	ds_store_b64 v7, v[8:9]
.LBB490_31:
	;; [unrolled: 14-line block ×3, first 2 shown]
	s_or_b32 exec_lo, exec_lo, s1
	s_delay_alu instid0(SALU_CYCLE_1)
	s_mov_b32 s1, exec_lo
	s_waitcnt lgkmcnt(0)
	buffer_gl0_inv
                                        ; implicit-def: $vgpr8
	v_cmpx_gt_u32_e32 27, v0
; %bb.34:
	v_add_nc_u32_e32 v8, 27, v0
	s_or_b32 s0, s0, exec_lo
                                        ; implicit-def: $vgpr5_vgpr6
; %bb.35:
	s_or_b32 exec_lo, exec_lo, s1
	v_mov_b32_e32 v9, v7
.LBB490_36:
	s_and_saveexec_b32 s1, s0
	s_cbranch_execnz .LBB490_39
; %bb.37:
	s_or_b32 exec_lo, exec_lo, s1
	v_cmp_gt_u32_e32 vcc_lo, 27, v0
	s_and_b32 exec_lo, exec_lo, vcc_lo
	s_cbranch_execnz .LBB490_40
.LBB490_38:
	s_nop 0
	s_sendmsg sendmsg(MSG_DEALLOC_VGPRS)
	s_endpgm
.LBB490_39:
	v_lshlrev_b32_e32 v7, 3, v8
	ds_load_b64 v[5:6], v9
	ds_load_b64 v[7:8], v7
	s_waitcnt lgkmcnt(0)
	v_add_f64 v[5:6], v[5:6], v[7:8]
	s_or_b32 exec_lo, exec_lo, s1
	v_cmp_gt_u32_e32 vcc_lo, 27, v0
	s_and_b32 exec_lo, exec_lo, vcc_lo
	s_cbranch_execz .LBB490_38
.LBB490_40:
	s_delay_alu instid0(VALU_DEP_2)
	v_mul_f64 v[3:4], v[3:4], v[5:6]
	s_mov_b32 s0, exec_lo
	v_cmpx_eq_f64_e32 0, v[1:2]
	s_xor_b32 s0, exec_lo, s0
	s_cbranch_execz .LBB490_42
; %bb.41:
	v_mad_u64_u32 v[1:2], null, s8, 27, v[0:1]
	v_mov_b32_e32 v2, 0
	s_delay_alu instid0(VALU_DEP_1) | instskip(NEXT) | instid1(VALU_DEP_1)
	v_lshlrev_b64 v[0:1], 3, v[1:2]
	v_add_co_u32 v0, vcc_lo, s2, v0
	s_delay_alu instid0(VALU_DEP_2)
	v_add_co_ci_u32_e32 v1, vcc_lo, s3, v1, vcc_lo
	global_store_b64 v[0:1], v[3:4], off
                                        ; implicit-def: $vgpr0
                                        ; implicit-def: $vgpr1_vgpr2
                                        ; implicit-def: $vgpr3_vgpr4
.LBB490_42:
	s_and_not1_saveexec_b32 s0, s0
	s_cbranch_execz .LBB490_38
; %bb.43:
	v_mad_u64_u32 v[5:6], null, s8, 27, v[0:1]
	v_mov_b32_e32 v6, 0
	s_delay_alu instid0(VALU_DEP_1) | instskip(NEXT) | instid1(VALU_DEP_1)
	v_lshlrev_b64 v[5:6], 3, v[5:6]
	v_add_co_u32 v5, vcc_lo, s2, v5
	s_delay_alu instid0(VALU_DEP_2)
	v_add_co_ci_u32_e32 v6, vcc_lo, s3, v6, vcc_lo
	global_load_b64 v[7:8], v[5:6], off
	s_waitcnt vmcnt(0)
	v_fma_f64 v[0:1], v[1:2], v[7:8], v[3:4]
	global_store_b64 v[5:6], v[0:1], off
	s_nop 0
	s_sendmsg sendmsg(MSG_DEALLOC_VGPRS)
	s_endpgm
	.section	.rodata,"a",@progbits
	.p2align	6, 0x0
	.amdhsa_kernel _ZN9rocsparseL20bsrxmvn_17_32_kernelILj27EdiifddEEvT2_20rocsparse_direction_NS_24const_host_device_scalarIT0_EES1_PKS1_PKT1_SA_S7_PKT3_PKT4_S5_PT5_21rocsparse_index_base_b
		.amdhsa_group_segment_fixed_size 5832
		.amdhsa_private_segment_fixed_size 0
		.amdhsa_kernarg_size 96
		.amdhsa_user_sgpr_count 15
		.amdhsa_user_sgpr_dispatch_ptr 0
		.amdhsa_user_sgpr_queue_ptr 0
		.amdhsa_user_sgpr_kernarg_segment_ptr 1
		.amdhsa_user_sgpr_dispatch_id 0
		.amdhsa_user_sgpr_private_segment_size 0
		.amdhsa_wavefront_size32 1
		.amdhsa_uses_dynamic_stack 0
		.amdhsa_enable_private_segment 0
		.amdhsa_system_sgpr_workgroup_id_x 1
		.amdhsa_system_sgpr_workgroup_id_y 0
		.amdhsa_system_sgpr_workgroup_id_z 0
		.amdhsa_system_sgpr_workgroup_info 0
		.amdhsa_system_vgpr_workitem_id 0
		.amdhsa_next_free_vgpr 16
		.amdhsa_next_free_sgpr 16
		.amdhsa_reserve_vcc 1
		.amdhsa_float_round_mode_32 0
		.amdhsa_float_round_mode_16_64 0
		.amdhsa_float_denorm_mode_32 3
		.amdhsa_float_denorm_mode_16_64 3
		.amdhsa_dx10_clamp 1
		.amdhsa_ieee_mode 1
		.amdhsa_fp16_overflow 0
		.amdhsa_workgroup_processor_mode 1
		.amdhsa_memory_ordered 1
		.amdhsa_forward_progress 0
		.amdhsa_shared_vgpr_count 0
		.amdhsa_exception_fp_ieee_invalid_op 0
		.amdhsa_exception_fp_denorm_src 0
		.amdhsa_exception_fp_ieee_div_zero 0
		.amdhsa_exception_fp_ieee_overflow 0
		.amdhsa_exception_fp_ieee_underflow 0
		.amdhsa_exception_fp_ieee_inexact 0
		.amdhsa_exception_int_div_zero 0
	.end_amdhsa_kernel
	.section	.text._ZN9rocsparseL20bsrxmvn_17_32_kernelILj27EdiifddEEvT2_20rocsparse_direction_NS_24const_host_device_scalarIT0_EES1_PKS1_PKT1_SA_S7_PKT3_PKT4_S5_PT5_21rocsparse_index_base_b,"axG",@progbits,_ZN9rocsparseL20bsrxmvn_17_32_kernelILj27EdiifddEEvT2_20rocsparse_direction_NS_24const_host_device_scalarIT0_EES1_PKS1_PKT1_SA_S7_PKT3_PKT4_S5_PT5_21rocsparse_index_base_b,comdat
.Lfunc_end490:
	.size	_ZN9rocsparseL20bsrxmvn_17_32_kernelILj27EdiifddEEvT2_20rocsparse_direction_NS_24const_host_device_scalarIT0_EES1_PKS1_PKT1_SA_S7_PKT3_PKT4_S5_PT5_21rocsparse_index_base_b, .Lfunc_end490-_ZN9rocsparseL20bsrxmvn_17_32_kernelILj27EdiifddEEvT2_20rocsparse_direction_NS_24const_host_device_scalarIT0_EES1_PKS1_PKT1_SA_S7_PKT3_PKT4_S5_PT5_21rocsparse_index_base_b
                                        ; -- End function
	.section	.AMDGPU.csdata,"",@progbits
; Kernel info:
; codeLenInByte = 1628
; NumSgprs: 18
; NumVgprs: 16
; ScratchSize: 0
; MemoryBound: 0
; FloatMode: 240
; IeeeMode: 1
; LDSByteSize: 5832 bytes/workgroup (compile time only)
; SGPRBlocks: 2
; VGPRBlocks: 1
; NumSGPRsForWavesPerEU: 18
; NumVGPRsForWavesPerEU: 16
; Occupancy: 12
; WaveLimiterHint : 1
; COMPUTE_PGM_RSRC2:SCRATCH_EN: 0
; COMPUTE_PGM_RSRC2:USER_SGPR: 15
; COMPUTE_PGM_RSRC2:TRAP_HANDLER: 0
; COMPUTE_PGM_RSRC2:TGID_X_EN: 1
; COMPUTE_PGM_RSRC2:TGID_Y_EN: 0
; COMPUTE_PGM_RSRC2:TGID_Z_EN: 0
; COMPUTE_PGM_RSRC2:TIDIG_COMP_CNT: 0
	.section	.text._ZN9rocsparseL20bsrxmvn_17_32_kernelILj28EdiifddEEvT2_20rocsparse_direction_NS_24const_host_device_scalarIT0_EES1_PKS1_PKT1_SA_S7_PKT3_PKT4_S5_PT5_21rocsparse_index_base_b,"axG",@progbits,_ZN9rocsparseL20bsrxmvn_17_32_kernelILj28EdiifddEEvT2_20rocsparse_direction_NS_24const_host_device_scalarIT0_EES1_PKS1_PKT1_SA_S7_PKT3_PKT4_S5_PT5_21rocsparse_index_base_b,comdat
	.globl	_ZN9rocsparseL20bsrxmvn_17_32_kernelILj28EdiifddEEvT2_20rocsparse_direction_NS_24const_host_device_scalarIT0_EES1_PKS1_PKT1_SA_S7_PKT3_PKT4_S5_PT5_21rocsparse_index_base_b ; -- Begin function _ZN9rocsparseL20bsrxmvn_17_32_kernelILj28EdiifddEEvT2_20rocsparse_direction_NS_24const_host_device_scalarIT0_EES1_PKS1_PKT1_SA_S7_PKT3_PKT4_S5_PT5_21rocsparse_index_base_b
	.p2align	8
	.type	_ZN9rocsparseL20bsrxmvn_17_32_kernelILj28EdiifddEEvT2_20rocsparse_direction_NS_24const_host_device_scalarIT0_EES1_PKS1_PKT1_SA_S7_PKT3_PKT4_S5_PT5_21rocsparse_index_base_b,@function
_ZN9rocsparseL20bsrxmvn_17_32_kernelILj28EdiifddEEvT2_20rocsparse_direction_NS_24const_host_device_scalarIT0_EES1_PKS1_PKT1_SA_S7_PKT3_PKT4_S5_PT5_21rocsparse_index_base_b: ; @_ZN9rocsparseL20bsrxmvn_17_32_kernelILj28EdiifddEEvT2_20rocsparse_direction_NS_24const_host_device_scalarIT0_EES1_PKS1_PKT1_SA_S7_PKT3_PKT4_S5_PT5_21rocsparse_index_base_b
; %bb.0:
	s_clause 0x2
	s_load_b64 s[10:11], s[0:1], 0x58
	s_load_b64 s[4:5], s[0:1], 0x8
	;; [unrolled: 1-line block ×3, first 2 shown]
	s_mov_b32 s8, s15
	s_waitcnt lgkmcnt(0)
	s_bitcmp1_b32 s11, 0
	v_dual_mov_b32 v3, s4 :: v_dual_mov_b32 v4, s5
	s_cselect_b32 s6, -1, 0
	s_delay_alu instid0(SALU_CYCLE_1)
	s_and_b32 vcc_lo, exec_lo, s6
	s_xor_b32 s6, s6, -1
	s_cbranch_vccnz .LBB491_2
; %bb.1:
	v_dual_mov_b32 v1, s4 :: v_dual_mov_b32 v2, s5
	flat_load_b64 v[3:4], v[1:2]
.LBB491_2:
	v_dual_mov_b32 v1, s2 :: v_dual_mov_b32 v2, s3
	s_and_not1_b32 vcc_lo, exec_lo, s6
	s_cbranch_vccnz .LBB491_4
; %bb.3:
	v_dual_mov_b32 v1, s2 :: v_dual_mov_b32 v2, s3
	flat_load_b64 v[1:2], v[1:2]
.LBB491_4:
	s_waitcnt vmcnt(0) lgkmcnt(0)
	v_cmp_neq_f64_e32 vcc_lo, 0, v[3:4]
	v_cmp_neq_f64_e64 s2, 1.0, v[1:2]
	s_delay_alu instid0(VALU_DEP_1) | instskip(NEXT) | instid1(SALU_CYCLE_1)
	s_or_b32 s2, vcc_lo, s2
	s_and_saveexec_b32 s3, s2
	s_cbranch_execz .LBB491_38
; %bb.5:
	s_clause 0x1
	s_load_b128 s[4:7], s[0:1], 0x18
	s_load_b64 s[2:3], s[0:1], 0x28
	s_waitcnt lgkmcnt(0)
	s_cmp_eq_u64 s[4:5], 0
	s_cbranch_scc1 .LBB491_7
; %bb.6:
	s_ashr_i32 s9, s8, 31
	s_delay_alu instid0(SALU_CYCLE_1) | instskip(NEXT) | instid1(SALU_CYCLE_1)
	s_lshl_b64 s[8:9], s[8:9], 2
	s_add_u32 s4, s4, s8
	s_addc_u32 s5, s5, s9
	s_load_b32 s4, s[4:5], 0x0
	s_waitcnt lgkmcnt(0)
	s_sub_i32 s8, s4, s10
.LBB491_7:
	s_load_b32 s4, s[0:1], 0x4
	v_mul_u32_u24_e32 v5, 0x925, v0
	s_delay_alu instid0(VALU_DEP_1) | instskip(SKIP_2) | instid1(VALU_DEP_3)
	v_lshrrev_b32_e32 v7, 16, v5
	v_mov_b32_e32 v5, 0
	v_mov_b32_e32 v6, 0
	v_mul_lo_u16 v8, v7, 28
	s_delay_alu instid0(VALU_DEP_1)
	v_sub_nc_u16 v12, v0, v8
	s_waitcnt lgkmcnt(0)
	s_cmp_eq_u32 s4, 1
	s_cselect_b32 vcc_lo, -1, 0
	s_cmp_lg_u32 s4, 1
	s_cselect_b32 s11, -1, 0
	s_ashr_i32 s9, s8, 31
	s_delay_alu instid0(SALU_CYCLE_1) | instskip(NEXT) | instid1(SALU_CYCLE_1)
	s_lshl_b64 s[4:5], s[8:9], 2
	s_add_u32 s6, s6, s4
	s_addc_u32 s7, s7, s5
	s_add_u32 s9, s6, 4
	s_addc_u32 s12, s7, 0
	;; [unrolled: 2-line block ×3, first 2 shown]
	s_cmp_eq_u64 s[2:3], 0
	s_cselect_b32 s3, s12, s5
	s_cselect_b32 s2, s9, s4
	s_load_b32 s9, s[6:7], 0x0
	s_load_b32 s14, s[2:3], 0x0
	s_load_b64 s[2:3], s[0:1], 0x50
	s_waitcnt lgkmcnt(0)
	s_cmp_ge_i32 s9, s14
	s_cbranch_scc1 .LBB491_12
; %bb.8:
	s_clause 0x1
	s_load_b128 s[4:7], s[0:1], 0x30
	s_load_b64 s[12:13], s[0:1], 0x40
	v_and_b32_e32 v5, 0xffff, v7
	v_cmp_gt_u32_e64 s0, 0x310, v0
	v_and_b32_e32 v7, 0xffff, v12
	s_sub_i32 s9, s9, s10
	v_lshlrev_b32_e32 v9, 2, v0
	v_subrev_nc_u32_e32 v6, 28, v5
	s_sub_i32 s1, s14, s10
	s_mul_i32 s14, s9, 0xc40
	s_delay_alu instid0(VALU_DEP_1) | instskip(SKIP_3) | instid1(VALU_DEP_3)
	v_cndmask_b32_e64 v8, v6, v5, s0
	v_mov_b32_e32 v5, 0
	v_mov_b32_e32 v6, 0
	s_mul_hi_i32 s0, s9, 0xc40
	v_cndmask_b32_e32 v7, v7, v8, vcc_lo
	v_cmp_lt_u32_e32 vcc_lo, 0x30f, v0
	s_waitcnt lgkmcnt(0)
	s_add_u32 s6, s6, s14
	s_addc_u32 s0, s7, s0
	v_add_co_u32 v8, s6, s6, v9
	s_delay_alu instid0(VALU_DEP_1)
	v_add_co_ci_u32_e64 v9, null, s0, 0, s6
	v_cndmask_b32_e64 v13, 0, 1, vcc_lo
	s_set_inst_prefetch_distance 0x1
	s_branch .LBB491_10
	.p2align	6
.LBB491_9:                              ;   in Loop: Header=BB491_10 Depth=1
	s_or_b32 exec_lo, exec_lo, s0
	s_add_i32 s9, s9, 1
	s_delay_alu instid0(SALU_CYCLE_1)
	s_cmp_lt_i32 s9, s1
	s_cbranch_scc0 .LBB491_12
.LBB491_10:                             ; =>This Inner Loop Header: Depth=1
	s_delay_alu instid0(VALU_DEP_1) | instskip(SKIP_1) | instid1(VALU_DEP_1)
	v_add_nc_u32_e32 v10, s9, v13
	s_mov_b32 s0, exec_lo
	v_cmpx_gt_i32_e64 s1, v10
	s_cbranch_execz .LBB491_9
; %bb.11:                               ;   in Loop: Header=BB491_10 Depth=1
	v_ashrrev_i32_e32 v11, 31, v10
	s_delay_alu instid0(VALU_DEP_1) | instskip(NEXT) | instid1(VALU_DEP_1)
	v_lshlrev_b64 v[10:11], 2, v[10:11]
	v_add_co_u32 v10, vcc_lo, s4, v10
	s_delay_alu instid0(VALU_DEP_2) | instskip(SKIP_4) | instid1(VALU_DEP_1)
	v_add_co_ci_u32_e32 v11, vcc_lo, s5, v11, vcc_lo
	global_load_b32 v10, v[10:11], off
	global_load_b32 v14, v[8:9], off
	s_waitcnt vmcnt(1)
	v_subrev_nc_u32_e32 v15, s10, v10
	v_mad_u64_u32 v[10:11], null, v15, 28, v[7:8]
	s_waitcnt vmcnt(0)
	v_cvt_f64_f32_e32 v[14:15], v14
	s_delay_alu instid0(VALU_DEP_2) | instskip(NEXT) | instid1(VALU_DEP_1)
	v_ashrrev_i32_e32 v11, 31, v10
	v_lshlrev_b64 v[10:11], 3, v[10:11]
	s_delay_alu instid0(VALU_DEP_1) | instskip(NEXT) | instid1(VALU_DEP_2)
	v_add_co_u32 v10, vcc_lo, s12, v10
	v_add_co_ci_u32_e32 v11, vcc_lo, s13, v11, vcc_lo
	v_add_co_u32 v8, vcc_lo, 0xc40, v8
	v_add_co_ci_u32_e32 v9, vcc_lo, 0, v9, vcc_lo
	global_load_b64 v[10:11], v[10:11], off
	s_waitcnt vmcnt(0)
	v_fma_f64 v[5:6], v[14:15], v[10:11], v[5:6]
	s_branch .LBB491_9
.LBB491_12:
	s_set_inst_prefetch_distance 0x2
	v_lshlrev_b32_e32 v7, 3, v0
	s_and_b32 vcc_lo, exec_lo, s11
	ds_store_b64 v7, v[5:6]
	s_waitcnt lgkmcnt(0)
	s_barrier
	buffer_gl0_inv
	s_cbranch_vccz .LBB491_24
; %bb.13:
	s_mov_b32 s0, exec_lo
	v_cmpx_gt_u16_e32 12, v12
	s_cbranch_execz .LBB491_15
; %bb.14:
	ds_load_2addr_b64 v[8:11], v7 offset1:16
	s_waitcnt lgkmcnt(0)
	v_add_f64 v[8:9], v[10:11], v[8:9]
	ds_store_b64 v7, v[8:9]
.LBB491_15:
	s_or_b32 exec_lo, exec_lo, s0
	s_delay_alu instid0(SALU_CYCLE_1)
	s_mov_b32 s0, exec_lo
	s_waitcnt lgkmcnt(0)
	s_barrier
	buffer_gl0_inv
	v_cmpx_gt_u16_e32 8, v12
	s_cbranch_execz .LBB491_17
; %bb.16:
	ds_load_2addr_b64 v[8:11], v7 offset1:8
	s_waitcnt lgkmcnt(0)
	v_add_f64 v[8:9], v[10:11], v[8:9]
	ds_store_b64 v7, v[8:9]
.LBB491_17:
	s_or_b32 exec_lo, exec_lo, s0
	s_delay_alu instid0(SALU_CYCLE_1)
	s_mov_b32 s0, exec_lo
	s_waitcnt lgkmcnt(0)
	s_barrier
	buffer_gl0_inv
	;; [unrolled: 14-line block ×3, first 2 shown]
	v_cmpx_gt_u16_e32 2, v12
	s_cbranch_execz .LBB491_21
; %bb.20:
	ds_load_2addr_b64 v[8:11], v7 offset1:2
	s_waitcnt lgkmcnt(0)
	v_add_f64 v[8:9], v[10:11], v[8:9]
	ds_store_b64 v7, v[8:9]
.LBB491_21:
	s_or_b32 exec_lo, exec_lo, s0
	s_mov_b32 s1, 0
	s_mov_b32 s0, 0
	s_mov_b32 s4, exec_lo
	s_waitcnt lgkmcnt(0)
	s_barrier
	buffer_gl0_inv
                                        ; implicit-def: $vgpr8
                                        ; implicit-def: $vgpr9
	v_cmpx_gt_u32_e32 28, v0
	s_xor_b32 s4, exec_lo, s4
; %bb.22:
	v_mul_u32_u24_e32 v8, 28, v0
	v_mad_u32_u24 v9, 0xd8, v0, v7
	s_mov_b32 s0, exec_lo
	s_delay_alu instid0(VALU_DEP_2)
	v_or_b32_e32 v8, 1, v8
; %bb.23:
	s_or_b32 exec_lo, exec_lo, s4
	s_delay_alu instid0(SALU_CYCLE_1)
	s_and_b32 vcc_lo, exec_lo, s1
	s_cbranch_vccnz .LBB491_25
	s_branch .LBB491_36
.LBB491_24:
	s_mov_b32 s0, 0
                                        ; implicit-def: $vgpr8
                                        ; implicit-def: $vgpr9
	s_cbranch_execz .LBB491_36
.LBB491_25:
	s_mov_b32 s1, exec_lo
	v_cmpx_gt_u32_e32 0x150, v0
	s_cbranch_execz .LBB491_27
; %bb.26:
	ds_load_2addr_stride64_b64 v[8:11], v7 offset1:7
	s_waitcnt lgkmcnt(0)
	v_add_f64 v[8:9], v[10:11], v[8:9]
	ds_store_b64 v7, v[8:9]
.LBB491_27:
	s_or_b32 exec_lo, exec_lo, s1
	s_delay_alu instid0(SALU_CYCLE_1)
	s_mov_b32 s1, exec_lo
	s_waitcnt lgkmcnt(0)
	s_barrier
	buffer_gl0_inv
	v_cmpx_gt_u32_e32 0xe0, v0
	s_cbranch_execz .LBB491_29
; %bb.28:
	ds_load_2addr_b64 v[8:11], v7 offset1:224
	s_waitcnt lgkmcnt(0)
	v_add_f64 v[8:9], v[10:11], v[8:9]
	ds_store_b64 v7, v[8:9]
.LBB491_29:
	s_or_b32 exec_lo, exec_lo, s1
	s_delay_alu instid0(SALU_CYCLE_1)
	s_mov_b32 s1, exec_lo
	s_waitcnt lgkmcnt(0)
	s_barrier
	buffer_gl0_inv
	v_cmpx_gt_u32_e32 0x70, v0
	s_cbranch_execz .LBB491_31
; %bb.30:
	ds_load_2addr_b64 v[8:11], v7 offset1:112
	s_waitcnt lgkmcnt(0)
	v_add_f64 v[8:9], v[10:11], v[8:9]
	ds_store_b64 v7, v[8:9]
.LBB491_31:
	s_or_b32 exec_lo, exec_lo, s1
	s_delay_alu instid0(SALU_CYCLE_1)
	s_mov_b32 s1, exec_lo
	s_waitcnt lgkmcnt(0)
	s_barrier
	buffer_gl0_inv
	v_cmpx_gt_u32_e32 56, v0
	s_cbranch_execz .LBB491_33
; %bb.32:
	ds_load_2addr_b64 v[8:11], v7 offset1:56
	s_waitcnt lgkmcnt(0)
	v_add_f64 v[8:9], v[10:11], v[8:9]
	ds_store_b64 v7, v[8:9]
.LBB491_33:
	s_or_b32 exec_lo, exec_lo, s1
	s_delay_alu instid0(SALU_CYCLE_1)
	s_mov_b32 s1, exec_lo
	s_waitcnt lgkmcnt(0)
	buffer_gl0_inv
                                        ; implicit-def: $vgpr8
	v_cmpx_gt_u32_e32 28, v0
; %bb.34:
	v_add_nc_u32_e32 v8, 28, v0
	s_or_b32 s0, s0, exec_lo
                                        ; implicit-def: $vgpr5_vgpr6
; %bb.35:
	s_or_b32 exec_lo, exec_lo, s1
	v_mov_b32_e32 v9, v7
.LBB491_36:
	s_and_saveexec_b32 s1, s0
	s_cbranch_execnz .LBB491_39
; %bb.37:
	s_or_b32 exec_lo, exec_lo, s1
	v_cmp_gt_u32_e32 vcc_lo, 28, v0
	s_and_b32 exec_lo, exec_lo, vcc_lo
	s_cbranch_execnz .LBB491_40
.LBB491_38:
	s_nop 0
	s_sendmsg sendmsg(MSG_DEALLOC_VGPRS)
	s_endpgm
.LBB491_39:
	v_lshlrev_b32_e32 v7, 3, v8
	ds_load_b64 v[5:6], v9
	ds_load_b64 v[7:8], v7
	s_waitcnt lgkmcnt(0)
	v_add_f64 v[5:6], v[5:6], v[7:8]
	s_or_b32 exec_lo, exec_lo, s1
	v_cmp_gt_u32_e32 vcc_lo, 28, v0
	s_and_b32 exec_lo, exec_lo, vcc_lo
	s_cbranch_execz .LBB491_38
.LBB491_40:
	s_delay_alu instid0(VALU_DEP_2)
	v_mul_f64 v[3:4], v[3:4], v[5:6]
	s_mov_b32 s0, exec_lo
	v_cmpx_eq_f64_e32 0, v[1:2]
	s_xor_b32 s0, exec_lo, s0
	s_cbranch_execz .LBB491_42
; %bb.41:
	v_mad_u64_u32 v[1:2], null, s8, 28, v[0:1]
	v_mov_b32_e32 v2, 0
	s_delay_alu instid0(VALU_DEP_1) | instskip(NEXT) | instid1(VALU_DEP_1)
	v_lshlrev_b64 v[0:1], 3, v[1:2]
	v_add_co_u32 v0, vcc_lo, s2, v0
	s_delay_alu instid0(VALU_DEP_2)
	v_add_co_ci_u32_e32 v1, vcc_lo, s3, v1, vcc_lo
	global_store_b64 v[0:1], v[3:4], off
                                        ; implicit-def: $vgpr0
                                        ; implicit-def: $vgpr1_vgpr2
                                        ; implicit-def: $vgpr3_vgpr4
.LBB491_42:
	s_and_not1_saveexec_b32 s0, s0
	s_cbranch_execz .LBB491_38
; %bb.43:
	v_mad_u64_u32 v[5:6], null, s8, 28, v[0:1]
	v_mov_b32_e32 v6, 0
	s_delay_alu instid0(VALU_DEP_1) | instskip(NEXT) | instid1(VALU_DEP_1)
	v_lshlrev_b64 v[5:6], 3, v[5:6]
	v_add_co_u32 v5, vcc_lo, s2, v5
	s_delay_alu instid0(VALU_DEP_2)
	v_add_co_ci_u32_e32 v6, vcc_lo, s3, v6, vcc_lo
	global_load_b64 v[7:8], v[5:6], off
	s_waitcnt vmcnt(0)
	v_fma_f64 v[0:1], v[1:2], v[7:8], v[3:4]
	global_store_b64 v[5:6], v[0:1], off
	s_nop 0
	s_sendmsg sendmsg(MSG_DEALLOC_VGPRS)
	s_endpgm
	.section	.rodata,"a",@progbits
	.p2align	6, 0x0
	.amdhsa_kernel _ZN9rocsparseL20bsrxmvn_17_32_kernelILj28EdiifddEEvT2_20rocsparse_direction_NS_24const_host_device_scalarIT0_EES1_PKS1_PKT1_SA_S7_PKT3_PKT4_S5_PT5_21rocsparse_index_base_b
		.amdhsa_group_segment_fixed_size 6272
		.amdhsa_private_segment_fixed_size 0
		.amdhsa_kernarg_size 96
		.amdhsa_user_sgpr_count 15
		.amdhsa_user_sgpr_dispatch_ptr 0
		.amdhsa_user_sgpr_queue_ptr 0
		.amdhsa_user_sgpr_kernarg_segment_ptr 1
		.amdhsa_user_sgpr_dispatch_id 0
		.amdhsa_user_sgpr_private_segment_size 0
		.amdhsa_wavefront_size32 1
		.amdhsa_uses_dynamic_stack 0
		.amdhsa_enable_private_segment 0
		.amdhsa_system_sgpr_workgroup_id_x 1
		.amdhsa_system_sgpr_workgroup_id_y 0
		.amdhsa_system_sgpr_workgroup_id_z 0
		.amdhsa_system_sgpr_workgroup_info 0
		.amdhsa_system_vgpr_workitem_id 0
		.amdhsa_next_free_vgpr 16
		.amdhsa_next_free_sgpr 16
		.amdhsa_reserve_vcc 1
		.amdhsa_float_round_mode_32 0
		.amdhsa_float_round_mode_16_64 0
		.amdhsa_float_denorm_mode_32 3
		.amdhsa_float_denorm_mode_16_64 3
		.amdhsa_dx10_clamp 1
		.amdhsa_ieee_mode 1
		.amdhsa_fp16_overflow 0
		.amdhsa_workgroup_processor_mode 1
		.amdhsa_memory_ordered 1
		.amdhsa_forward_progress 0
		.amdhsa_shared_vgpr_count 0
		.amdhsa_exception_fp_ieee_invalid_op 0
		.amdhsa_exception_fp_denorm_src 0
		.amdhsa_exception_fp_ieee_div_zero 0
		.amdhsa_exception_fp_ieee_overflow 0
		.amdhsa_exception_fp_ieee_underflow 0
		.amdhsa_exception_fp_ieee_inexact 0
		.amdhsa_exception_int_div_zero 0
	.end_amdhsa_kernel
	.section	.text._ZN9rocsparseL20bsrxmvn_17_32_kernelILj28EdiifddEEvT2_20rocsparse_direction_NS_24const_host_device_scalarIT0_EES1_PKS1_PKT1_SA_S7_PKT3_PKT4_S5_PT5_21rocsparse_index_base_b,"axG",@progbits,_ZN9rocsparseL20bsrxmvn_17_32_kernelILj28EdiifddEEvT2_20rocsparse_direction_NS_24const_host_device_scalarIT0_EES1_PKS1_PKT1_SA_S7_PKT3_PKT4_S5_PT5_21rocsparse_index_base_b,comdat
.Lfunc_end491:
	.size	_ZN9rocsparseL20bsrxmvn_17_32_kernelILj28EdiifddEEvT2_20rocsparse_direction_NS_24const_host_device_scalarIT0_EES1_PKS1_PKT1_SA_S7_PKT3_PKT4_S5_PT5_21rocsparse_index_base_b, .Lfunc_end491-_ZN9rocsparseL20bsrxmvn_17_32_kernelILj28EdiifddEEvT2_20rocsparse_direction_NS_24const_host_device_scalarIT0_EES1_PKS1_PKT1_SA_S7_PKT3_PKT4_S5_PT5_21rocsparse_index_base_b
                                        ; -- End function
	.section	.AMDGPU.csdata,"",@progbits
; Kernel info:
; codeLenInByte = 1624
; NumSgprs: 18
; NumVgprs: 16
; ScratchSize: 0
; MemoryBound: 0
; FloatMode: 240
; IeeeMode: 1
; LDSByteSize: 6272 bytes/workgroup (compile time only)
; SGPRBlocks: 2
; VGPRBlocks: 1
; NumSGPRsForWavesPerEU: 18
; NumVGPRsForWavesPerEU: 16
; Occupancy: 13
; WaveLimiterHint : 1
; COMPUTE_PGM_RSRC2:SCRATCH_EN: 0
; COMPUTE_PGM_RSRC2:USER_SGPR: 15
; COMPUTE_PGM_RSRC2:TRAP_HANDLER: 0
; COMPUTE_PGM_RSRC2:TGID_X_EN: 1
; COMPUTE_PGM_RSRC2:TGID_Y_EN: 0
; COMPUTE_PGM_RSRC2:TGID_Z_EN: 0
; COMPUTE_PGM_RSRC2:TIDIG_COMP_CNT: 0
	.section	.text._ZN9rocsparseL20bsrxmvn_17_32_kernelILj29EdiifddEEvT2_20rocsparse_direction_NS_24const_host_device_scalarIT0_EES1_PKS1_PKT1_SA_S7_PKT3_PKT4_S5_PT5_21rocsparse_index_base_b,"axG",@progbits,_ZN9rocsparseL20bsrxmvn_17_32_kernelILj29EdiifddEEvT2_20rocsparse_direction_NS_24const_host_device_scalarIT0_EES1_PKS1_PKT1_SA_S7_PKT3_PKT4_S5_PT5_21rocsparse_index_base_b,comdat
	.globl	_ZN9rocsparseL20bsrxmvn_17_32_kernelILj29EdiifddEEvT2_20rocsparse_direction_NS_24const_host_device_scalarIT0_EES1_PKS1_PKT1_SA_S7_PKT3_PKT4_S5_PT5_21rocsparse_index_base_b ; -- Begin function _ZN9rocsparseL20bsrxmvn_17_32_kernelILj29EdiifddEEvT2_20rocsparse_direction_NS_24const_host_device_scalarIT0_EES1_PKS1_PKT1_SA_S7_PKT3_PKT4_S5_PT5_21rocsparse_index_base_b
	.p2align	8
	.type	_ZN9rocsparseL20bsrxmvn_17_32_kernelILj29EdiifddEEvT2_20rocsparse_direction_NS_24const_host_device_scalarIT0_EES1_PKS1_PKT1_SA_S7_PKT3_PKT4_S5_PT5_21rocsparse_index_base_b,@function
_ZN9rocsparseL20bsrxmvn_17_32_kernelILj29EdiifddEEvT2_20rocsparse_direction_NS_24const_host_device_scalarIT0_EES1_PKS1_PKT1_SA_S7_PKT3_PKT4_S5_PT5_21rocsparse_index_base_b: ; @_ZN9rocsparseL20bsrxmvn_17_32_kernelILj29EdiifddEEvT2_20rocsparse_direction_NS_24const_host_device_scalarIT0_EES1_PKS1_PKT1_SA_S7_PKT3_PKT4_S5_PT5_21rocsparse_index_base_b
; %bb.0:
	s_clause 0x2
	s_load_b64 s[10:11], s[0:1], 0x58
	s_load_b64 s[4:5], s[0:1], 0x8
	;; [unrolled: 1-line block ×3, first 2 shown]
	s_mov_b32 s8, s15
	s_waitcnt lgkmcnt(0)
	s_bitcmp1_b32 s11, 0
	v_dual_mov_b32 v3, s4 :: v_dual_mov_b32 v4, s5
	s_cselect_b32 s6, -1, 0
	s_delay_alu instid0(SALU_CYCLE_1)
	s_and_b32 vcc_lo, exec_lo, s6
	s_xor_b32 s6, s6, -1
	s_cbranch_vccnz .LBB492_2
; %bb.1:
	v_dual_mov_b32 v1, s4 :: v_dual_mov_b32 v2, s5
	flat_load_b64 v[3:4], v[1:2]
.LBB492_2:
	v_dual_mov_b32 v1, s2 :: v_dual_mov_b32 v2, s3
	s_and_not1_b32 vcc_lo, exec_lo, s6
	s_cbranch_vccnz .LBB492_4
; %bb.3:
	v_dual_mov_b32 v1, s2 :: v_dual_mov_b32 v2, s3
	flat_load_b64 v[1:2], v[1:2]
.LBB492_4:
	s_waitcnt vmcnt(0) lgkmcnt(0)
	v_cmp_neq_f64_e32 vcc_lo, 0, v[3:4]
	v_cmp_neq_f64_e64 s2, 1.0, v[1:2]
	s_delay_alu instid0(VALU_DEP_1) | instskip(NEXT) | instid1(SALU_CYCLE_1)
	s_or_b32 s2, vcc_lo, s2
	s_and_saveexec_b32 s3, s2
	s_cbranch_execz .LBB492_38
; %bb.5:
	s_clause 0x1
	s_load_b128 s[4:7], s[0:1], 0x18
	s_load_b64 s[2:3], s[0:1], 0x28
	s_waitcnt lgkmcnt(0)
	s_cmp_eq_u64 s[4:5], 0
	s_cbranch_scc1 .LBB492_7
; %bb.6:
	s_ashr_i32 s9, s8, 31
	s_delay_alu instid0(SALU_CYCLE_1) | instskip(NEXT) | instid1(SALU_CYCLE_1)
	s_lshl_b64 s[8:9], s[8:9], 2
	s_add_u32 s4, s4, s8
	s_addc_u32 s5, s5, s9
	s_load_b32 s4, s[4:5], 0x0
	s_waitcnt lgkmcnt(0)
	s_sub_i32 s8, s4, s10
.LBB492_7:
	s_load_b32 s4, s[0:1], 0x4
	v_mul_u32_u24_e32 v5, 0x8d4, v0
	s_delay_alu instid0(VALU_DEP_1) | instskip(SKIP_2) | instid1(VALU_DEP_3)
	v_lshrrev_b32_e32 v7, 16, v5
	v_mov_b32_e32 v5, 0
	v_mov_b32_e32 v6, 0
	v_mul_lo_u16 v8, v7, 29
	s_delay_alu instid0(VALU_DEP_1)
	v_sub_nc_u16 v12, v0, v8
	s_waitcnt lgkmcnt(0)
	s_cmp_eq_u32 s4, 1
	s_cselect_b32 vcc_lo, -1, 0
	s_cmp_lg_u32 s4, 1
	s_cselect_b32 s11, -1, 0
	s_ashr_i32 s9, s8, 31
	s_delay_alu instid0(SALU_CYCLE_1) | instskip(NEXT) | instid1(SALU_CYCLE_1)
	s_lshl_b64 s[4:5], s[8:9], 2
	s_add_u32 s6, s6, s4
	s_addc_u32 s7, s7, s5
	s_add_u32 s9, s6, 4
	s_addc_u32 s12, s7, 0
	;; [unrolled: 2-line block ×3, first 2 shown]
	s_cmp_eq_u64 s[2:3], 0
	s_cselect_b32 s3, s12, s5
	s_cselect_b32 s2, s9, s4
	s_load_b32 s9, s[6:7], 0x0
	s_load_b32 s14, s[2:3], 0x0
	s_load_b64 s[2:3], s[0:1], 0x50
	s_waitcnt lgkmcnt(0)
	s_cmp_ge_i32 s9, s14
	s_cbranch_scc1 .LBB492_12
; %bb.8:
	s_clause 0x1
	s_load_b128 s[4:7], s[0:1], 0x30
	s_load_b64 s[12:13], s[0:1], 0x40
	v_and_b32_e32 v5, 0xffff, v7
	v_cmp_gt_u32_e64 s0, 0x349, v0
	v_and_b32_e32 v7, 0xffff, v12
	s_sub_i32 s9, s9, s10
	v_lshlrev_b32_e32 v9, 2, v0
	v_subrev_nc_u32_e32 v6, 29, v5
	s_sub_i32 s1, s14, s10
	s_mul_i32 s14, s9, 0xd24
	s_delay_alu instid0(VALU_DEP_1) | instskip(SKIP_3) | instid1(VALU_DEP_3)
	v_cndmask_b32_e64 v8, v6, v5, s0
	v_mov_b32_e32 v5, 0
	v_mov_b32_e32 v6, 0
	s_mul_hi_i32 s0, s9, 0xd24
	v_cndmask_b32_e32 v7, v7, v8, vcc_lo
	v_cmp_lt_u32_e32 vcc_lo, 0x348, v0
	s_waitcnt lgkmcnt(0)
	s_add_u32 s6, s6, s14
	s_addc_u32 s0, s7, s0
	v_add_co_u32 v8, s6, s6, v9
	s_delay_alu instid0(VALU_DEP_1)
	v_add_co_ci_u32_e64 v9, null, s0, 0, s6
	v_cndmask_b32_e64 v13, 0, 1, vcc_lo
	s_set_inst_prefetch_distance 0x1
	s_branch .LBB492_10
	.p2align	6
.LBB492_9:                              ;   in Loop: Header=BB492_10 Depth=1
	s_or_b32 exec_lo, exec_lo, s0
	s_add_i32 s9, s9, 1
	s_delay_alu instid0(SALU_CYCLE_1)
	s_cmp_lt_i32 s9, s1
	s_cbranch_scc0 .LBB492_12
.LBB492_10:                             ; =>This Inner Loop Header: Depth=1
	s_delay_alu instid0(VALU_DEP_1) | instskip(SKIP_1) | instid1(VALU_DEP_1)
	v_add_nc_u32_e32 v10, s9, v13
	s_mov_b32 s0, exec_lo
	v_cmpx_gt_i32_e64 s1, v10
	s_cbranch_execz .LBB492_9
; %bb.11:                               ;   in Loop: Header=BB492_10 Depth=1
	v_ashrrev_i32_e32 v11, 31, v10
	s_delay_alu instid0(VALU_DEP_1) | instskip(NEXT) | instid1(VALU_DEP_1)
	v_lshlrev_b64 v[10:11], 2, v[10:11]
	v_add_co_u32 v10, vcc_lo, s4, v10
	s_delay_alu instid0(VALU_DEP_2) | instskip(SKIP_4) | instid1(VALU_DEP_1)
	v_add_co_ci_u32_e32 v11, vcc_lo, s5, v11, vcc_lo
	global_load_b32 v10, v[10:11], off
	global_load_b32 v14, v[8:9], off
	s_waitcnt vmcnt(1)
	v_subrev_nc_u32_e32 v15, s10, v10
	v_mad_u64_u32 v[10:11], null, v15, 29, v[7:8]
	s_waitcnt vmcnt(0)
	v_cvt_f64_f32_e32 v[14:15], v14
	s_delay_alu instid0(VALU_DEP_2) | instskip(NEXT) | instid1(VALU_DEP_1)
	v_ashrrev_i32_e32 v11, 31, v10
	v_lshlrev_b64 v[10:11], 3, v[10:11]
	s_delay_alu instid0(VALU_DEP_1) | instskip(NEXT) | instid1(VALU_DEP_2)
	v_add_co_u32 v10, vcc_lo, s12, v10
	v_add_co_ci_u32_e32 v11, vcc_lo, s13, v11, vcc_lo
	v_add_co_u32 v8, vcc_lo, 0xd24, v8
	v_add_co_ci_u32_e32 v9, vcc_lo, 0, v9, vcc_lo
	global_load_b64 v[10:11], v[10:11], off
	s_waitcnt vmcnt(0)
	v_fma_f64 v[5:6], v[14:15], v[10:11], v[5:6]
	s_branch .LBB492_9
.LBB492_12:
	s_set_inst_prefetch_distance 0x2
	v_lshlrev_b32_e32 v7, 3, v0
	s_and_b32 vcc_lo, exec_lo, s11
	ds_store_b64 v7, v[5:6]
	s_waitcnt lgkmcnt(0)
	s_barrier
	buffer_gl0_inv
	s_cbranch_vccz .LBB492_24
; %bb.13:
	s_mov_b32 s0, exec_lo
	v_cmpx_gt_u16_e32 13, v12
	s_cbranch_execz .LBB492_15
; %bb.14:
	ds_load_2addr_b64 v[8:11], v7 offset1:16
	s_waitcnt lgkmcnt(0)
	v_add_f64 v[8:9], v[10:11], v[8:9]
	ds_store_b64 v7, v[8:9]
.LBB492_15:
	s_or_b32 exec_lo, exec_lo, s0
	s_delay_alu instid0(SALU_CYCLE_1)
	s_mov_b32 s0, exec_lo
	s_waitcnt lgkmcnt(0)
	s_barrier
	buffer_gl0_inv
	v_cmpx_gt_u16_e32 8, v12
	s_cbranch_execz .LBB492_17
; %bb.16:
	ds_load_2addr_b64 v[8:11], v7 offset1:8
	s_waitcnt lgkmcnt(0)
	v_add_f64 v[8:9], v[10:11], v[8:9]
	ds_store_b64 v7, v[8:9]
.LBB492_17:
	s_or_b32 exec_lo, exec_lo, s0
	s_delay_alu instid0(SALU_CYCLE_1)
	s_mov_b32 s0, exec_lo
	s_waitcnt lgkmcnt(0)
	s_barrier
	buffer_gl0_inv
	;; [unrolled: 14-line block ×3, first 2 shown]
	v_cmpx_gt_u16_e32 2, v12
	s_cbranch_execz .LBB492_21
; %bb.20:
	ds_load_2addr_b64 v[8:11], v7 offset1:2
	s_waitcnt lgkmcnt(0)
	v_add_f64 v[8:9], v[10:11], v[8:9]
	ds_store_b64 v7, v[8:9]
.LBB492_21:
	s_or_b32 exec_lo, exec_lo, s0
	s_mov_b32 s1, 0
	s_mov_b32 s0, 0
	s_mov_b32 s4, exec_lo
	s_waitcnt lgkmcnt(0)
	s_barrier
	buffer_gl0_inv
                                        ; implicit-def: $vgpr8
                                        ; implicit-def: $vgpr9
	v_cmpx_gt_u32_e32 29, v0
	s_xor_b32 s4, exec_lo, s4
; %bb.22:
	v_mad_u32_u24 v8, v0, 29, 1
	v_mad_u32_u24 v9, 0xe0, v0, v7
	s_mov_b32 s0, exec_lo
; %bb.23:
	s_or_b32 exec_lo, exec_lo, s4
	s_delay_alu instid0(SALU_CYCLE_1)
	s_and_b32 vcc_lo, exec_lo, s1
	s_cbranch_vccnz .LBB492_25
	s_branch .LBB492_36
.LBB492_24:
	s_mov_b32 s0, 0
                                        ; implicit-def: $vgpr8
                                        ; implicit-def: $vgpr9
	s_cbranch_execz .LBB492_36
.LBB492_25:
	s_mov_b32 s1, exec_lo
	v_cmpx_gt_u32_e32 0x179, v0
	s_cbranch_execz .LBB492_27
; %bb.26:
	ds_load_b64 v[8:9], v7 offset:3712
	ds_load_b64 v[10:11], v7
	s_waitcnt lgkmcnt(0)
	v_add_f64 v[8:9], v[8:9], v[10:11]
	ds_store_b64 v7, v[8:9]
.LBB492_27:
	s_or_b32 exec_lo, exec_lo, s1
	s_delay_alu instid0(SALU_CYCLE_1)
	s_mov_b32 s1, exec_lo
	s_waitcnt lgkmcnt(0)
	s_barrier
	buffer_gl0_inv
	v_cmpx_gt_u32_e32 0xe8, v0
	s_cbranch_execz .LBB492_29
; %bb.28:
	ds_load_2addr_b64 v[8:11], v7 offset1:232
	s_waitcnt lgkmcnt(0)
	v_add_f64 v[8:9], v[10:11], v[8:9]
	ds_store_b64 v7, v[8:9]
.LBB492_29:
	s_or_b32 exec_lo, exec_lo, s1
	s_delay_alu instid0(SALU_CYCLE_1)
	s_mov_b32 s1, exec_lo
	s_waitcnt lgkmcnt(0)
	s_barrier
	buffer_gl0_inv
	v_cmpx_gt_u32_e32 0x74, v0
	s_cbranch_execz .LBB492_31
; %bb.30:
	ds_load_2addr_b64 v[8:11], v7 offset1:116
	s_waitcnt lgkmcnt(0)
	v_add_f64 v[8:9], v[10:11], v[8:9]
	ds_store_b64 v7, v[8:9]
.LBB492_31:
	;; [unrolled: 14-line block ×3, first 2 shown]
	s_or_b32 exec_lo, exec_lo, s1
	s_delay_alu instid0(SALU_CYCLE_1)
	s_mov_b32 s1, exec_lo
	s_waitcnt lgkmcnt(0)
	buffer_gl0_inv
                                        ; implicit-def: $vgpr8
	v_cmpx_gt_u32_e32 29, v0
; %bb.34:
	v_add_nc_u32_e32 v8, 29, v0
	s_or_b32 s0, s0, exec_lo
                                        ; implicit-def: $vgpr5_vgpr6
; %bb.35:
	s_or_b32 exec_lo, exec_lo, s1
	v_mov_b32_e32 v9, v7
.LBB492_36:
	s_and_saveexec_b32 s1, s0
	s_cbranch_execnz .LBB492_39
; %bb.37:
	s_or_b32 exec_lo, exec_lo, s1
	v_cmp_gt_u32_e32 vcc_lo, 29, v0
	s_and_b32 exec_lo, exec_lo, vcc_lo
	s_cbranch_execnz .LBB492_40
.LBB492_38:
	s_nop 0
	s_sendmsg sendmsg(MSG_DEALLOC_VGPRS)
	s_endpgm
.LBB492_39:
	v_lshlrev_b32_e32 v7, 3, v8
	ds_load_b64 v[5:6], v9
	ds_load_b64 v[7:8], v7
	s_waitcnt lgkmcnt(0)
	v_add_f64 v[5:6], v[5:6], v[7:8]
	s_or_b32 exec_lo, exec_lo, s1
	v_cmp_gt_u32_e32 vcc_lo, 29, v0
	s_and_b32 exec_lo, exec_lo, vcc_lo
	s_cbranch_execz .LBB492_38
.LBB492_40:
	s_delay_alu instid0(VALU_DEP_2)
	v_mul_f64 v[3:4], v[3:4], v[5:6]
	s_mov_b32 s0, exec_lo
	v_cmpx_eq_f64_e32 0, v[1:2]
	s_xor_b32 s0, exec_lo, s0
	s_cbranch_execz .LBB492_42
; %bb.41:
	v_mad_u64_u32 v[1:2], null, s8, 29, v[0:1]
	v_mov_b32_e32 v2, 0
	s_delay_alu instid0(VALU_DEP_1) | instskip(NEXT) | instid1(VALU_DEP_1)
	v_lshlrev_b64 v[0:1], 3, v[1:2]
	v_add_co_u32 v0, vcc_lo, s2, v0
	s_delay_alu instid0(VALU_DEP_2)
	v_add_co_ci_u32_e32 v1, vcc_lo, s3, v1, vcc_lo
	global_store_b64 v[0:1], v[3:4], off
                                        ; implicit-def: $vgpr0
                                        ; implicit-def: $vgpr1_vgpr2
                                        ; implicit-def: $vgpr3_vgpr4
.LBB492_42:
	s_and_not1_saveexec_b32 s0, s0
	s_cbranch_execz .LBB492_38
; %bb.43:
	v_mad_u64_u32 v[5:6], null, s8, 29, v[0:1]
	v_mov_b32_e32 v6, 0
	s_delay_alu instid0(VALU_DEP_1) | instskip(NEXT) | instid1(VALU_DEP_1)
	v_lshlrev_b64 v[5:6], 3, v[5:6]
	v_add_co_u32 v5, vcc_lo, s2, v5
	s_delay_alu instid0(VALU_DEP_2)
	v_add_co_ci_u32_e32 v6, vcc_lo, s3, v6, vcc_lo
	global_load_b64 v[7:8], v[5:6], off
	s_waitcnt vmcnt(0)
	v_fma_f64 v[0:1], v[1:2], v[7:8], v[3:4]
	global_store_b64 v[5:6], v[0:1], off
	s_nop 0
	s_sendmsg sendmsg(MSG_DEALLOC_VGPRS)
	s_endpgm
	.section	.rodata,"a",@progbits
	.p2align	6, 0x0
	.amdhsa_kernel _ZN9rocsparseL20bsrxmvn_17_32_kernelILj29EdiifddEEvT2_20rocsparse_direction_NS_24const_host_device_scalarIT0_EES1_PKS1_PKT1_SA_S7_PKT3_PKT4_S5_PT5_21rocsparse_index_base_b
		.amdhsa_group_segment_fixed_size 6728
		.amdhsa_private_segment_fixed_size 0
		.amdhsa_kernarg_size 96
		.amdhsa_user_sgpr_count 15
		.amdhsa_user_sgpr_dispatch_ptr 0
		.amdhsa_user_sgpr_queue_ptr 0
		.amdhsa_user_sgpr_kernarg_segment_ptr 1
		.amdhsa_user_sgpr_dispatch_id 0
		.amdhsa_user_sgpr_private_segment_size 0
		.amdhsa_wavefront_size32 1
		.amdhsa_uses_dynamic_stack 0
		.amdhsa_enable_private_segment 0
		.amdhsa_system_sgpr_workgroup_id_x 1
		.amdhsa_system_sgpr_workgroup_id_y 0
		.amdhsa_system_sgpr_workgroup_id_z 0
		.amdhsa_system_sgpr_workgroup_info 0
		.amdhsa_system_vgpr_workitem_id 0
		.amdhsa_next_free_vgpr 16
		.amdhsa_next_free_sgpr 16
		.amdhsa_reserve_vcc 1
		.amdhsa_float_round_mode_32 0
		.amdhsa_float_round_mode_16_64 0
		.amdhsa_float_denorm_mode_32 3
		.amdhsa_float_denorm_mode_16_64 3
		.amdhsa_dx10_clamp 1
		.amdhsa_ieee_mode 1
		.amdhsa_fp16_overflow 0
		.amdhsa_workgroup_processor_mode 1
		.amdhsa_memory_ordered 1
		.amdhsa_forward_progress 0
		.amdhsa_shared_vgpr_count 0
		.amdhsa_exception_fp_ieee_invalid_op 0
		.amdhsa_exception_fp_denorm_src 0
		.amdhsa_exception_fp_ieee_div_zero 0
		.amdhsa_exception_fp_ieee_overflow 0
		.amdhsa_exception_fp_ieee_underflow 0
		.amdhsa_exception_fp_ieee_inexact 0
		.amdhsa_exception_int_div_zero 0
	.end_amdhsa_kernel
	.section	.text._ZN9rocsparseL20bsrxmvn_17_32_kernelILj29EdiifddEEvT2_20rocsparse_direction_NS_24const_host_device_scalarIT0_EES1_PKS1_PKT1_SA_S7_PKT3_PKT4_S5_PT5_21rocsparse_index_base_b,"axG",@progbits,_ZN9rocsparseL20bsrxmvn_17_32_kernelILj29EdiifddEEvT2_20rocsparse_direction_NS_24const_host_device_scalarIT0_EES1_PKS1_PKT1_SA_S7_PKT3_PKT4_S5_PT5_21rocsparse_index_base_b,comdat
.Lfunc_end492:
	.size	_ZN9rocsparseL20bsrxmvn_17_32_kernelILj29EdiifddEEvT2_20rocsparse_direction_NS_24const_host_device_scalarIT0_EES1_PKS1_PKT1_SA_S7_PKT3_PKT4_S5_PT5_21rocsparse_index_base_b, .Lfunc_end492-_ZN9rocsparseL20bsrxmvn_17_32_kernelILj29EdiifddEEvT2_20rocsparse_direction_NS_24const_host_device_scalarIT0_EES1_PKS1_PKT1_SA_S7_PKT3_PKT4_S5_PT5_21rocsparse_index_base_b
                                        ; -- End function
	.section	.AMDGPU.csdata,"",@progbits
; Kernel info:
; codeLenInByte = 1628
; NumSgprs: 18
; NumVgprs: 16
; ScratchSize: 0
; MemoryBound: 0
; FloatMode: 240
; IeeeMode: 1
; LDSByteSize: 6728 bytes/workgroup (compile time only)
; SGPRBlocks: 2
; VGPRBlocks: 1
; NumSGPRsForWavesPerEU: 18
; NumVGPRsForWavesPerEU: 16
; Occupancy: 14
; WaveLimiterHint : 1
; COMPUTE_PGM_RSRC2:SCRATCH_EN: 0
; COMPUTE_PGM_RSRC2:USER_SGPR: 15
; COMPUTE_PGM_RSRC2:TRAP_HANDLER: 0
; COMPUTE_PGM_RSRC2:TGID_X_EN: 1
; COMPUTE_PGM_RSRC2:TGID_Y_EN: 0
; COMPUTE_PGM_RSRC2:TGID_Z_EN: 0
; COMPUTE_PGM_RSRC2:TIDIG_COMP_CNT: 0
	.section	.text._ZN9rocsparseL20bsrxmvn_17_32_kernelILj30EdiifddEEvT2_20rocsparse_direction_NS_24const_host_device_scalarIT0_EES1_PKS1_PKT1_SA_S7_PKT3_PKT4_S5_PT5_21rocsparse_index_base_b,"axG",@progbits,_ZN9rocsparseL20bsrxmvn_17_32_kernelILj30EdiifddEEvT2_20rocsparse_direction_NS_24const_host_device_scalarIT0_EES1_PKS1_PKT1_SA_S7_PKT3_PKT4_S5_PT5_21rocsparse_index_base_b,comdat
	.globl	_ZN9rocsparseL20bsrxmvn_17_32_kernelILj30EdiifddEEvT2_20rocsparse_direction_NS_24const_host_device_scalarIT0_EES1_PKS1_PKT1_SA_S7_PKT3_PKT4_S5_PT5_21rocsparse_index_base_b ; -- Begin function _ZN9rocsparseL20bsrxmvn_17_32_kernelILj30EdiifddEEvT2_20rocsparse_direction_NS_24const_host_device_scalarIT0_EES1_PKS1_PKT1_SA_S7_PKT3_PKT4_S5_PT5_21rocsparse_index_base_b
	.p2align	8
	.type	_ZN9rocsparseL20bsrxmvn_17_32_kernelILj30EdiifddEEvT2_20rocsparse_direction_NS_24const_host_device_scalarIT0_EES1_PKS1_PKT1_SA_S7_PKT3_PKT4_S5_PT5_21rocsparse_index_base_b,@function
_ZN9rocsparseL20bsrxmvn_17_32_kernelILj30EdiifddEEvT2_20rocsparse_direction_NS_24const_host_device_scalarIT0_EES1_PKS1_PKT1_SA_S7_PKT3_PKT4_S5_PT5_21rocsparse_index_base_b: ; @_ZN9rocsparseL20bsrxmvn_17_32_kernelILj30EdiifddEEvT2_20rocsparse_direction_NS_24const_host_device_scalarIT0_EES1_PKS1_PKT1_SA_S7_PKT3_PKT4_S5_PT5_21rocsparse_index_base_b
; %bb.0:
	s_clause 0x2
	s_load_b64 s[10:11], s[0:1], 0x58
	s_load_b64 s[4:5], s[0:1], 0x8
	;; [unrolled: 1-line block ×3, first 2 shown]
	s_mov_b32 s8, s15
	s_waitcnt lgkmcnt(0)
	s_bitcmp1_b32 s11, 0
	v_dual_mov_b32 v3, s4 :: v_dual_mov_b32 v4, s5
	s_cselect_b32 s6, -1, 0
	s_delay_alu instid0(SALU_CYCLE_1)
	s_and_b32 vcc_lo, exec_lo, s6
	s_xor_b32 s6, s6, -1
	s_cbranch_vccnz .LBB493_2
; %bb.1:
	v_dual_mov_b32 v1, s4 :: v_dual_mov_b32 v2, s5
	flat_load_b64 v[3:4], v[1:2]
.LBB493_2:
	v_dual_mov_b32 v1, s2 :: v_dual_mov_b32 v2, s3
	s_and_not1_b32 vcc_lo, exec_lo, s6
	s_cbranch_vccnz .LBB493_4
; %bb.3:
	v_dual_mov_b32 v1, s2 :: v_dual_mov_b32 v2, s3
	flat_load_b64 v[1:2], v[1:2]
.LBB493_4:
	s_waitcnt vmcnt(0) lgkmcnt(0)
	v_cmp_neq_f64_e32 vcc_lo, 0, v[3:4]
	v_cmp_neq_f64_e64 s2, 1.0, v[1:2]
	s_delay_alu instid0(VALU_DEP_1) | instskip(NEXT) | instid1(SALU_CYCLE_1)
	s_or_b32 s2, vcc_lo, s2
	s_and_saveexec_b32 s3, s2
	s_cbranch_execz .LBB493_38
; %bb.5:
	s_clause 0x1
	s_load_b128 s[4:7], s[0:1], 0x18
	s_load_b64 s[2:3], s[0:1], 0x28
	s_waitcnt lgkmcnt(0)
	s_cmp_eq_u64 s[4:5], 0
	s_cbranch_scc1 .LBB493_7
; %bb.6:
	s_ashr_i32 s9, s8, 31
	s_delay_alu instid0(SALU_CYCLE_1) | instskip(NEXT) | instid1(SALU_CYCLE_1)
	s_lshl_b64 s[8:9], s[8:9], 2
	s_add_u32 s4, s4, s8
	s_addc_u32 s5, s5, s9
	s_load_b32 s4, s[4:5], 0x0
	s_waitcnt lgkmcnt(0)
	s_sub_i32 s8, s4, s10
.LBB493_7:
	s_load_b32 s4, s[0:1], 0x4
	v_mul_u32_u24_e32 v5, 0x889, v0
	s_delay_alu instid0(VALU_DEP_1) | instskip(SKIP_2) | instid1(VALU_DEP_3)
	v_lshrrev_b32_e32 v7, 16, v5
	v_mov_b32_e32 v5, 0
	v_mov_b32_e32 v6, 0
	v_mul_lo_u16 v8, v7, 30
	s_delay_alu instid0(VALU_DEP_1)
	v_sub_nc_u16 v12, v0, v8
	s_waitcnt lgkmcnt(0)
	s_cmp_eq_u32 s4, 1
	s_cselect_b32 vcc_lo, -1, 0
	s_cmp_lg_u32 s4, 1
	s_cselect_b32 s11, -1, 0
	s_ashr_i32 s9, s8, 31
	s_delay_alu instid0(SALU_CYCLE_1) | instskip(NEXT) | instid1(SALU_CYCLE_1)
	s_lshl_b64 s[4:5], s[8:9], 2
	s_add_u32 s6, s6, s4
	s_addc_u32 s7, s7, s5
	s_add_u32 s9, s6, 4
	s_addc_u32 s12, s7, 0
	;; [unrolled: 2-line block ×3, first 2 shown]
	s_cmp_eq_u64 s[2:3], 0
	s_cselect_b32 s3, s12, s5
	s_cselect_b32 s2, s9, s4
	s_load_b32 s9, s[6:7], 0x0
	s_load_b32 s14, s[2:3], 0x0
	s_load_b64 s[2:3], s[0:1], 0x50
	s_waitcnt lgkmcnt(0)
	s_cmp_ge_i32 s9, s14
	s_cbranch_scc1 .LBB493_12
; %bb.8:
	s_clause 0x1
	s_load_b128 s[4:7], s[0:1], 0x30
	s_load_b64 s[12:13], s[0:1], 0x40
	v_and_b32_e32 v5, 0xffff, v7
	v_cmp_gt_u32_e64 s0, 0x384, v0
	v_and_b32_e32 v7, 0xffff, v12
	s_sub_i32 s9, s9, s10
	v_lshlrev_b32_e32 v9, 2, v0
	v_subrev_nc_u32_e32 v6, 30, v5
	s_sub_i32 s1, s14, s10
	s_mul_i32 s14, s9, 0xe10
	s_delay_alu instid0(VALU_DEP_1) | instskip(SKIP_3) | instid1(VALU_DEP_3)
	v_cndmask_b32_e64 v8, v6, v5, s0
	v_mov_b32_e32 v5, 0
	v_mov_b32_e32 v6, 0
	s_mul_hi_i32 s0, s9, 0xe10
	v_cndmask_b32_e32 v7, v7, v8, vcc_lo
	v_cmp_lt_u32_e32 vcc_lo, 0x383, v0
	s_waitcnt lgkmcnt(0)
	s_add_u32 s6, s6, s14
	s_addc_u32 s0, s7, s0
	v_add_co_u32 v8, s6, s6, v9
	s_delay_alu instid0(VALU_DEP_1)
	v_add_co_ci_u32_e64 v9, null, s0, 0, s6
	v_cndmask_b32_e64 v13, 0, 1, vcc_lo
	s_set_inst_prefetch_distance 0x1
	s_branch .LBB493_10
	.p2align	6
.LBB493_9:                              ;   in Loop: Header=BB493_10 Depth=1
	s_or_b32 exec_lo, exec_lo, s0
	s_add_i32 s9, s9, 1
	s_delay_alu instid0(SALU_CYCLE_1)
	s_cmp_lt_i32 s9, s1
	s_cbranch_scc0 .LBB493_12
.LBB493_10:                             ; =>This Inner Loop Header: Depth=1
	s_delay_alu instid0(VALU_DEP_1) | instskip(SKIP_1) | instid1(VALU_DEP_1)
	v_add_nc_u32_e32 v10, s9, v13
	s_mov_b32 s0, exec_lo
	v_cmpx_gt_i32_e64 s1, v10
	s_cbranch_execz .LBB493_9
; %bb.11:                               ;   in Loop: Header=BB493_10 Depth=1
	v_ashrrev_i32_e32 v11, 31, v10
	s_delay_alu instid0(VALU_DEP_1) | instskip(NEXT) | instid1(VALU_DEP_1)
	v_lshlrev_b64 v[10:11], 2, v[10:11]
	v_add_co_u32 v10, vcc_lo, s4, v10
	s_delay_alu instid0(VALU_DEP_2) | instskip(SKIP_4) | instid1(VALU_DEP_1)
	v_add_co_ci_u32_e32 v11, vcc_lo, s5, v11, vcc_lo
	global_load_b32 v10, v[10:11], off
	global_load_b32 v14, v[8:9], off
	s_waitcnt vmcnt(1)
	v_subrev_nc_u32_e32 v15, s10, v10
	v_mad_u64_u32 v[10:11], null, v15, 30, v[7:8]
	s_waitcnt vmcnt(0)
	v_cvt_f64_f32_e32 v[14:15], v14
	s_delay_alu instid0(VALU_DEP_2) | instskip(NEXT) | instid1(VALU_DEP_1)
	v_ashrrev_i32_e32 v11, 31, v10
	v_lshlrev_b64 v[10:11], 3, v[10:11]
	s_delay_alu instid0(VALU_DEP_1) | instskip(NEXT) | instid1(VALU_DEP_2)
	v_add_co_u32 v10, vcc_lo, s12, v10
	v_add_co_ci_u32_e32 v11, vcc_lo, s13, v11, vcc_lo
	v_add_co_u32 v8, vcc_lo, 0xe10, v8
	v_add_co_ci_u32_e32 v9, vcc_lo, 0, v9, vcc_lo
	global_load_b64 v[10:11], v[10:11], off
	s_waitcnt vmcnt(0)
	v_fma_f64 v[5:6], v[14:15], v[10:11], v[5:6]
	s_branch .LBB493_9
.LBB493_12:
	s_set_inst_prefetch_distance 0x2
	v_lshlrev_b32_e32 v7, 3, v0
	s_and_b32 vcc_lo, exec_lo, s11
	ds_store_b64 v7, v[5:6]
	s_waitcnt lgkmcnt(0)
	s_barrier
	buffer_gl0_inv
	s_cbranch_vccz .LBB493_24
; %bb.13:
	s_mov_b32 s0, exec_lo
	v_cmpx_gt_u16_e32 14, v12
	s_cbranch_execz .LBB493_15
; %bb.14:
	ds_load_2addr_b64 v[8:11], v7 offset1:16
	s_waitcnt lgkmcnt(0)
	v_add_f64 v[8:9], v[10:11], v[8:9]
	ds_store_b64 v7, v[8:9]
.LBB493_15:
	s_or_b32 exec_lo, exec_lo, s0
	s_delay_alu instid0(SALU_CYCLE_1)
	s_mov_b32 s0, exec_lo
	s_waitcnt lgkmcnt(0)
	s_barrier
	buffer_gl0_inv
	v_cmpx_gt_u16_e32 8, v12
	s_cbranch_execz .LBB493_17
; %bb.16:
	ds_load_2addr_b64 v[8:11], v7 offset1:8
	s_waitcnt lgkmcnt(0)
	v_add_f64 v[8:9], v[10:11], v[8:9]
	ds_store_b64 v7, v[8:9]
.LBB493_17:
	s_or_b32 exec_lo, exec_lo, s0
	s_delay_alu instid0(SALU_CYCLE_1)
	s_mov_b32 s0, exec_lo
	s_waitcnt lgkmcnt(0)
	s_barrier
	buffer_gl0_inv
	;; [unrolled: 14-line block ×3, first 2 shown]
	v_cmpx_gt_u16_e32 2, v12
	s_cbranch_execz .LBB493_21
; %bb.20:
	ds_load_2addr_b64 v[8:11], v7 offset1:2
	s_waitcnt lgkmcnt(0)
	v_add_f64 v[8:9], v[10:11], v[8:9]
	ds_store_b64 v7, v[8:9]
.LBB493_21:
	s_or_b32 exec_lo, exec_lo, s0
	s_mov_b32 s1, 0
	s_mov_b32 s0, 0
	s_mov_b32 s4, exec_lo
	s_waitcnt lgkmcnt(0)
	s_barrier
	buffer_gl0_inv
                                        ; implicit-def: $vgpr8
                                        ; implicit-def: $vgpr9
	v_cmpx_gt_u32_e32 30, v0
	s_xor_b32 s4, exec_lo, s4
; %bb.22:
	v_mul_u32_u24_e32 v8, 30, v0
	v_mad_u32_u24 v9, 0xe8, v0, v7
	s_mov_b32 s0, exec_lo
	s_delay_alu instid0(VALU_DEP_2)
	v_or_b32_e32 v8, 1, v8
; %bb.23:
	s_or_b32 exec_lo, exec_lo, s4
	s_delay_alu instid0(SALU_CYCLE_1)
	s_and_b32 vcc_lo, exec_lo, s1
	s_cbranch_vccnz .LBB493_25
	s_branch .LBB493_36
.LBB493_24:
	s_mov_b32 s0, 0
                                        ; implicit-def: $vgpr8
                                        ; implicit-def: $vgpr9
	s_cbranch_execz .LBB493_36
.LBB493_25:
	s_mov_b32 s1, exec_lo
	v_cmpx_gt_u32_e32 0x1a4, v0
	s_cbranch_execz .LBB493_27
; %bb.26:
	ds_load_b64 v[8:9], v7 offset:3840
	ds_load_b64 v[10:11], v7
	s_waitcnt lgkmcnt(0)
	v_add_f64 v[8:9], v[8:9], v[10:11]
	ds_store_b64 v7, v[8:9]
.LBB493_27:
	s_or_b32 exec_lo, exec_lo, s1
	s_delay_alu instid0(SALU_CYCLE_1)
	s_mov_b32 s1, exec_lo
	s_waitcnt lgkmcnt(0)
	s_barrier
	buffer_gl0_inv
	v_cmpx_gt_u32_e32 0xf0, v0
	s_cbranch_execz .LBB493_29
; %bb.28:
	ds_load_2addr_b64 v[8:11], v7 offset1:240
	s_waitcnt lgkmcnt(0)
	v_add_f64 v[8:9], v[10:11], v[8:9]
	ds_store_b64 v7, v[8:9]
.LBB493_29:
	s_or_b32 exec_lo, exec_lo, s1
	s_delay_alu instid0(SALU_CYCLE_1)
	s_mov_b32 s1, exec_lo
	s_waitcnt lgkmcnt(0)
	s_barrier
	buffer_gl0_inv
	v_cmpx_gt_u32_e32 0x78, v0
	s_cbranch_execz .LBB493_31
; %bb.30:
	ds_load_2addr_b64 v[8:11], v7 offset1:120
	s_waitcnt lgkmcnt(0)
	v_add_f64 v[8:9], v[10:11], v[8:9]
	ds_store_b64 v7, v[8:9]
.LBB493_31:
	;; [unrolled: 14-line block ×3, first 2 shown]
	s_or_b32 exec_lo, exec_lo, s1
	s_delay_alu instid0(SALU_CYCLE_1)
	s_mov_b32 s1, exec_lo
	s_waitcnt lgkmcnt(0)
	buffer_gl0_inv
                                        ; implicit-def: $vgpr8
	v_cmpx_gt_u32_e32 30, v0
; %bb.34:
	v_add_nc_u32_e32 v8, 30, v0
	s_or_b32 s0, s0, exec_lo
                                        ; implicit-def: $vgpr5_vgpr6
; %bb.35:
	s_or_b32 exec_lo, exec_lo, s1
	v_mov_b32_e32 v9, v7
.LBB493_36:
	s_and_saveexec_b32 s1, s0
	s_cbranch_execnz .LBB493_39
; %bb.37:
	s_or_b32 exec_lo, exec_lo, s1
	v_cmp_gt_u32_e32 vcc_lo, 30, v0
	s_and_b32 exec_lo, exec_lo, vcc_lo
	s_cbranch_execnz .LBB493_40
.LBB493_38:
	s_nop 0
	s_sendmsg sendmsg(MSG_DEALLOC_VGPRS)
	s_endpgm
.LBB493_39:
	v_lshlrev_b32_e32 v7, 3, v8
	ds_load_b64 v[5:6], v9
	ds_load_b64 v[7:8], v7
	s_waitcnt lgkmcnt(0)
	v_add_f64 v[5:6], v[5:6], v[7:8]
	s_or_b32 exec_lo, exec_lo, s1
	v_cmp_gt_u32_e32 vcc_lo, 30, v0
	s_and_b32 exec_lo, exec_lo, vcc_lo
	s_cbranch_execz .LBB493_38
.LBB493_40:
	s_delay_alu instid0(VALU_DEP_2)
	v_mul_f64 v[3:4], v[3:4], v[5:6]
	s_mov_b32 s0, exec_lo
	v_cmpx_eq_f64_e32 0, v[1:2]
	s_xor_b32 s0, exec_lo, s0
	s_cbranch_execz .LBB493_42
; %bb.41:
	v_mad_u64_u32 v[1:2], null, s8, 30, v[0:1]
	v_mov_b32_e32 v2, 0
	s_delay_alu instid0(VALU_DEP_1) | instskip(NEXT) | instid1(VALU_DEP_1)
	v_lshlrev_b64 v[0:1], 3, v[1:2]
	v_add_co_u32 v0, vcc_lo, s2, v0
	s_delay_alu instid0(VALU_DEP_2)
	v_add_co_ci_u32_e32 v1, vcc_lo, s3, v1, vcc_lo
	global_store_b64 v[0:1], v[3:4], off
                                        ; implicit-def: $vgpr0
                                        ; implicit-def: $vgpr1_vgpr2
                                        ; implicit-def: $vgpr3_vgpr4
.LBB493_42:
	s_and_not1_saveexec_b32 s0, s0
	s_cbranch_execz .LBB493_38
; %bb.43:
	v_mad_u64_u32 v[5:6], null, s8, 30, v[0:1]
	v_mov_b32_e32 v6, 0
	s_delay_alu instid0(VALU_DEP_1) | instskip(NEXT) | instid1(VALU_DEP_1)
	v_lshlrev_b64 v[5:6], 3, v[5:6]
	v_add_co_u32 v5, vcc_lo, s2, v5
	s_delay_alu instid0(VALU_DEP_2)
	v_add_co_ci_u32_e32 v6, vcc_lo, s3, v6, vcc_lo
	global_load_b64 v[7:8], v[5:6], off
	s_waitcnt vmcnt(0)
	v_fma_f64 v[0:1], v[1:2], v[7:8], v[3:4]
	global_store_b64 v[5:6], v[0:1], off
	s_nop 0
	s_sendmsg sendmsg(MSG_DEALLOC_VGPRS)
	s_endpgm
	.section	.rodata,"a",@progbits
	.p2align	6, 0x0
	.amdhsa_kernel _ZN9rocsparseL20bsrxmvn_17_32_kernelILj30EdiifddEEvT2_20rocsparse_direction_NS_24const_host_device_scalarIT0_EES1_PKS1_PKT1_SA_S7_PKT3_PKT4_S5_PT5_21rocsparse_index_base_b
		.amdhsa_group_segment_fixed_size 7200
		.amdhsa_private_segment_fixed_size 0
		.amdhsa_kernarg_size 96
		.amdhsa_user_sgpr_count 15
		.amdhsa_user_sgpr_dispatch_ptr 0
		.amdhsa_user_sgpr_queue_ptr 0
		.amdhsa_user_sgpr_kernarg_segment_ptr 1
		.amdhsa_user_sgpr_dispatch_id 0
		.amdhsa_user_sgpr_private_segment_size 0
		.amdhsa_wavefront_size32 1
		.amdhsa_uses_dynamic_stack 0
		.amdhsa_enable_private_segment 0
		.amdhsa_system_sgpr_workgroup_id_x 1
		.amdhsa_system_sgpr_workgroup_id_y 0
		.amdhsa_system_sgpr_workgroup_id_z 0
		.amdhsa_system_sgpr_workgroup_info 0
		.amdhsa_system_vgpr_workitem_id 0
		.amdhsa_next_free_vgpr 16
		.amdhsa_next_free_sgpr 16
		.amdhsa_reserve_vcc 1
		.amdhsa_float_round_mode_32 0
		.amdhsa_float_round_mode_16_64 0
		.amdhsa_float_denorm_mode_32 3
		.amdhsa_float_denorm_mode_16_64 3
		.amdhsa_dx10_clamp 1
		.amdhsa_ieee_mode 1
		.amdhsa_fp16_overflow 0
		.amdhsa_workgroup_processor_mode 1
		.amdhsa_memory_ordered 1
		.amdhsa_forward_progress 0
		.amdhsa_shared_vgpr_count 0
		.amdhsa_exception_fp_ieee_invalid_op 0
		.amdhsa_exception_fp_denorm_src 0
		.amdhsa_exception_fp_ieee_div_zero 0
		.amdhsa_exception_fp_ieee_overflow 0
		.amdhsa_exception_fp_ieee_underflow 0
		.amdhsa_exception_fp_ieee_inexact 0
		.amdhsa_exception_int_div_zero 0
	.end_amdhsa_kernel
	.section	.text._ZN9rocsparseL20bsrxmvn_17_32_kernelILj30EdiifddEEvT2_20rocsparse_direction_NS_24const_host_device_scalarIT0_EES1_PKS1_PKT1_SA_S7_PKT3_PKT4_S5_PT5_21rocsparse_index_base_b,"axG",@progbits,_ZN9rocsparseL20bsrxmvn_17_32_kernelILj30EdiifddEEvT2_20rocsparse_direction_NS_24const_host_device_scalarIT0_EES1_PKS1_PKT1_SA_S7_PKT3_PKT4_S5_PT5_21rocsparse_index_base_b,comdat
.Lfunc_end493:
	.size	_ZN9rocsparseL20bsrxmvn_17_32_kernelILj30EdiifddEEvT2_20rocsparse_direction_NS_24const_host_device_scalarIT0_EES1_PKS1_PKT1_SA_S7_PKT3_PKT4_S5_PT5_21rocsparse_index_base_b, .Lfunc_end493-_ZN9rocsparseL20bsrxmvn_17_32_kernelILj30EdiifddEEvT2_20rocsparse_direction_NS_24const_host_device_scalarIT0_EES1_PKS1_PKT1_SA_S7_PKT3_PKT4_S5_PT5_21rocsparse_index_base_b
                                        ; -- End function
	.section	.AMDGPU.csdata,"",@progbits
; Kernel info:
; codeLenInByte = 1632
; NumSgprs: 18
; NumVgprs: 16
; ScratchSize: 0
; MemoryBound: 0
; FloatMode: 240
; IeeeMode: 1
; LDSByteSize: 7200 bytes/workgroup (compile time only)
; SGPRBlocks: 2
; VGPRBlocks: 1
; NumSGPRsForWavesPerEU: 18
; NumVGPRsForWavesPerEU: 16
; Occupancy: 15
; WaveLimiterHint : 1
; COMPUTE_PGM_RSRC2:SCRATCH_EN: 0
; COMPUTE_PGM_RSRC2:USER_SGPR: 15
; COMPUTE_PGM_RSRC2:TRAP_HANDLER: 0
; COMPUTE_PGM_RSRC2:TGID_X_EN: 1
; COMPUTE_PGM_RSRC2:TGID_Y_EN: 0
; COMPUTE_PGM_RSRC2:TGID_Z_EN: 0
; COMPUTE_PGM_RSRC2:TIDIG_COMP_CNT: 0
	.section	.text._ZN9rocsparseL20bsrxmvn_17_32_kernelILj31EdiifddEEvT2_20rocsparse_direction_NS_24const_host_device_scalarIT0_EES1_PKS1_PKT1_SA_S7_PKT3_PKT4_S5_PT5_21rocsparse_index_base_b,"axG",@progbits,_ZN9rocsparseL20bsrxmvn_17_32_kernelILj31EdiifddEEvT2_20rocsparse_direction_NS_24const_host_device_scalarIT0_EES1_PKS1_PKT1_SA_S7_PKT3_PKT4_S5_PT5_21rocsparse_index_base_b,comdat
	.globl	_ZN9rocsparseL20bsrxmvn_17_32_kernelILj31EdiifddEEvT2_20rocsparse_direction_NS_24const_host_device_scalarIT0_EES1_PKS1_PKT1_SA_S7_PKT3_PKT4_S5_PT5_21rocsparse_index_base_b ; -- Begin function _ZN9rocsparseL20bsrxmvn_17_32_kernelILj31EdiifddEEvT2_20rocsparse_direction_NS_24const_host_device_scalarIT0_EES1_PKS1_PKT1_SA_S7_PKT3_PKT4_S5_PT5_21rocsparse_index_base_b
	.p2align	8
	.type	_ZN9rocsparseL20bsrxmvn_17_32_kernelILj31EdiifddEEvT2_20rocsparse_direction_NS_24const_host_device_scalarIT0_EES1_PKS1_PKT1_SA_S7_PKT3_PKT4_S5_PT5_21rocsparse_index_base_b,@function
_ZN9rocsparseL20bsrxmvn_17_32_kernelILj31EdiifddEEvT2_20rocsparse_direction_NS_24const_host_device_scalarIT0_EES1_PKS1_PKT1_SA_S7_PKT3_PKT4_S5_PT5_21rocsparse_index_base_b: ; @_ZN9rocsparseL20bsrxmvn_17_32_kernelILj31EdiifddEEvT2_20rocsparse_direction_NS_24const_host_device_scalarIT0_EES1_PKS1_PKT1_SA_S7_PKT3_PKT4_S5_PT5_21rocsparse_index_base_b
; %bb.0:
	s_clause 0x2
	s_load_b64 s[10:11], s[0:1], 0x58
	s_load_b64 s[4:5], s[0:1], 0x8
	;; [unrolled: 1-line block ×3, first 2 shown]
	s_mov_b32 s8, s15
	s_waitcnt lgkmcnt(0)
	s_bitcmp1_b32 s11, 0
	v_dual_mov_b32 v3, s4 :: v_dual_mov_b32 v4, s5
	s_cselect_b32 s6, -1, 0
	s_delay_alu instid0(SALU_CYCLE_1)
	s_and_b32 vcc_lo, exec_lo, s6
	s_xor_b32 s6, s6, -1
	s_cbranch_vccnz .LBB494_2
; %bb.1:
	v_dual_mov_b32 v1, s4 :: v_dual_mov_b32 v2, s5
	flat_load_b64 v[3:4], v[1:2]
.LBB494_2:
	v_dual_mov_b32 v1, s2 :: v_dual_mov_b32 v2, s3
	s_and_not1_b32 vcc_lo, exec_lo, s6
	s_cbranch_vccnz .LBB494_4
; %bb.3:
	v_dual_mov_b32 v1, s2 :: v_dual_mov_b32 v2, s3
	flat_load_b64 v[1:2], v[1:2]
.LBB494_4:
	s_waitcnt vmcnt(0) lgkmcnt(0)
	v_cmp_neq_f64_e32 vcc_lo, 0, v[3:4]
	v_cmp_neq_f64_e64 s2, 1.0, v[1:2]
	s_delay_alu instid0(VALU_DEP_1) | instskip(NEXT) | instid1(SALU_CYCLE_1)
	s_or_b32 s2, vcc_lo, s2
	s_and_saveexec_b32 s3, s2
	s_cbranch_execz .LBB494_38
; %bb.5:
	s_clause 0x1
	s_load_b128 s[4:7], s[0:1], 0x18
	s_load_b64 s[2:3], s[0:1], 0x28
	s_waitcnt lgkmcnt(0)
	s_cmp_eq_u64 s[4:5], 0
	s_cbranch_scc1 .LBB494_7
; %bb.6:
	s_ashr_i32 s9, s8, 31
	s_delay_alu instid0(SALU_CYCLE_1) | instskip(NEXT) | instid1(SALU_CYCLE_1)
	s_lshl_b64 s[8:9], s[8:9], 2
	s_add_u32 s4, s4, s8
	s_addc_u32 s5, s5, s9
	s_load_b32 s4, s[4:5], 0x0
	s_waitcnt lgkmcnt(0)
	s_sub_i32 s8, s4, s10
.LBB494_7:
	s_load_b32 s4, s[0:1], 0x4
	v_mul_u32_u24_e32 v5, 0x843, v0
	s_delay_alu instid0(VALU_DEP_1) | instskip(SKIP_2) | instid1(VALU_DEP_3)
	v_lshrrev_b32_e32 v7, 16, v5
	v_mov_b32_e32 v5, 0
	v_mov_b32_e32 v6, 0
	v_mul_lo_u16 v8, v7, 31
	s_delay_alu instid0(VALU_DEP_1)
	v_sub_nc_u16 v12, v0, v8
	s_waitcnt lgkmcnt(0)
	s_cmp_eq_u32 s4, 1
	s_cselect_b32 vcc_lo, -1, 0
	s_cmp_lg_u32 s4, 1
	s_cselect_b32 s11, -1, 0
	s_ashr_i32 s9, s8, 31
	s_delay_alu instid0(SALU_CYCLE_1) | instskip(NEXT) | instid1(SALU_CYCLE_1)
	s_lshl_b64 s[4:5], s[8:9], 2
	s_add_u32 s6, s6, s4
	s_addc_u32 s7, s7, s5
	s_add_u32 s9, s6, 4
	s_addc_u32 s12, s7, 0
	;; [unrolled: 2-line block ×3, first 2 shown]
	s_cmp_eq_u64 s[2:3], 0
	s_cselect_b32 s3, s12, s5
	s_cselect_b32 s2, s9, s4
	s_load_b32 s9, s[6:7], 0x0
	s_load_b32 s14, s[2:3], 0x0
	s_load_b64 s[2:3], s[0:1], 0x50
	s_waitcnt lgkmcnt(0)
	s_cmp_ge_i32 s9, s14
	s_cbranch_scc1 .LBB494_12
; %bb.8:
	s_clause 0x1
	s_load_b128 s[4:7], s[0:1], 0x30
	s_load_b64 s[12:13], s[0:1], 0x40
	v_and_b32_e32 v5, 0xffff, v7
	v_cmp_gt_u32_e64 s0, 0x3c1, v0
	v_and_b32_e32 v7, 0xffff, v12
	s_sub_i32 s9, s9, s10
	v_lshlrev_b32_e32 v9, 2, v0
	v_subrev_nc_u32_e32 v6, 31, v5
	s_sub_i32 s1, s14, s10
	s_mul_i32 s14, s9, 0xf04
	s_delay_alu instid0(VALU_DEP_1) | instskip(SKIP_3) | instid1(VALU_DEP_3)
	v_cndmask_b32_e64 v8, v6, v5, s0
	v_mov_b32_e32 v5, 0
	v_mov_b32_e32 v6, 0
	s_mul_hi_i32 s0, s9, 0xf04
	v_cndmask_b32_e32 v7, v7, v8, vcc_lo
	v_cmp_lt_u32_e32 vcc_lo, 0x3c0, v0
	s_waitcnt lgkmcnt(0)
	s_add_u32 s6, s6, s14
	s_addc_u32 s0, s7, s0
	v_add_co_u32 v8, s6, s6, v9
	s_delay_alu instid0(VALU_DEP_1)
	v_add_co_ci_u32_e64 v9, null, s0, 0, s6
	v_cndmask_b32_e64 v13, 0, 1, vcc_lo
	s_set_inst_prefetch_distance 0x1
	s_branch .LBB494_10
	.p2align	6
.LBB494_9:                              ;   in Loop: Header=BB494_10 Depth=1
	s_or_b32 exec_lo, exec_lo, s0
	s_add_i32 s9, s9, 1
	s_delay_alu instid0(SALU_CYCLE_1)
	s_cmp_lt_i32 s9, s1
	s_cbranch_scc0 .LBB494_12
.LBB494_10:                             ; =>This Inner Loop Header: Depth=1
	s_delay_alu instid0(VALU_DEP_1) | instskip(SKIP_1) | instid1(VALU_DEP_1)
	v_add_nc_u32_e32 v10, s9, v13
	s_mov_b32 s0, exec_lo
	v_cmpx_gt_i32_e64 s1, v10
	s_cbranch_execz .LBB494_9
; %bb.11:                               ;   in Loop: Header=BB494_10 Depth=1
	v_ashrrev_i32_e32 v11, 31, v10
	s_delay_alu instid0(VALU_DEP_1) | instskip(NEXT) | instid1(VALU_DEP_1)
	v_lshlrev_b64 v[10:11], 2, v[10:11]
	v_add_co_u32 v10, vcc_lo, s4, v10
	s_delay_alu instid0(VALU_DEP_2) | instskip(SKIP_4) | instid1(VALU_DEP_1)
	v_add_co_ci_u32_e32 v11, vcc_lo, s5, v11, vcc_lo
	global_load_b32 v10, v[10:11], off
	global_load_b32 v14, v[8:9], off
	s_waitcnt vmcnt(1)
	v_subrev_nc_u32_e32 v15, s10, v10
	v_mad_u64_u32 v[10:11], null, v15, 31, v[7:8]
	s_waitcnt vmcnt(0)
	v_cvt_f64_f32_e32 v[14:15], v14
	s_delay_alu instid0(VALU_DEP_2) | instskip(NEXT) | instid1(VALU_DEP_1)
	v_ashrrev_i32_e32 v11, 31, v10
	v_lshlrev_b64 v[10:11], 3, v[10:11]
	s_delay_alu instid0(VALU_DEP_1) | instskip(NEXT) | instid1(VALU_DEP_2)
	v_add_co_u32 v10, vcc_lo, s12, v10
	v_add_co_ci_u32_e32 v11, vcc_lo, s13, v11, vcc_lo
	v_add_co_u32 v8, vcc_lo, 0xf04, v8
	v_add_co_ci_u32_e32 v9, vcc_lo, 0, v9, vcc_lo
	global_load_b64 v[10:11], v[10:11], off
	s_waitcnt vmcnt(0)
	v_fma_f64 v[5:6], v[14:15], v[10:11], v[5:6]
	s_branch .LBB494_9
.LBB494_12:
	s_set_inst_prefetch_distance 0x2
	v_lshlrev_b32_e32 v7, 3, v0
	s_and_b32 vcc_lo, exec_lo, s11
	ds_store_b64 v7, v[5:6]
	s_waitcnt lgkmcnt(0)
	s_barrier
	buffer_gl0_inv
	s_cbranch_vccz .LBB494_24
; %bb.13:
	s_mov_b32 s0, exec_lo
	v_cmpx_gt_u16_e32 15, v12
	s_cbranch_execz .LBB494_15
; %bb.14:
	ds_load_2addr_b64 v[8:11], v7 offset1:16
	s_waitcnt lgkmcnt(0)
	v_add_f64 v[8:9], v[10:11], v[8:9]
	ds_store_b64 v7, v[8:9]
.LBB494_15:
	s_or_b32 exec_lo, exec_lo, s0
	s_delay_alu instid0(SALU_CYCLE_1)
	s_mov_b32 s0, exec_lo
	s_waitcnt lgkmcnt(0)
	s_barrier
	buffer_gl0_inv
	v_cmpx_gt_u16_e32 8, v12
	s_cbranch_execz .LBB494_17
; %bb.16:
	ds_load_2addr_b64 v[8:11], v7 offset1:8
	s_waitcnt lgkmcnt(0)
	v_add_f64 v[8:9], v[10:11], v[8:9]
	ds_store_b64 v7, v[8:9]
.LBB494_17:
	s_or_b32 exec_lo, exec_lo, s0
	s_delay_alu instid0(SALU_CYCLE_1)
	s_mov_b32 s0, exec_lo
	s_waitcnt lgkmcnt(0)
	s_barrier
	buffer_gl0_inv
	;; [unrolled: 14-line block ×3, first 2 shown]
	v_cmpx_gt_u16_e32 2, v12
	s_cbranch_execz .LBB494_21
; %bb.20:
	ds_load_2addr_b64 v[8:11], v7 offset1:2
	s_waitcnt lgkmcnt(0)
	v_add_f64 v[8:9], v[10:11], v[8:9]
	ds_store_b64 v7, v[8:9]
.LBB494_21:
	s_or_b32 exec_lo, exec_lo, s0
	s_mov_b32 s1, 0
	s_mov_b32 s0, 0
	s_mov_b32 s4, exec_lo
	s_waitcnt lgkmcnt(0)
	s_barrier
	buffer_gl0_inv
                                        ; implicit-def: $vgpr8
                                        ; implicit-def: $vgpr9
	v_cmpx_gt_u32_e32 31, v0
	s_xor_b32 s4, exec_lo, s4
; %bb.22:
	v_mad_u32_u24 v8, v0, 31, 1
	v_mad_u32_u24 v9, 0xf0, v0, v7
	s_mov_b32 s0, exec_lo
; %bb.23:
	s_or_b32 exec_lo, exec_lo, s4
	s_delay_alu instid0(SALU_CYCLE_1)
	s_and_b32 vcc_lo, exec_lo, s1
	s_cbranch_vccnz .LBB494_25
	s_branch .LBB494_36
.LBB494_24:
	s_mov_b32 s0, 0
                                        ; implicit-def: $vgpr8
                                        ; implicit-def: $vgpr9
	s_cbranch_execz .LBB494_36
.LBB494_25:
	s_mov_b32 s1, exec_lo
	v_cmpx_gt_u32_e32 0x1d1, v0
	s_cbranch_execz .LBB494_27
; %bb.26:
	ds_load_b64 v[8:9], v7 offset:3968
	ds_load_b64 v[10:11], v7
	s_waitcnt lgkmcnt(0)
	v_add_f64 v[8:9], v[8:9], v[10:11]
	ds_store_b64 v7, v[8:9]
.LBB494_27:
	s_or_b32 exec_lo, exec_lo, s1
	s_delay_alu instid0(SALU_CYCLE_1)
	s_mov_b32 s1, exec_lo
	s_waitcnt lgkmcnt(0)
	s_barrier
	buffer_gl0_inv
	v_cmpx_gt_u32_e32 0xf8, v0
	s_cbranch_execz .LBB494_29
; %bb.28:
	ds_load_2addr_b64 v[8:11], v7 offset1:248
	s_waitcnt lgkmcnt(0)
	v_add_f64 v[8:9], v[10:11], v[8:9]
	ds_store_b64 v7, v[8:9]
.LBB494_29:
	s_or_b32 exec_lo, exec_lo, s1
	s_delay_alu instid0(SALU_CYCLE_1)
	s_mov_b32 s1, exec_lo
	s_waitcnt lgkmcnt(0)
	s_barrier
	buffer_gl0_inv
	v_cmpx_gt_u32_e32 0x7c, v0
	s_cbranch_execz .LBB494_31
; %bb.30:
	ds_load_2addr_b64 v[8:11], v7 offset1:124
	s_waitcnt lgkmcnt(0)
	v_add_f64 v[8:9], v[10:11], v[8:9]
	ds_store_b64 v7, v[8:9]
.LBB494_31:
	;; [unrolled: 14-line block ×3, first 2 shown]
	s_or_b32 exec_lo, exec_lo, s1
	s_delay_alu instid0(SALU_CYCLE_1)
	s_mov_b32 s1, exec_lo
	s_waitcnt lgkmcnt(0)
	buffer_gl0_inv
                                        ; implicit-def: $vgpr8
	v_cmpx_gt_u32_e32 31, v0
; %bb.34:
	v_add_nc_u32_e32 v8, 31, v0
	s_or_b32 s0, s0, exec_lo
                                        ; implicit-def: $vgpr5_vgpr6
; %bb.35:
	s_or_b32 exec_lo, exec_lo, s1
	v_mov_b32_e32 v9, v7
.LBB494_36:
	s_and_saveexec_b32 s1, s0
	s_cbranch_execnz .LBB494_39
; %bb.37:
	s_or_b32 exec_lo, exec_lo, s1
	v_cmp_gt_u32_e32 vcc_lo, 31, v0
	s_and_b32 exec_lo, exec_lo, vcc_lo
	s_cbranch_execnz .LBB494_40
.LBB494_38:
	s_nop 0
	s_sendmsg sendmsg(MSG_DEALLOC_VGPRS)
	s_endpgm
.LBB494_39:
	v_lshlrev_b32_e32 v7, 3, v8
	ds_load_b64 v[5:6], v9
	ds_load_b64 v[7:8], v7
	s_waitcnt lgkmcnt(0)
	v_add_f64 v[5:6], v[5:6], v[7:8]
	s_or_b32 exec_lo, exec_lo, s1
	v_cmp_gt_u32_e32 vcc_lo, 31, v0
	s_and_b32 exec_lo, exec_lo, vcc_lo
	s_cbranch_execz .LBB494_38
.LBB494_40:
	s_delay_alu instid0(VALU_DEP_2)
	v_mul_f64 v[3:4], v[3:4], v[5:6]
	s_mov_b32 s0, exec_lo
	v_cmpx_eq_f64_e32 0, v[1:2]
	s_xor_b32 s0, exec_lo, s0
	s_cbranch_execz .LBB494_42
; %bb.41:
	v_mad_u64_u32 v[1:2], null, s8, 31, v[0:1]
	v_mov_b32_e32 v2, 0
	s_delay_alu instid0(VALU_DEP_1) | instskip(NEXT) | instid1(VALU_DEP_1)
	v_lshlrev_b64 v[0:1], 3, v[1:2]
	v_add_co_u32 v0, vcc_lo, s2, v0
	s_delay_alu instid0(VALU_DEP_2)
	v_add_co_ci_u32_e32 v1, vcc_lo, s3, v1, vcc_lo
	global_store_b64 v[0:1], v[3:4], off
                                        ; implicit-def: $vgpr0
                                        ; implicit-def: $vgpr1_vgpr2
                                        ; implicit-def: $vgpr3_vgpr4
.LBB494_42:
	s_and_not1_saveexec_b32 s0, s0
	s_cbranch_execz .LBB494_38
; %bb.43:
	v_mad_u64_u32 v[5:6], null, s8, 31, v[0:1]
	v_mov_b32_e32 v6, 0
	s_delay_alu instid0(VALU_DEP_1) | instskip(NEXT) | instid1(VALU_DEP_1)
	v_lshlrev_b64 v[5:6], 3, v[5:6]
	v_add_co_u32 v5, vcc_lo, s2, v5
	s_delay_alu instid0(VALU_DEP_2)
	v_add_co_ci_u32_e32 v6, vcc_lo, s3, v6, vcc_lo
	global_load_b64 v[7:8], v[5:6], off
	s_waitcnt vmcnt(0)
	v_fma_f64 v[0:1], v[1:2], v[7:8], v[3:4]
	global_store_b64 v[5:6], v[0:1], off
	s_nop 0
	s_sendmsg sendmsg(MSG_DEALLOC_VGPRS)
	s_endpgm
	.section	.rodata,"a",@progbits
	.p2align	6, 0x0
	.amdhsa_kernel _ZN9rocsparseL20bsrxmvn_17_32_kernelILj31EdiifddEEvT2_20rocsparse_direction_NS_24const_host_device_scalarIT0_EES1_PKS1_PKT1_SA_S7_PKT3_PKT4_S5_PT5_21rocsparse_index_base_b
		.amdhsa_group_segment_fixed_size 7688
		.amdhsa_private_segment_fixed_size 0
		.amdhsa_kernarg_size 96
		.amdhsa_user_sgpr_count 15
		.amdhsa_user_sgpr_dispatch_ptr 0
		.amdhsa_user_sgpr_queue_ptr 0
		.amdhsa_user_sgpr_kernarg_segment_ptr 1
		.amdhsa_user_sgpr_dispatch_id 0
		.amdhsa_user_sgpr_private_segment_size 0
		.amdhsa_wavefront_size32 1
		.amdhsa_uses_dynamic_stack 0
		.amdhsa_enable_private_segment 0
		.amdhsa_system_sgpr_workgroup_id_x 1
		.amdhsa_system_sgpr_workgroup_id_y 0
		.amdhsa_system_sgpr_workgroup_id_z 0
		.amdhsa_system_sgpr_workgroup_info 0
		.amdhsa_system_vgpr_workitem_id 0
		.amdhsa_next_free_vgpr 16
		.amdhsa_next_free_sgpr 16
		.amdhsa_reserve_vcc 1
		.amdhsa_float_round_mode_32 0
		.amdhsa_float_round_mode_16_64 0
		.amdhsa_float_denorm_mode_32 3
		.amdhsa_float_denorm_mode_16_64 3
		.amdhsa_dx10_clamp 1
		.amdhsa_ieee_mode 1
		.amdhsa_fp16_overflow 0
		.amdhsa_workgroup_processor_mode 1
		.amdhsa_memory_ordered 1
		.amdhsa_forward_progress 0
		.amdhsa_shared_vgpr_count 0
		.amdhsa_exception_fp_ieee_invalid_op 0
		.amdhsa_exception_fp_denorm_src 0
		.amdhsa_exception_fp_ieee_div_zero 0
		.amdhsa_exception_fp_ieee_overflow 0
		.amdhsa_exception_fp_ieee_underflow 0
		.amdhsa_exception_fp_ieee_inexact 0
		.amdhsa_exception_int_div_zero 0
	.end_amdhsa_kernel
	.section	.text._ZN9rocsparseL20bsrxmvn_17_32_kernelILj31EdiifddEEvT2_20rocsparse_direction_NS_24const_host_device_scalarIT0_EES1_PKS1_PKT1_SA_S7_PKT3_PKT4_S5_PT5_21rocsparse_index_base_b,"axG",@progbits,_ZN9rocsparseL20bsrxmvn_17_32_kernelILj31EdiifddEEvT2_20rocsparse_direction_NS_24const_host_device_scalarIT0_EES1_PKS1_PKT1_SA_S7_PKT3_PKT4_S5_PT5_21rocsparse_index_base_b,comdat
.Lfunc_end494:
	.size	_ZN9rocsparseL20bsrxmvn_17_32_kernelILj31EdiifddEEvT2_20rocsparse_direction_NS_24const_host_device_scalarIT0_EES1_PKS1_PKT1_SA_S7_PKT3_PKT4_S5_PT5_21rocsparse_index_base_b, .Lfunc_end494-_ZN9rocsparseL20bsrxmvn_17_32_kernelILj31EdiifddEEvT2_20rocsparse_direction_NS_24const_host_device_scalarIT0_EES1_PKS1_PKT1_SA_S7_PKT3_PKT4_S5_PT5_21rocsparse_index_base_b
                                        ; -- End function
	.section	.AMDGPU.csdata,"",@progbits
; Kernel info:
; codeLenInByte = 1628
; NumSgprs: 18
; NumVgprs: 16
; ScratchSize: 0
; MemoryBound: 0
; FloatMode: 240
; IeeeMode: 1
; LDSByteSize: 7688 bytes/workgroup (compile time only)
; SGPRBlocks: 2
; VGPRBlocks: 1
; NumSGPRsForWavesPerEU: 18
; NumVGPRsForWavesPerEU: 16
; Occupancy: 16
; WaveLimiterHint : 1
; COMPUTE_PGM_RSRC2:SCRATCH_EN: 0
; COMPUTE_PGM_RSRC2:USER_SGPR: 15
; COMPUTE_PGM_RSRC2:TRAP_HANDLER: 0
; COMPUTE_PGM_RSRC2:TGID_X_EN: 1
; COMPUTE_PGM_RSRC2:TGID_Y_EN: 0
; COMPUTE_PGM_RSRC2:TGID_Z_EN: 0
; COMPUTE_PGM_RSRC2:TIDIG_COMP_CNT: 0
	.section	.text._ZN9rocsparseL20bsrxmvn_17_32_kernelILj32EdiifddEEvT2_20rocsparse_direction_NS_24const_host_device_scalarIT0_EES1_PKS1_PKT1_SA_S7_PKT3_PKT4_S5_PT5_21rocsparse_index_base_b,"axG",@progbits,_ZN9rocsparseL20bsrxmvn_17_32_kernelILj32EdiifddEEvT2_20rocsparse_direction_NS_24const_host_device_scalarIT0_EES1_PKS1_PKT1_SA_S7_PKT3_PKT4_S5_PT5_21rocsparse_index_base_b,comdat
	.globl	_ZN9rocsparseL20bsrxmvn_17_32_kernelILj32EdiifddEEvT2_20rocsparse_direction_NS_24const_host_device_scalarIT0_EES1_PKS1_PKT1_SA_S7_PKT3_PKT4_S5_PT5_21rocsparse_index_base_b ; -- Begin function _ZN9rocsparseL20bsrxmvn_17_32_kernelILj32EdiifddEEvT2_20rocsparse_direction_NS_24const_host_device_scalarIT0_EES1_PKS1_PKT1_SA_S7_PKT3_PKT4_S5_PT5_21rocsparse_index_base_b
	.p2align	8
	.type	_ZN9rocsparseL20bsrxmvn_17_32_kernelILj32EdiifddEEvT2_20rocsparse_direction_NS_24const_host_device_scalarIT0_EES1_PKS1_PKT1_SA_S7_PKT3_PKT4_S5_PT5_21rocsparse_index_base_b,@function
_ZN9rocsparseL20bsrxmvn_17_32_kernelILj32EdiifddEEvT2_20rocsparse_direction_NS_24const_host_device_scalarIT0_EES1_PKS1_PKT1_SA_S7_PKT3_PKT4_S5_PT5_21rocsparse_index_base_b: ; @_ZN9rocsparseL20bsrxmvn_17_32_kernelILj32EdiifddEEvT2_20rocsparse_direction_NS_24const_host_device_scalarIT0_EES1_PKS1_PKT1_SA_S7_PKT3_PKT4_S5_PT5_21rocsparse_index_base_b
; %bb.0:
	s_clause 0x2
	s_load_b64 s[10:11], s[0:1], 0x58
	s_load_b64 s[4:5], s[0:1], 0x8
	;; [unrolled: 1-line block ×3, first 2 shown]
	s_mov_b32 s8, s15
	s_waitcnt lgkmcnt(0)
	s_bitcmp1_b32 s11, 0
	v_dual_mov_b32 v3, s4 :: v_dual_mov_b32 v4, s5
	s_cselect_b32 s6, -1, 0
	s_delay_alu instid0(SALU_CYCLE_1)
	s_and_b32 vcc_lo, exec_lo, s6
	s_xor_b32 s6, s6, -1
	s_cbranch_vccnz .LBB495_2
; %bb.1:
	v_dual_mov_b32 v1, s4 :: v_dual_mov_b32 v2, s5
	flat_load_b64 v[3:4], v[1:2]
.LBB495_2:
	v_dual_mov_b32 v1, s2 :: v_dual_mov_b32 v2, s3
	s_and_not1_b32 vcc_lo, exec_lo, s6
	s_cbranch_vccnz .LBB495_4
; %bb.3:
	v_dual_mov_b32 v1, s2 :: v_dual_mov_b32 v2, s3
	flat_load_b64 v[1:2], v[1:2]
.LBB495_4:
	s_waitcnt vmcnt(0) lgkmcnt(0)
	v_cmp_neq_f64_e32 vcc_lo, 0, v[3:4]
	v_cmp_neq_f64_e64 s2, 1.0, v[1:2]
	s_delay_alu instid0(VALU_DEP_1) | instskip(NEXT) | instid1(SALU_CYCLE_1)
	s_or_b32 s2, vcc_lo, s2
	s_and_saveexec_b32 s3, s2
	s_cbranch_execz .LBB495_36
; %bb.5:
	s_clause 0x1
	s_load_b128 s[4:7], s[0:1], 0x18
	s_load_b64 s[2:3], s[0:1], 0x28
	s_waitcnt lgkmcnt(0)
	s_cmp_eq_u64 s[4:5], 0
	s_cbranch_scc1 .LBB495_7
; %bb.6:
	s_ashr_i32 s9, s8, 31
	s_delay_alu instid0(SALU_CYCLE_1) | instskip(NEXT) | instid1(SALU_CYCLE_1)
	s_lshl_b64 s[8:9], s[8:9], 2
	s_add_u32 s4, s4, s8
	s_addc_u32 s5, s5, s9
	s_load_b32 s4, s[4:5], 0x0
	s_waitcnt lgkmcnt(0)
	s_sub_i32 s8, s4, s10
.LBB495_7:
	s_load_b32 s4, s[0:1], 0x4
	v_mov_b32_e32 v5, 0
	v_dual_mov_b32 v6, 0 :: v_dual_and_b32 v9, 31, v0
	s_waitcnt lgkmcnt(0)
	s_cmp_eq_u32 s4, 1
	s_cselect_b32 vcc_lo, -1, 0
	s_cmp_lg_u32 s4, 1
	s_cselect_b32 s11, -1, 0
	s_ashr_i32 s9, s8, 31
	s_delay_alu instid0(SALU_CYCLE_1) | instskip(NEXT) | instid1(SALU_CYCLE_1)
	s_lshl_b64 s[4:5], s[8:9], 2
	s_add_u32 s6, s6, s4
	s_addc_u32 s7, s7, s5
	s_add_u32 s9, s6, 4
	s_addc_u32 s12, s7, 0
	;; [unrolled: 2-line block ×3, first 2 shown]
	s_cmp_eq_u64 s[2:3], 0
	s_cselect_b32 s3, s12, s5
	s_cselect_b32 s2, s9, s4
	s_load_b32 s4, s[6:7], 0x0
	s_load_b32 s6, s[2:3], 0x0
	s_load_b64 s[2:3], s[0:1], 0x50
	s_waitcnt lgkmcnt(0)
	s_cmp_ge_i32 s4, s6
	s_cbranch_scc1 .LBB495_10
; %bb.8:
	s_clause 0x1
	s_load_b128 s[12:15], s[0:1], 0x30
	s_load_b64 s[0:1], s[0:1], 0x40
	s_sub_i32 s4, s4, s10
	v_lshrrev_b32_e32 v7, 5, v0
	s_ashr_i32 s5, s4, 31
	v_mov_b32_e32 v5, 0
	s_lshl_b64 s[16:17], s[4:5], 12
	s_delay_alu instid0(SALU_CYCLE_1) | instskip(SKIP_3) | instid1(VALU_DEP_2)
	v_dual_mov_b32 v6, 0 :: v_dual_mov_b32 v11, s17
	v_lshl_or_b32 v8, v0, 2, s16
	v_cndmask_b32_e32 v10, v9, v7, vcc_lo
	s_waitcnt lgkmcnt(0)
	v_add_co_u32 v7, vcc_lo, s14, v8
	v_add_co_ci_u32_e32 v8, vcc_lo, s15, v11, vcc_lo
	s_lshl_b64 s[14:15], s[4:5], 2
	s_sub_i32 s5, s6, s10
	s_add_u32 s6, s12, s14
	s_addc_u32 s7, s13, s15
	.p2align	6
.LBB495_9:                              ; =>This Inner Loop Header: Depth=1
	s_load_b32 s9, s[6:7], 0x0
	global_load_b32 v13, v[7:8], off
	s_add_i32 s4, s4, 1
	s_waitcnt lgkmcnt(0)
	s_sub_i32 s9, s9, s10
	s_add_u32 s6, s6, 4
	v_lshl_or_b32 v11, s9, 5, v10
	s_addc_u32 s7, s7, 0
	s_cmp_lt_i32 s4, s5
	s_delay_alu instid0(VALU_DEP_1) | instskip(NEXT) | instid1(VALU_DEP_1)
	v_ashrrev_i32_e32 v12, 31, v11
	v_lshlrev_b64 v[11:12], 3, v[11:12]
	s_delay_alu instid0(VALU_DEP_1) | instskip(NEXT) | instid1(VALU_DEP_2)
	v_add_co_u32 v11, vcc_lo, s0, v11
	v_add_co_ci_u32_e32 v12, vcc_lo, s1, v12, vcc_lo
	v_add_co_u32 v7, vcc_lo, 0x1000, v7
	v_add_co_ci_u32_e32 v8, vcc_lo, 0, v8, vcc_lo
	global_load_b64 v[11:12], v[11:12], off
	s_waitcnt vmcnt(1)
	v_cvt_f64_f32_e32 v[13:14], v13
	s_waitcnt vmcnt(0)
	s_delay_alu instid0(VALU_DEP_1)
	v_fma_f64 v[5:6], v[13:14], v[11:12], v[5:6]
	s_cbranch_scc1 .LBB495_9
.LBB495_10:
	v_lshlrev_b32_e32 v7, 3, v0
	s_and_b32 vcc_lo, exec_lo, s11
	ds_store_b64 v7, v[5:6]
	s_waitcnt lgkmcnt(0)
	s_barrier
	buffer_gl0_inv
	s_cbranch_vccz .LBB495_22
; %bb.11:
	s_mov_b32 s0, exec_lo
	v_cmpx_gt_u32_e32 16, v9
	s_cbranch_execz .LBB495_13
; %bb.12:
	ds_load_2addr_b64 v[10:13], v7 offset1:16
	s_waitcnt lgkmcnt(0)
	v_add_f64 v[10:11], v[12:13], v[10:11]
	ds_store_b64 v7, v[10:11]
.LBB495_13:
	s_or_b32 exec_lo, exec_lo, s0
	s_delay_alu instid0(SALU_CYCLE_1)
	s_mov_b32 s0, exec_lo
	s_waitcnt lgkmcnt(0)
	s_barrier
	buffer_gl0_inv
	v_cmpx_gt_u32_e32 8, v9
	s_cbranch_execz .LBB495_15
; %bb.14:
	ds_load_2addr_b64 v[10:13], v7 offset1:8
	s_waitcnt lgkmcnt(0)
	v_add_f64 v[10:11], v[12:13], v[10:11]
	ds_store_b64 v7, v[10:11]
.LBB495_15:
	s_or_b32 exec_lo, exec_lo, s0
	s_delay_alu instid0(SALU_CYCLE_1)
	s_mov_b32 s0, exec_lo
	s_waitcnt lgkmcnt(0)
	s_barrier
	buffer_gl0_inv
	;; [unrolled: 14-line block ×3, first 2 shown]
	v_cmpx_gt_u32_e32 2, v9
	s_cbranch_execz .LBB495_19
; %bb.18:
	ds_load_2addr_b64 v[8:11], v7 offset1:2
	s_waitcnt lgkmcnt(0)
	v_add_f64 v[8:9], v[10:11], v[8:9]
	ds_store_b64 v7, v[8:9]
.LBB495_19:
	s_or_b32 exec_lo, exec_lo, s0
	s_mov_b32 s1, 0
	s_mov_b32 s0, 0
	s_mov_b32 s4, exec_lo
	s_waitcnt lgkmcnt(0)
	s_barrier
	buffer_gl0_inv
                                        ; implicit-def: $vgpr8
                                        ; implicit-def: $vgpr9
	v_cmpx_gt_u32_e32 32, v0
	s_xor_b32 s4, exec_lo, s4
; %bb.20:
	v_lshl_or_b32 v8, v0, 5, 1
	v_mad_u32_u24 v9, 0xf8, v0, v7
	s_mov_b32 s0, exec_lo
; %bb.21:
	s_or_b32 exec_lo, exec_lo, s4
	s_delay_alu instid0(SALU_CYCLE_1)
	s_and_b32 vcc_lo, exec_lo, s1
	s_cbranch_vccnz .LBB495_23
	s_branch .LBB495_34
.LBB495_22:
	s_mov_b32 s0, 0
                                        ; implicit-def: $vgpr8
                                        ; implicit-def: $vgpr9
	s_cbranch_execz .LBB495_34
.LBB495_23:
	s_mov_b32 s1, exec_lo
	v_cmpx_gt_u32_e32 0x200, v0
	s_cbranch_execz .LBB495_25
; %bb.24:
	ds_load_2addr_stride64_b64 v[8:11], v7 offset1:8
	s_waitcnt lgkmcnt(0)
	v_add_f64 v[8:9], v[10:11], v[8:9]
	ds_store_b64 v7, v[8:9]
.LBB495_25:
	s_or_b32 exec_lo, exec_lo, s1
	s_delay_alu instid0(SALU_CYCLE_1)
	s_mov_b32 s1, exec_lo
	s_waitcnt lgkmcnt(0)
	s_barrier
	buffer_gl0_inv
	v_cmpx_gt_u32_e32 0x100, v0
	s_cbranch_execz .LBB495_27
; %bb.26:
	ds_load_2addr_stride64_b64 v[8:11], v7 offset1:4
	s_waitcnt lgkmcnt(0)
	v_add_f64 v[8:9], v[10:11], v[8:9]
	ds_store_b64 v7, v[8:9]
.LBB495_27:
	s_or_b32 exec_lo, exec_lo, s1
	s_delay_alu instid0(SALU_CYCLE_1)
	s_mov_b32 s1, exec_lo
	s_waitcnt lgkmcnt(0)
	s_barrier
	buffer_gl0_inv
	;; [unrolled: 14-line block ×3, first 2 shown]
	v_cmpx_gt_u32_e32 64, v0
	s_cbranch_execz .LBB495_31
; %bb.30:
	ds_load_2addr_stride64_b64 v[8:11], v7 offset1:1
	s_waitcnt lgkmcnt(0)
	v_add_f64 v[8:9], v[10:11], v[8:9]
	ds_store_b64 v7, v[8:9]
.LBB495_31:
	s_or_b32 exec_lo, exec_lo, s1
	s_delay_alu instid0(SALU_CYCLE_1)
	s_mov_b32 s1, exec_lo
	s_waitcnt lgkmcnt(0)
	buffer_gl0_inv
                                        ; implicit-def: $vgpr8
	v_cmpx_gt_u32_e32 32, v0
; %bb.32:
	v_or_b32_e32 v8, 32, v0
	s_or_b32 s0, s0, exec_lo
                                        ; implicit-def: $vgpr5_vgpr6
; %bb.33:
	s_or_b32 exec_lo, exec_lo, s1
	v_mov_b32_e32 v9, v7
.LBB495_34:
	s_and_saveexec_b32 s1, s0
	s_cbranch_execnz .LBB495_37
; %bb.35:
	s_or_b32 exec_lo, exec_lo, s1
	v_cmp_gt_u32_e32 vcc_lo, 32, v0
	s_and_b32 exec_lo, exec_lo, vcc_lo
	s_cbranch_execnz .LBB495_38
.LBB495_36:
	s_nop 0
	s_sendmsg sendmsg(MSG_DEALLOC_VGPRS)
	s_endpgm
.LBB495_37:
	v_lshlrev_b32_e32 v7, 3, v8
	ds_load_b64 v[5:6], v9
	ds_load_b64 v[7:8], v7
	s_waitcnt lgkmcnt(0)
	v_add_f64 v[5:6], v[5:6], v[7:8]
	s_or_b32 exec_lo, exec_lo, s1
	v_cmp_gt_u32_e32 vcc_lo, 32, v0
	s_and_b32 exec_lo, exec_lo, vcc_lo
	s_cbranch_execz .LBB495_36
.LBB495_38:
	s_delay_alu instid0(VALU_DEP_2)
	v_mul_f64 v[3:4], v[3:4], v[5:6]
	v_lshl_or_b32 v5, s8, 5, v0
	s_mov_b32 s0, exec_lo
	v_cmpx_eq_f64_e32 0, v[1:2]
	s_xor_b32 s0, exec_lo, s0
	s_cbranch_execz .LBB495_40
; %bb.39:
	v_mov_b32_e32 v6, 0
	s_delay_alu instid0(VALU_DEP_1) | instskip(NEXT) | instid1(VALU_DEP_1)
	v_lshlrev_b64 v[0:1], 3, v[5:6]
                                        ; implicit-def: $vgpr5
	v_add_co_u32 v0, vcc_lo, s2, v0
	s_delay_alu instid0(VALU_DEP_2)
	v_add_co_ci_u32_e32 v1, vcc_lo, s3, v1, vcc_lo
	global_store_b64 v[0:1], v[3:4], off
                                        ; implicit-def: $vgpr1_vgpr2
                                        ; implicit-def: $vgpr3_vgpr4
.LBB495_40:
	s_and_not1_saveexec_b32 s0, s0
	s_cbranch_execz .LBB495_36
; %bb.41:
	v_mov_b32_e32 v6, 0
	s_delay_alu instid0(VALU_DEP_1) | instskip(NEXT) | instid1(VALU_DEP_1)
	v_lshlrev_b64 v[5:6], 3, v[5:6]
	v_add_co_u32 v5, vcc_lo, s2, v5
	s_delay_alu instid0(VALU_DEP_2)
	v_add_co_ci_u32_e32 v6, vcc_lo, s3, v6, vcc_lo
	global_load_b64 v[7:8], v[5:6], off
	s_waitcnt vmcnt(0)
	v_fma_f64 v[0:1], v[1:2], v[7:8], v[3:4]
	global_store_b64 v[5:6], v[0:1], off
	s_nop 0
	s_sendmsg sendmsg(MSG_DEALLOC_VGPRS)
	s_endpgm
	.section	.rodata,"a",@progbits
	.p2align	6, 0x0
	.amdhsa_kernel _ZN9rocsparseL20bsrxmvn_17_32_kernelILj32EdiifddEEvT2_20rocsparse_direction_NS_24const_host_device_scalarIT0_EES1_PKS1_PKT1_SA_S7_PKT3_PKT4_S5_PT5_21rocsparse_index_base_b
		.amdhsa_group_segment_fixed_size 8192
		.amdhsa_private_segment_fixed_size 0
		.amdhsa_kernarg_size 96
		.amdhsa_user_sgpr_count 15
		.amdhsa_user_sgpr_dispatch_ptr 0
		.amdhsa_user_sgpr_queue_ptr 0
		.amdhsa_user_sgpr_kernarg_segment_ptr 1
		.amdhsa_user_sgpr_dispatch_id 0
		.amdhsa_user_sgpr_private_segment_size 0
		.amdhsa_wavefront_size32 1
		.amdhsa_uses_dynamic_stack 0
		.amdhsa_enable_private_segment 0
		.amdhsa_system_sgpr_workgroup_id_x 1
		.amdhsa_system_sgpr_workgroup_id_y 0
		.amdhsa_system_sgpr_workgroup_id_z 0
		.amdhsa_system_sgpr_workgroup_info 0
		.amdhsa_system_vgpr_workitem_id 0
		.amdhsa_next_free_vgpr 15
		.amdhsa_next_free_sgpr 18
		.amdhsa_reserve_vcc 1
		.amdhsa_float_round_mode_32 0
		.amdhsa_float_round_mode_16_64 0
		.amdhsa_float_denorm_mode_32 3
		.amdhsa_float_denorm_mode_16_64 3
		.amdhsa_dx10_clamp 1
		.amdhsa_ieee_mode 1
		.amdhsa_fp16_overflow 0
		.amdhsa_workgroup_processor_mode 1
		.amdhsa_memory_ordered 1
		.amdhsa_forward_progress 0
		.amdhsa_shared_vgpr_count 0
		.amdhsa_exception_fp_ieee_invalid_op 0
		.amdhsa_exception_fp_denorm_src 0
		.amdhsa_exception_fp_ieee_div_zero 0
		.amdhsa_exception_fp_ieee_overflow 0
		.amdhsa_exception_fp_ieee_underflow 0
		.amdhsa_exception_fp_ieee_inexact 0
		.amdhsa_exception_int_div_zero 0
	.end_amdhsa_kernel
	.section	.text._ZN9rocsparseL20bsrxmvn_17_32_kernelILj32EdiifddEEvT2_20rocsparse_direction_NS_24const_host_device_scalarIT0_EES1_PKS1_PKT1_SA_S7_PKT3_PKT4_S5_PT5_21rocsparse_index_base_b,"axG",@progbits,_ZN9rocsparseL20bsrxmvn_17_32_kernelILj32EdiifddEEvT2_20rocsparse_direction_NS_24const_host_device_scalarIT0_EES1_PKS1_PKT1_SA_S7_PKT3_PKT4_S5_PT5_21rocsparse_index_base_b,comdat
.Lfunc_end495:
	.size	_ZN9rocsparseL20bsrxmvn_17_32_kernelILj32EdiifddEEvT2_20rocsparse_direction_NS_24const_host_device_scalarIT0_EES1_PKS1_PKT1_SA_S7_PKT3_PKT4_S5_PT5_21rocsparse_index_base_b, .Lfunc_end495-_ZN9rocsparseL20bsrxmvn_17_32_kernelILj32EdiifddEEvT2_20rocsparse_direction_NS_24const_host_device_scalarIT0_EES1_PKS1_PKT1_SA_S7_PKT3_PKT4_S5_PT5_21rocsparse_index_base_b
                                        ; -- End function
	.section	.AMDGPU.csdata,"",@progbits
; Kernel info:
; codeLenInByte = 1456
; NumSgprs: 20
; NumVgprs: 15
; ScratchSize: 0
; MemoryBound: 0
; FloatMode: 240
; IeeeMode: 1
; LDSByteSize: 8192 bytes/workgroup (compile time only)
; SGPRBlocks: 2
; VGPRBlocks: 1
; NumSGPRsForWavesPerEU: 20
; NumVGPRsForWavesPerEU: 15
; Occupancy: 16
; WaveLimiterHint : 1
; COMPUTE_PGM_RSRC2:SCRATCH_EN: 0
; COMPUTE_PGM_RSRC2:USER_SGPR: 15
; COMPUTE_PGM_RSRC2:TRAP_HANDLER: 0
; COMPUTE_PGM_RSRC2:TGID_X_EN: 1
; COMPUTE_PGM_RSRC2:TGID_Y_EN: 0
; COMPUTE_PGM_RSRC2:TGID_Z_EN: 0
; COMPUTE_PGM_RSRC2:TIDIG_COMP_CNT: 0
	.section	.text._ZN9rocsparseL20bsrxmvn_17_32_kernelILj17EdlifddEEvT2_20rocsparse_direction_NS_24const_host_device_scalarIT0_EES1_PKS1_PKT1_SA_S7_PKT3_PKT4_S5_PT5_21rocsparse_index_base_b,"axG",@progbits,_ZN9rocsparseL20bsrxmvn_17_32_kernelILj17EdlifddEEvT2_20rocsparse_direction_NS_24const_host_device_scalarIT0_EES1_PKS1_PKT1_SA_S7_PKT3_PKT4_S5_PT5_21rocsparse_index_base_b,comdat
	.globl	_ZN9rocsparseL20bsrxmvn_17_32_kernelILj17EdlifddEEvT2_20rocsparse_direction_NS_24const_host_device_scalarIT0_EES1_PKS1_PKT1_SA_S7_PKT3_PKT4_S5_PT5_21rocsparse_index_base_b ; -- Begin function _ZN9rocsparseL20bsrxmvn_17_32_kernelILj17EdlifddEEvT2_20rocsparse_direction_NS_24const_host_device_scalarIT0_EES1_PKS1_PKT1_SA_S7_PKT3_PKT4_S5_PT5_21rocsparse_index_base_b
	.p2align	8
	.type	_ZN9rocsparseL20bsrxmvn_17_32_kernelILj17EdlifddEEvT2_20rocsparse_direction_NS_24const_host_device_scalarIT0_EES1_PKS1_PKT1_SA_S7_PKT3_PKT4_S5_PT5_21rocsparse_index_base_b,@function
_ZN9rocsparseL20bsrxmvn_17_32_kernelILj17EdlifddEEvT2_20rocsparse_direction_NS_24const_host_device_scalarIT0_EES1_PKS1_PKT1_SA_S7_PKT3_PKT4_S5_PT5_21rocsparse_index_base_b: ; @_ZN9rocsparseL20bsrxmvn_17_32_kernelILj17EdlifddEEvT2_20rocsparse_direction_NS_24const_host_device_scalarIT0_EES1_PKS1_PKT1_SA_S7_PKT3_PKT4_S5_PT5_21rocsparse_index_base_b
; %bb.0:
	s_clause 0x2
	s_load_b64 s[12:13], s[0:1], 0x58
	s_load_b64 s[4:5], s[0:1], 0x8
	;; [unrolled: 1-line block ×3, first 2 shown]
	s_mov_b32 s8, s15
	s_waitcnt lgkmcnt(0)
	s_bitcmp1_b32 s13, 0
	v_dual_mov_b32 v3, s4 :: v_dual_mov_b32 v4, s5
	s_cselect_b32 s6, -1, 0
	s_delay_alu instid0(SALU_CYCLE_1)
	s_and_b32 vcc_lo, exec_lo, s6
	s_xor_b32 s6, s6, -1
	s_cbranch_vccnz .LBB496_2
; %bb.1:
	v_dual_mov_b32 v1, s4 :: v_dual_mov_b32 v2, s5
	flat_load_b64 v[3:4], v[1:2]
.LBB496_2:
	v_dual_mov_b32 v1, s2 :: v_dual_mov_b32 v2, s3
	s_and_not1_b32 vcc_lo, exec_lo, s6
	s_cbranch_vccnz .LBB496_4
; %bb.3:
	v_dual_mov_b32 v1, s2 :: v_dual_mov_b32 v2, s3
	flat_load_b64 v[1:2], v[1:2]
.LBB496_4:
	s_waitcnt vmcnt(0) lgkmcnt(0)
	v_cmp_neq_f64_e32 vcc_lo, 0, v[3:4]
	v_cmp_neq_f64_e64 s2, 1.0, v[1:2]
	s_delay_alu instid0(VALU_DEP_1) | instskip(NEXT) | instid1(SALU_CYCLE_1)
	s_or_b32 s2, vcc_lo, s2
	s_and_saveexec_b32 s3, s2
	s_cbranch_execz .LBB496_38
; %bb.5:
	s_clause 0x1
	s_load_b128 s[4:7], s[0:1], 0x18
	s_load_b64 s[10:11], s[0:1], 0x28
	s_waitcnt lgkmcnt(0)
	s_cmp_eq_u64 s[4:5], 0
	s_cbranch_scc1 .LBB496_7
; %bb.6:
	s_ashr_i32 s9, s8, 31
	s_delay_alu instid0(SALU_CYCLE_1) | instskip(NEXT) | instid1(SALU_CYCLE_1)
	s_lshl_b64 s[2:3], s[8:9], 2
	s_add_u32 s2, s4, s2
	s_addc_u32 s3, s5, s3
	s_load_b32 s2, s[2:3], 0x0
	s_waitcnt lgkmcnt(0)
	s_sub_i32 s8, s2, s12
.LBB496_7:
	s_load_b32 s3, s[0:1], 0x4
	v_mul_u32_u24_e32 v5, 0xf10, v0
	s_delay_alu instid0(VALU_DEP_1) | instskip(NEXT) | instid1(VALU_DEP_1)
	v_lshrrev_b32_e32 v7, 16, v5
	v_mul_lo_u16 v5, v7, 17
	s_delay_alu instid0(VALU_DEP_1)
	v_sub_nc_u16 v12, v0, v5
	v_mov_b32_e32 v5, 0
	v_mov_b32_e32 v6, 0
	s_waitcnt lgkmcnt(0)
	s_cmp_eq_u32 s3, 1
	s_cselect_b32 s2, -1, 0
	s_cmp_lg_u32 s3, 1
	s_cselect_b32 s3, -1, 0
	s_ashr_i32 s9, s8, 31
	s_delay_alu instid0(SALU_CYCLE_1) | instskip(NEXT) | instid1(SALU_CYCLE_1)
	s_lshl_b64 s[4:5], s[8:9], 3
	s_add_u32 s6, s6, s4
	s_addc_u32 s7, s7, s5
	s_add_u32 s9, s6, 8
	s_addc_u32 s13, s7, 0
	;; [unrolled: 2-line block ×3, first 2 shown]
	s_cmp_eq_u64 s[10:11], 0
	s_load_b64 s[10:11], s[0:1], 0x50
	s_cselect_b32 s5, s13, s5
	s_cselect_b32 s4, s9, s4
	s_load_b64 s[18:19], s[6:7], 0x0
	s_load_b64 s[14:15], s[4:5], 0x0
	s_waitcnt lgkmcnt(0)
	v_cmp_ge_i64_e64 s4, s[18:19], s[14:15]
	s_delay_alu instid0(VALU_DEP_1)
	s_and_b32 vcc_lo, exec_lo, s4
	s_cbranch_vccnz .LBB496_12
; %bb.8:
	v_mul_lo_u16 v5, v7, 31
	v_and_b32_e32 v6, 0xffff, v0
	s_sub_u32 s14, s14, s12
	s_subb_u32 s15, s15, 0
	s_sub_u32 s16, s18, s12
	v_lshrrev_b16 v5, 9, v5
	v_mul_u32_u24_e32 v6, 0xe3, v6
	s_subb_u32 s17, s19, 0
	s_clause 0x1
	s_load_b128 s[4:7], s[0:1], 0x30
	s_load_b64 s[0:1], s[0:1], 0x40
	s_mul_hi_u32 s9, s16, 0x484
	v_mul_lo_u16 v5, v5, 17
	v_lshrrev_b32_e32 v13, 16, v6
	s_mul_i32 s13, s17, 0x484
	v_and_b32_e32 v6, 0xffff, v12
	s_add_i32 s9, s9, s13
	v_sub_nc_u16 v5, v7, v5
	v_add_co_u32 v8, s13, s18, v13
	s_delay_alu instid0(VALU_DEP_1) | instskip(NEXT) | instid1(VALU_DEP_3)
	v_add_co_ci_u32_e64 v9, null, s19, 0, s13
	v_and_b32_e32 v5, 0xff, v5
	s_delay_alu instid0(VALU_DEP_1) | instskip(NEXT) | instid1(VALU_DEP_4)
	v_cndmask_b32_e64 v7, v6, v5, s2
	v_sub_co_u32 v5, vcc_lo, v8, s12
	s_delay_alu instid0(VALU_DEP_4) | instskip(SKIP_2) | instid1(VALU_DEP_2)
	v_subrev_co_ci_u32_e32 v6, vcc_lo, 0, v9, vcc_lo
	v_lshlrev_b32_e32 v8, 2, v0
	s_mul_i32 s2, s16, 0x484
	v_lshlrev_b64 v[10:11], 2, v[5:6]
	v_mov_b32_e32 v5, 0
	s_waitcnt lgkmcnt(0)
	s_add_u32 s2, s6, s2
	s_addc_u32 s6, s7, s9
	v_add_co_u32 v8, s2, s2, v8
	v_add_co_u32 v10, vcc_lo, s4, v10
	v_add_co_ci_u32_e64 v9, null, s6, 0, s2
	v_mov_b32_e32 v6, 0
	v_add_co_ci_u32_e32 v11, vcc_lo, s5, v11, vcc_lo
	s_set_inst_prefetch_distance 0x1
	s_branch .LBB496_10
	.p2align	6
.LBB496_9:                              ;   in Loop: Header=BB496_10 Depth=1
	s_or_b32 exec_lo, exec_lo, s2
	s_add_u32 s16, s16, 1
	s_addc_u32 s17, s17, 0
	v_add_co_u32 v10, vcc_lo, v10, 4
	v_cmp_lt_i64_e64 s2, s[16:17], s[14:15]
	v_add_co_ci_u32_e32 v11, vcc_lo, 0, v11, vcc_lo
	s_delay_alu instid0(VALU_DEP_2)
	s_and_b32 vcc_lo, exec_lo, s2
	s_cbranch_vccz .LBB496_12
.LBB496_10:                             ; =>This Inner Loop Header: Depth=1
	v_add_co_u32 v14, s2, v13, s16
	s_delay_alu instid0(VALU_DEP_1) | instskip(SKIP_1) | instid1(VALU_DEP_1)
	v_add_co_ci_u32_e64 v15, null, 0, s17, s2
	s_mov_b32 s2, exec_lo
	v_cmpx_gt_i64_e64 s[14:15], v[14:15]
	s_cbranch_execz .LBB496_9
; %bb.11:                               ;   in Loop: Header=BB496_10 Depth=1
	global_load_b32 v14, v[10:11], off
	global_load_b32 v16, v[8:9], off
	s_waitcnt vmcnt(1)
	v_subrev_nc_u32_e32 v17, s12, v14
	s_delay_alu instid0(VALU_DEP_1) | instskip(SKIP_2) | instid1(VALU_DEP_2)
	v_mad_u64_u32 v[14:15], null, v17, 17, v[7:8]
	s_waitcnt vmcnt(0)
	v_cvt_f64_f32_e32 v[16:17], v16
	v_ashrrev_i32_e32 v15, 31, v14
	s_delay_alu instid0(VALU_DEP_1) | instskip(NEXT) | instid1(VALU_DEP_1)
	v_lshlrev_b64 v[14:15], 3, v[14:15]
	v_add_co_u32 v14, vcc_lo, s0, v14
	s_delay_alu instid0(VALU_DEP_2)
	v_add_co_ci_u32_e32 v15, vcc_lo, s1, v15, vcc_lo
	v_add_co_u32 v8, vcc_lo, 0x484, v8
	v_add_co_ci_u32_e32 v9, vcc_lo, 0, v9, vcc_lo
	global_load_b64 v[14:15], v[14:15], off
	s_waitcnt vmcnt(0)
	v_fma_f64 v[5:6], v[16:17], v[14:15], v[5:6]
	s_branch .LBB496_9
.LBB496_12:
	s_set_inst_prefetch_distance 0x2
	v_lshlrev_b32_e32 v7, 3, v0
	s_and_b32 vcc_lo, exec_lo, s3
	ds_store_b64 v7, v[5:6]
	s_waitcnt lgkmcnt(0)
	s_barrier
	buffer_gl0_inv
	s_cbranch_vccz .LBB496_24
; %bb.13:
	s_mov_b32 s0, exec_lo
	v_cmpx_eq_u16_e32 0, v12
	s_cbranch_execz .LBB496_15
; %bb.14:
	ds_load_2addr_b64 v[8:11], v7 offset1:16
	s_waitcnt lgkmcnt(0)
	v_add_f64 v[8:9], v[10:11], v[8:9]
	ds_store_b64 v7, v[8:9]
.LBB496_15:
	s_or_b32 exec_lo, exec_lo, s0
	s_delay_alu instid0(SALU_CYCLE_1)
	s_mov_b32 s0, exec_lo
	s_waitcnt lgkmcnt(0)
	s_barrier
	buffer_gl0_inv
	v_cmpx_gt_u16_e32 8, v12
	s_cbranch_execz .LBB496_17
; %bb.16:
	ds_load_2addr_b64 v[8:11], v7 offset1:8
	s_waitcnt lgkmcnt(0)
	v_add_f64 v[8:9], v[10:11], v[8:9]
	ds_store_b64 v7, v[8:9]
.LBB496_17:
	s_or_b32 exec_lo, exec_lo, s0
	s_delay_alu instid0(SALU_CYCLE_1)
	s_mov_b32 s0, exec_lo
	s_waitcnt lgkmcnt(0)
	s_barrier
	buffer_gl0_inv
	v_cmpx_gt_u16_e32 4, v12
	;; [unrolled: 14-line block ×3, first 2 shown]
	s_cbranch_execz .LBB496_21
; %bb.20:
	ds_load_2addr_b64 v[8:11], v7 offset1:2
	s_waitcnt lgkmcnt(0)
	v_add_f64 v[8:9], v[10:11], v[8:9]
	ds_store_b64 v7, v[8:9]
.LBB496_21:
	s_or_b32 exec_lo, exec_lo, s0
	s_mov_b32 s0, 0
	s_mov_b32 s1, 0
	s_mov_b32 s2, exec_lo
	s_waitcnt lgkmcnt(0)
	s_barrier
	buffer_gl0_inv
                                        ; implicit-def: $vgpr8
                                        ; implicit-def: $vgpr9
	v_cmpx_gt_u32_e32 17, v0
	s_xor_b32 s2, exec_lo, s2
; %bb.22:
	v_mad_u32_u24 v8, v0, 17, 1
	v_lshl_add_u32 v9, v0, 7, v7
	s_mov_b32 s1, exec_lo
; %bb.23:
	s_or_b32 exec_lo, exec_lo, s2
	s_delay_alu instid0(SALU_CYCLE_1)
	s_and_b32 vcc_lo, exec_lo, s0
	v_cmp_gt_u32_e64 s0, 17, v0
	s_cbranch_vccnz .LBB496_25
	s_branch .LBB496_36
.LBB496_24:
	s_mov_b32 s1, 0
                                        ; implicit-def: $vgpr8
                                        ; implicit-def: $vgpr9
	v_cmp_gt_u32_e64 s0, 17, v0
	s_cbranch_execz .LBB496_36
.LBB496_25:
	s_delay_alu instid0(VALU_DEP_1)
	s_and_saveexec_b32 s2, s0
	s_cbranch_execz .LBB496_27
; %bb.26:
	ds_load_b64 v[8:9], v7 offset:2176
	ds_load_b64 v[10:11], v7
	s_waitcnt lgkmcnt(0)
	v_add_f64 v[8:9], v[8:9], v[10:11]
	ds_store_b64 v7, v[8:9]
.LBB496_27:
	s_or_b32 exec_lo, exec_lo, s2
	s_delay_alu instid0(SALU_CYCLE_1)
	s_mov_b32 s2, exec_lo
	s_waitcnt lgkmcnt(0)
	s_barrier
	buffer_gl0_inv
	v_cmpx_gt_u32_e32 0x88, v0
	s_cbranch_execz .LBB496_29
; %bb.28:
	ds_load_2addr_b64 v[8:11], v7 offset1:136
	s_waitcnt lgkmcnt(0)
	v_add_f64 v[8:9], v[10:11], v[8:9]
	ds_store_b64 v7, v[8:9]
.LBB496_29:
	s_or_b32 exec_lo, exec_lo, s2
	s_delay_alu instid0(SALU_CYCLE_1)
	s_mov_b32 s2, exec_lo
	s_waitcnt lgkmcnt(0)
	s_barrier
	buffer_gl0_inv
	v_cmpx_gt_u32_e32 0x44, v0
	s_cbranch_execz .LBB496_31
; %bb.30:
	ds_load_2addr_b64 v[8:11], v7 offset1:68
	s_waitcnt lgkmcnt(0)
	v_add_f64 v[8:9], v[10:11], v[8:9]
	ds_store_b64 v7, v[8:9]
.LBB496_31:
	;; [unrolled: 14-line block ×3, first 2 shown]
	s_or_b32 exec_lo, exec_lo, s2
	s_waitcnt lgkmcnt(0)
	buffer_gl0_inv
                                        ; implicit-def: $vgpr8
	s_and_saveexec_b32 s2, s0
; %bb.34:
	v_add_nc_u32_e32 v8, 17, v0
	s_or_b32 s1, s1, exec_lo
                                        ; implicit-def: $vgpr5_vgpr6
; %bb.35:
	s_or_b32 exec_lo, exec_lo, s2
	v_mov_b32_e32 v9, v7
.LBB496_36:
	s_and_saveexec_b32 s0, s1
	s_cbranch_execnz .LBB496_39
; %bb.37:
	s_or_b32 exec_lo, exec_lo, s0
	v_cmp_gt_u32_e32 vcc_lo, 17, v0
	s_and_b32 exec_lo, exec_lo, vcc_lo
	s_cbranch_execnz .LBB496_40
.LBB496_38:
	s_nop 0
	s_sendmsg sendmsg(MSG_DEALLOC_VGPRS)
	s_endpgm
.LBB496_39:
	v_lshlrev_b32_e32 v7, 3, v8
	ds_load_b64 v[5:6], v9
	ds_load_b64 v[7:8], v7
	s_waitcnt lgkmcnt(0)
	v_add_f64 v[5:6], v[5:6], v[7:8]
	s_or_b32 exec_lo, exec_lo, s0
	v_cmp_gt_u32_e32 vcc_lo, 17, v0
	s_and_b32 exec_lo, exec_lo, vcc_lo
	s_cbranch_execz .LBB496_38
.LBB496_40:
	s_delay_alu instid0(VALU_DEP_2)
	v_mul_f64 v[3:4], v[3:4], v[5:6]
	s_mov_b32 s0, exec_lo
	v_cmpx_eq_f64_e32 0, v[1:2]
	s_xor_b32 s0, exec_lo, s0
	s_cbranch_execz .LBB496_42
; %bb.41:
	v_mad_u64_u32 v[1:2], null, s8, 17, v[0:1]
	v_mov_b32_e32 v2, 0
	s_delay_alu instid0(VALU_DEP_1) | instskip(NEXT) | instid1(VALU_DEP_1)
	v_lshlrev_b64 v[0:1], 3, v[1:2]
	v_add_co_u32 v0, vcc_lo, s10, v0
	s_delay_alu instid0(VALU_DEP_2)
	v_add_co_ci_u32_e32 v1, vcc_lo, s11, v1, vcc_lo
	global_store_b64 v[0:1], v[3:4], off
                                        ; implicit-def: $vgpr0
                                        ; implicit-def: $vgpr1_vgpr2
                                        ; implicit-def: $vgpr3_vgpr4
.LBB496_42:
	s_and_not1_saveexec_b32 s0, s0
	s_cbranch_execz .LBB496_38
; %bb.43:
	v_mad_u64_u32 v[5:6], null, s8, 17, v[0:1]
	v_mov_b32_e32 v6, 0
	s_delay_alu instid0(VALU_DEP_1) | instskip(NEXT) | instid1(VALU_DEP_1)
	v_lshlrev_b64 v[5:6], 3, v[5:6]
	v_add_co_u32 v5, vcc_lo, s10, v5
	s_delay_alu instid0(VALU_DEP_2)
	v_add_co_ci_u32_e32 v6, vcc_lo, s11, v6, vcc_lo
	global_load_b64 v[7:8], v[5:6], off
	s_waitcnt vmcnt(0)
	v_fma_f64 v[0:1], v[1:2], v[7:8], v[3:4]
	global_store_b64 v[5:6], v[0:1], off
	s_nop 0
	s_sendmsg sendmsg(MSG_DEALLOC_VGPRS)
	s_endpgm
	.section	.rodata,"a",@progbits
	.p2align	6, 0x0
	.amdhsa_kernel _ZN9rocsparseL20bsrxmvn_17_32_kernelILj17EdlifddEEvT2_20rocsparse_direction_NS_24const_host_device_scalarIT0_EES1_PKS1_PKT1_SA_S7_PKT3_PKT4_S5_PT5_21rocsparse_index_base_b
		.amdhsa_group_segment_fixed_size 2312
		.amdhsa_private_segment_fixed_size 0
		.amdhsa_kernarg_size 96
		.amdhsa_user_sgpr_count 15
		.amdhsa_user_sgpr_dispatch_ptr 0
		.amdhsa_user_sgpr_queue_ptr 0
		.amdhsa_user_sgpr_kernarg_segment_ptr 1
		.amdhsa_user_sgpr_dispatch_id 0
		.amdhsa_user_sgpr_private_segment_size 0
		.amdhsa_wavefront_size32 1
		.amdhsa_uses_dynamic_stack 0
		.amdhsa_enable_private_segment 0
		.amdhsa_system_sgpr_workgroup_id_x 1
		.amdhsa_system_sgpr_workgroup_id_y 0
		.amdhsa_system_sgpr_workgroup_id_z 0
		.amdhsa_system_sgpr_workgroup_info 0
		.amdhsa_system_vgpr_workitem_id 0
		.amdhsa_next_free_vgpr 18
		.amdhsa_next_free_sgpr 20
		.amdhsa_reserve_vcc 1
		.amdhsa_float_round_mode_32 0
		.amdhsa_float_round_mode_16_64 0
		.amdhsa_float_denorm_mode_32 3
		.amdhsa_float_denorm_mode_16_64 3
		.amdhsa_dx10_clamp 1
		.amdhsa_ieee_mode 1
		.amdhsa_fp16_overflow 0
		.amdhsa_workgroup_processor_mode 1
		.amdhsa_memory_ordered 1
		.amdhsa_forward_progress 0
		.amdhsa_shared_vgpr_count 0
		.amdhsa_exception_fp_ieee_invalid_op 0
		.amdhsa_exception_fp_denorm_src 0
		.amdhsa_exception_fp_ieee_div_zero 0
		.amdhsa_exception_fp_ieee_overflow 0
		.amdhsa_exception_fp_ieee_underflow 0
		.amdhsa_exception_fp_ieee_inexact 0
		.amdhsa_exception_int_div_zero 0
	.end_amdhsa_kernel
	.section	.text._ZN9rocsparseL20bsrxmvn_17_32_kernelILj17EdlifddEEvT2_20rocsparse_direction_NS_24const_host_device_scalarIT0_EES1_PKS1_PKT1_SA_S7_PKT3_PKT4_S5_PT5_21rocsparse_index_base_b,"axG",@progbits,_ZN9rocsparseL20bsrxmvn_17_32_kernelILj17EdlifddEEvT2_20rocsparse_direction_NS_24const_host_device_scalarIT0_EES1_PKS1_PKT1_SA_S7_PKT3_PKT4_S5_PT5_21rocsparse_index_base_b,comdat
.Lfunc_end496:
	.size	_ZN9rocsparseL20bsrxmvn_17_32_kernelILj17EdlifddEEvT2_20rocsparse_direction_NS_24const_host_device_scalarIT0_EES1_PKS1_PKT1_SA_S7_PKT3_PKT4_S5_PT5_21rocsparse_index_base_b, .Lfunc_end496-_ZN9rocsparseL20bsrxmvn_17_32_kernelILj17EdlifddEEvT2_20rocsparse_direction_NS_24const_host_device_scalarIT0_EES1_PKS1_PKT1_SA_S7_PKT3_PKT4_S5_PT5_21rocsparse_index_base_b
                                        ; -- End function
	.section	.AMDGPU.csdata,"",@progbits
; Kernel info:
; codeLenInByte = 1736
; NumSgprs: 22
; NumVgprs: 18
; ScratchSize: 0
; MemoryBound: 0
; FloatMode: 240
; IeeeMode: 1
; LDSByteSize: 2312 bytes/workgroup (compile time only)
; SGPRBlocks: 2
; VGPRBlocks: 2
; NumSGPRsForWavesPerEU: 22
; NumVGPRsForWavesPerEU: 18
; Occupancy: 15
; WaveLimiterHint : 1
; COMPUTE_PGM_RSRC2:SCRATCH_EN: 0
; COMPUTE_PGM_RSRC2:USER_SGPR: 15
; COMPUTE_PGM_RSRC2:TRAP_HANDLER: 0
; COMPUTE_PGM_RSRC2:TGID_X_EN: 1
; COMPUTE_PGM_RSRC2:TGID_Y_EN: 0
; COMPUTE_PGM_RSRC2:TGID_Z_EN: 0
; COMPUTE_PGM_RSRC2:TIDIG_COMP_CNT: 0
	.section	.text._ZN9rocsparseL20bsrxmvn_17_32_kernelILj18EdlifddEEvT2_20rocsparse_direction_NS_24const_host_device_scalarIT0_EES1_PKS1_PKT1_SA_S7_PKT3_PKT4_S5_PT5_21rocsparse_index_base_b,"axG",@progbits,_ZN9rocsparseL20bsrxmvn_17_32_kernelILj18EdlifddEEvT2_20rocsparse_direction_NS_24const_host_device_scalarIT0_EES1_PKS1_PKT1_SA_S7_PKT3_PKT4_S5_PT5_21rocsparse_index_base_b,comdat
	.globl	_ZN9rocsparseL20bsrxmvn_17_32_kernelILj18EdlifddEEvT2_20rocsparse_direction_NS_24const_host_device_scalarIT0_EES1_PKS1_PKT1_SA_S7_PKT3_PKT4_S5_PT5_21rocsparse_index_base_b ; -- Begin function _ZN9rocsparseL20bsrxmvn_17_32_kernelILj18EdlifddEEvT2_20rocsparse_direction_NS_24const_host_device_scalarIT0_EES1_PKS1_PKT1_SA_S7_PKT3_PKT4_S5_PT5_21rocsparse_index_base_b
	.p2align	8
	.type	_ZN9rocsparseL20bsrxmvn_17_32_kernelILj18EdlifddEEvT2_20rocsparse_direction_NS_24const_host_device_scalarIT0_EES1_PKS1_PKT1_SA_S7_PKT3_PKT4_S5_PT5_21rocsparse_index_base_b,@function
_ZN9rocsparseL20bsrxmvn_17_32_kernelILj18EdlifddEEvT2_20rocsparse_direction_NS_24const_host_device_scalarIT0_EES1_PKS1_PKT1_SA_S7_PKT3_PKT4_S5_PT5_21rocsparse_index_base_b: ; @_ZN9rocsparseL20bsrxmvn_17_32_kernelILj18EdlifddEEvT2_20rocsparse_direction_NS_24const_host_device_scalarIT0_EES1_PKS1_PKT1_SA_S7_PKT3_PKT4_S5_PT5_21rocsparse_index_base_b
; %bb.0:
	s_clause 0x2
	s_load_b64 s[12:13], s[0:1], 0x58
	s_load_b64 s[4:5], s[0:1], 0x8
	;; [unrolled: 1-line block ×3, first 2 shown]
	s_mov_b32 s8, s15
	s_waitcnt lgkmcnt(0)
	s_bitcmp1_b32 s13, 0
	v_dual_mov_b32 v3, s4 :: v_dual_mov_b32 v4, s5
	s_cselect_b32 s6, -1, 0
	s_delay_alu instid0(SALU_CYCLE_1)
	s_and_b32 vcc_lo, exec_lo, s6
	s_xor_b32 s6, s6, -1
	s_cbranch_vccnz .LBB497_2
; %bb.1:
	v_dual_mov_b32 v1, s4 :: v_dual_mov_b32 v2, s5
	flat_load_b64 v[3:4], v[1:2]
.LBB497_2:
	v_dual_mov_b32 v1, s2 :: v_dual_mov_b32 v2, s3
	s_and_not1_b32 vcc_lo, exec_lo, s6
	s_cbranch_vccnz .LBB497_4
; %bb.3:
	v_dual_mov_b32 v1, s2 :: v_dual_mov_b32 v2, s3
	flat_load_b64 v[1:2], v[1:2]
.LBB497_4:
	s_waitcnt vmcnt(0) lgkmcnt(0)
	v_cmp_neq_f64_e32 vcc_lo, 0, v[3:4]
	v_cmp_neq_f64_e64 s2, 1.0, v[1:2]
	s_delay_alu instid0(VALU_DEP_1) | instskip(NEXT) | instid1(SALU_CYCLE_1)
	s_or_b32 s2, vcc_lo, s2
	s_and_saveexec_b32 s3, s2
	s_cbranch_execz .LBB497_38
; %bb.5:
	s_clause 0x1
	s_load_b128 s[4:7], s[0:1], 0x18
	s_load_b64 s[10:11], s[0:1], 0x28
	s_waitcnt lgkmcnt(0)
	s_cmp_eq_u64 s[4:5], 0
	s_cbranch_scc1 .LBB497_7
; %bb.6:
	s_ashr_i32 s9, s8, 31
	s_delay_alu instid0(SALU_CYCLE_1) | instskip(NEXT) | instid1(SALU_CYCLE_1)
	s_lshl_b64 s[2:3], s[8:9], 2
	s_add_u32 s2, s4, s2
	s_addc_u32 s3, s5, s3
	s_load_b32 s2, s[2:3], 0x0
	s_waitcnt lgkmcnt(0)
	s_sub_i32 s8, s2, s12
.LBB497_7:
	s_load_b32 s3, s[0:1], 0x4
	v_mul_u32_u24_e32 v5, 0xe39, v0
	s_delay_alu instid0(VALU_DEP_1) | instskip(NEXT) | instid1(VALU_DEP_1)
	v_lshrrev_b32_e32 v7, 16, v5
	v_mul_lo_u16 v5, v7, 18
	s_delay_alu instid0(VALU_DEP_1)
	v_sub_nc_u16 v12, v0, v5
	v_mov_b32_e32 v5, 0
	v_mov_b32_e32 v6, 0
	s_waitcnt lgkmcnt(0)
	s_cmp_eq_u32 s3, 1
	s_cselect_b32 s2, -1, 0
	s_cmp_lg_u32 s3, 1
	s_cselect_b32 s3, -1, 0
	s_ashr_i32 s9, s8, 31
	s_delay_alu instid0(SALU_CYCLE_1) | instskip(NEXT) | instid1(SALU_CYCLE_1)
	s_lshl_b64 s[4:5], s[8:9], 3
	s_add_u32 s6, s6, s4
	s_addc_u32 s7, s7, s5
	s_add_u32 s9, s6, 8
	s_addc_u32 s13, s7, 0
	;; [unrolled: 2-line block ×3, first 2 shown]
	s_cmp_eq_u64 s[10:11], 0
	s_load_b64 s[10:11], s[0:1], 0x50
	s_cselect_b32 s5, s13, s5
	s_cselect_b32 s4, s9, s4
	s_load_b64 s[18:19], s[6:7], 0x0
	s_load_b64 s[14:15], s[4:5], 0x0
	s_waitcnt lgkmcnt(0)
	v_cmp_ge_i64_e64 s4, s[18:19], s[14:15]
	s_delay_alu instid0(VALU_DEP_1)
	s_and_b32 vcc_lo, exec_lo, s4
	s_cbranch_vccnz .LBB497_12
; %bb.8:
	v_mul_lo_u16 v5, v7, 15
	v_and_b32_e32 v6, 0xffff, v0
	s_sub_u32 s14, s14, s12
	s_subb_u32 s15, s15, 0
	s_sub_u32 s16, s18, s12
	v_lshrrev_b16 v5, 8, v5
	v_mul_u32_u24_e32 v6, 0x195, v6
	s_subb_u32 s17, s19, 0
	s_clause 0x1
	s_load_b128 s[4:7], s[0:1], 0x30
	s_load_b64 s[0:1], s[0:1], 0x40
	s_mul_hi_u32 s9, s16, 0x510
	v_mul_lo_u16 v5, v5, 18
	v_lshrrev_b32_e32 v13, 17, v6
	s_mul_i32 s13, s17, 0x510
	v_and_b32_e32 v6, 0xffff, v12
	s_add_i32 s9, s9, s13
	v_sub_nc_u16 v5, v7, v5
	v_add_co_u32 v8, s13, s18, v13
	s_delay_alu instid0(VALU_DEP_1) | instskip(NEXT) | instid1(VALU_DEP_3)
	v_add_co_ci_u32_e64 v9, null, s19, 0, s13
	v_and_b32_e32 v5, 0xff, v5
	s_delay_alu instid0(VALU_DEP_1) | instskip(NEXT) | instid1(VALU_DEP_4)
	v_cndmask_b32_e64 v7, v6, v5, s2
	v_sub_co_u32 v5, vcc_lo, v8, s12
	s_delay_alu instid0(VALU_DEP_4) | instskip(SKIP_2) | instid1(VALU_DEP_2)
	v_subrev_co_ci_u32_e32 v6, vcc_lo, 0, v9, vcc_lo
	v_lshlrev_b32_e32 v8, 2, v0
	s_mul_i32 s2, s16, 0x510
	v_lshlrev_b64 v[10:11], 2, v[5:6]
	v_mov_b32_e32 v5, 0
	s_waitcnt lgkmcnt(0)
	s_add_u32 s2, s6, s2
	s_addc_u32 s6, s7, s9
	v_add_co_u32 v8, s2, s2, v8
	v_add_co_u32 v10, vcc_lo, s4, v10
	v_add_co_ci_u32_e64 v9, null, s6, 0, s2
	v_mov_b32_e32 v6, 0
	v_add_co_ci_u32_e32 v11, vcc_lo, s5, v11, vcc_lo
	s_set_inst_prefetch_distance 0x1
	s_branch .LBB497_10
	.p2align	6
.LBB497_9:                              ;   in Loop: Header=BB497_10 Depth=1
	s_or_b32 exec_lo, exec_lo, s2
	s_add_u32 s16, s16, 1
	s_addc_u32 s17, s17, 0
	v_add_co_u32 v10, vcc_lo, v10, 4
	v_cmp_lt_i64_e64 s2, s[16:17], s[14:15]
	v_add_co_ci_u32_e32 v11, vcc_lo, 0, v11, vcc_lo
	s_delay_alu instid0(VALU_DEP_2)
	s_and_b32 vcc_lo, exec_lo, s2
	s_cbranch_vccz .LBB497_12
.LBB497_10:                             ; =>This Inner Loop Header: Depth=1
	v_add_co_u32 v14, s2, v13, s16
	s_delay_alu instid0(VALU_DEP_1) | instskip(SKIP_1) | instid1(VALU_DEP_1)
	v_add_co_ci_u32_e64 v15, null, 0, s17, s2
	s_mov_b32 s2, exec_lo
	v_cmpx_gt_i64_e64 s[14:15], v[14:15]
	s_cbranch_execz .LBB497_9
; %bb.11:                               ;   in Loop: Header=BB497_10 Depth=1
	global_load_b32 v14, v[10:11], off
	global_load_b32 v16, v[8:9], off
	s_waitcnt vmcnt(1)
	v_subrev_nc_u32_e32 v17, s12, v14
	s_delay_alu instid0(VALU_DEP_1) | instskip(SKIP_2) | instid1(VALU_DEP_2)
	v_mad_u64_u32 v[14:15], null, v17, 18, v[7:8]
	s_waitcnt vmcnt(0)
	v_cvt_f64_f32_e32 v[16:17], v16
	v_ashrrev_i32_e32 v15, 31, v14
	s_delay_alu instid0(VALU_DEP_1) | instskip(NEXT) | instid1(VALU_DEP_1)
	v_lshlrev_b64 v[14:15], 3, v[14:15]
	v_add_co_u32 v14, vcc_lo, s0, v14
	s_delay_alu instid0(VALU_DEP_2)
	v_add_co_ci_u32_e32 v15, vcc_lo, s1, v15, vcc_lo
	v_add_co_u32 v8, vcc_lo, 0x510, v8
	v_add_co_ci_u32_e32 v9, vcc_lo, 0, v9, vcc_lo
	global_load_b64 v[14:15], v[14:15], off
	s_waitcnt vmcnt(0)
	v_fma_f64 v[5:6], v[16:17], v[14:15], v[5:6]
	s_branch .LBB497_9
.LBB497_12:
	s_set_inst_prefetch_distance 0x2
	v_lshlrev_b32_e32 v7, 3, v0
	s_and_b32 vcc_lo, exec_lo, s3
	ds_store_b64 v7, v[5:6]
	s_waitcnt lgkmcnt(0)
	s_barrier
	buffer_gl0_inv
	s_cbranch_vccz .LBB497_24
; %bb.13:
	v_cmp_gt_u16_e32 vcc_lo, 2, v12
	s_and_saveexec_b32 s0, vcc_lo
	s_cbranch_execz .LBB497_15
; %bb.14:
	ds_load_2addr_b64 v[8:11], v7 offset1:16
	s_waitcnt lgkmcnt(0)
	v_add_f64 v[8:9], v[10:11], v[8:9]
	ds_store_b64 v7, v[8:9]
.LBB497_15:
	s_or_b32 exec_lo, exec_lo, s0
	s_delay_alu instid0(SALU_CYCLE_1)
	s_mov_b32 s1, exec_lo
	s_waitcnt lgkmcnt(0)
	s_barrier
	buffer_gl0_inv
	v_cmpx_gt_u16_e32 8, v12
	s_cbranch_execz .LBB497_17
; %bb.16:
	ds_load_2addr_b64 v[8:11], v7 offset1:8
	s_waitcnt lgkmcnt(0)
	v_add_f64 v[8:9], v[10:11], v[8:9]
	ds_store_b64 v7, v[8:9]
.LBB497_17:
	s_or_b32 exec_lo, exec_lo, s1
	s_delay_alu instid0(SALU_CYCLE_1)
	s_mov_b32 s1, exec_lo
	s_waitcnt lgkmcnt(0)
	s_barrier
	buffer_gl0_inv
	v_cmpx_gt_u16_e32 4, v12
	s_cbranch_execz .LBB497_19
; %bb.18:
	ds_load_2addr_b64 v[8:11], v7 offset1:4
	s_waitcnt lgkmcnt(0)
	v_add_f64 v[8:9], v[10:11], v[8:9]
	ds_store_b64 v7, v[8:9]
.LBB497_19:
	s_or_b32 exec_lo, exec_lo, s1
	s_waitcnt lgkmcnt(0)
	s_barrier
	buffer_gl0_inv
	s_and_saveexec_b32 s0, vcc_lo
	s_cbranch_execz .LBB497_21
; %bb.20:
	ds_load_2addr_b64 v[8:11], v7 offset1:2
	s_waitcnt lgkmcnt(0)
	v_add_f64 v[8:9], v[10:11], v[8:9]
	ds_store_b64 v7, v[8:9]
.LBB497_21:
	s_or_b32 exec_lo, exec_lo, s0
	s_mov_b32 s0, 0
	s_mov_b32 s1, 0
	s_mov_b32 s2, exec_lo
	s_waitcnt lgkmcnt(0)
	s_barrier
	buffer_gl0_inv
                                        ; implicit-def: $vgpr8
                                        ; implicit-def: $vgpr9
	v_cmpx_gt_u32_e32 18, v0
	s_xor_b32 s2, exec_lo, s2
; %bb.22:
	v_mul_u32_u24_e32 v8, 18, v0
	v_mad_u32_u24 v9, 0x88, v0, v7
	s_mov_b32 s1, exec_lo
	s_delay_alu instid0(VALU_DEP_2)
	v_or_b32_e32 v8, 1, v8
; %bb.23:
	s_or_b32 exec_lo, exec_lo, s2
	s_delay_alu instid0(SALU_CYCLE_1)
	s_and_b32 vcc_lo, exec_lo, s0
	s_cbranch_vccnz .LBB497_25
	s_branch .LBB497_36
.LBB497_24:
	s_mov_b32 s1, 0
                                        ; implicit-def: $vgpr8
                                        ; implicit-def: $vgpr9
	s_cbranch_execz .LBB497_36
.LBB497_25:
	v_cmp_gt_u32_e32 vcc_lo, 36, v0
	s_and_saveexec_b32 s0, vcc_lo
	s_cbranch_execz .LBB497_27
; %bb.26:
	ds_load_b64 v[8:9], v7 offset:2304
	ds_load_b64 v[10:11], v7
	s_waitcnt lgkmcnt(0)
	v_add_f64 v[8:9], v[8:9], v[10:11]
	ds_store_b64 v7, v[8:9]
.LBB497_27:
	s_or_b32 exec_lo, exec_lo, s0
	s_delay_alu instid0(SALU_CYCLE_1)
	s_mov_b32 s2, exec_lo
	s_waitcnt lgkmcnt(0)
	s_barrier
	buffer_gl0_inv
	v_cmpx_gt_u32_e32 0x90, v0
	s_cbranch_execz .LBB497_29
; %bb.28:
	ds_load_2addr_b64 v[8:11], v7 offset1:144
	s_waitcnt lgkmcnt(0)
	v_add_f64 v[8:9], v[10:11], v[8:9]
	ds_store_b64 v7, v[8:9]
.LBB497_29:
	s_or_b32 exec_lo, exec_lo, s2
	s_delay_alu instid0(SALU_CYCLE_1)
	s_mov_b32 s2, exec_lo
	s_waitcnt lgkmcnt(0)
	s_barrier
	buffer_gl0_inv
	v_cmpx_gt_u32_e32 0x48, v0
	s_cbranch_execz .LBB497_31
; %bb.30:
	ds_load_2addr_b64 v[8:11], v7 offset1:72
	s_waitcnt lgkmcnt(0)
	v_add_f64 v[8:9], v[10:11], v[8:9]
	ds_store_b64 v7, v[8:9]
.LBB497_31:
	s_or_b32 exec_lo, exec_lo, s2
	s_waitcnt lgkmcnt(0)
	s_barrier
	buffer_gl0_inv
	s_and_saveexec_b32 s0, vcc_lo
	s_cbranch_execz .LBB497_33
; %bb.32:
	ds_load_2addr_b64 v[8:11], v7 offset1:36
	s_waitcnt lgkmcnt(0)
	v_add_f64 v[8:9], v[10:11], v[8:9]
	ds_store_b64 v7, v[8:9]
.LBB497_33:
	s_or_b32 exec_lo, exec_lo, s0
	s_delay_alu instid0(SALU_CYCLE_1)
	s_mov_b32 s0, exec_lo
	s_waitcnt lgkmcnt(0)
	buffer_gl0_inv
                                        ; implicit-def: $vgpr8
	v_cmpx_gt_u32_e32 18, v0
; %bb.34:
	v_add_nc_u32_e32 v8, 18, v0
	s_or_b32 s1, s1, exec_lo
                                        ; implicit-def: $vgpr5_vgpr6
; %bb.35:
	s_or_b32 exec_lo, exec_lo, s0
	v_mov_b32_e32 v9, v7
.LBB497_36:
	s_and_saveexec_b32 s0, s1
	s_cbranch_execnz .LBB497_39
; %bb.37:
	s_or_b32 exec_lo, exec_lo, s0
	v_cmp_gt_u32_e32 vcc_lo, 18, v0
	s_and_b32 exec_lo, exec_lo, vcc_lo
	s_cbranch_execnz .LBB497_40
.LBB497_38:
	s_nop 0
	s_sendmsg sendmsg(MSG_DEALLOC_VGPRS)
	s_endpgm
.LBB497_39:
	v_lshlrev_b32_e32 v7, 3, v8
	ds_load_b64 v[5:6], v9
	ds_load_b64 v[7:8], v7
	s_waitcnt lgkmcnt(0)
	v_add_f64 v[5:6], v[5:6], v[7:8]
	s_or_b32 exec_lo, exec_lo, s0
	v_cmp_gt_u32_e32 vcc_lo, 18, v0
	s_and_b32 exec_lo, exec_lo, vcc_lo
	s_cbranch_execz .LBB497_38
.LBB497_40:
	s_delay_alu instid0(VALU_DEP_2)
	v_mul_f64 v[3:4], v[3:4], v[5:6]
	s_mov_b32 s0, exec_lo
	v_cmpx_eq_f64_e32 0, v[1:2]
	s_xor_b32 s0, exec_lo, s0
	s_cbranch_execz .LBB497_42
; %bb.41:
	v_mad_u64_u32 v[1:2], null, s8, 18, v[0:1]
	v_mov_b32_e32 v2, 0
	s_delay_alu instid0(VALU_DEP_1) | instskip(NEXT) | instid1(VALU_DEP_1)
	v_lshlrev_b64 v[0:1], 3, v[1:2]
	v_add_co_u32 v0, vcc_lo, s10, v0
	s_delay_alu instid0(VALU_DEP_2)
	v_add_co_ci_u32_e32 v1, vcc_lo, s11, v1, vcc_lo
	global_store_b64 v[0:1], v[3:4], off
                                        ; implicit-def: $vgpr0
                                        ; implicit-def: $vgpr1_vgpr2
                                        ; implicit-def: $vgpr3_vgpr4
.LBB497_42:
	s_and_not1_saveexec_b32 s0, s0
	s_cbranch_execz .LBB497_38
; %bb.43:
	v_mad_u64_u32 v[5:6], null, s8, 18, v[0:1]
	v_mov_b32_e32 v6, 0
	s_delay_alu instid0(VALU_DEP_1) | instskip(NEXT) | instid1(VALU_DEP_1)
	v_lshlrev_b64 v[5:6], 3, v[5:6]
	v_add_co_u32 v5, vcc_lo, s10, v5
	s_delay_alu instid0(VALU_DEP_2)
	v_add_co_ci_u32_e32 v6, vcc_lo, s11, v6, vcc_lo
	global_load_b64 v[7:8], v[5:6], off
	s_waitcnt vmcnt(0)
	v_fma_f64 v[0:1], v[1:2], v[7:8], v[3:4]
	global_store_b64 v[5:6], v[0:1], off
	s_nop 0
	s_sendmsg sendmsg(MSG_DEALLOC_VGPRS)
	s_endpgm
	.section	.rodata,"a",@progbits
	.p2align	6, 0x0
	.amdhsa_kernel _ZN9rocsparseL20bsrxmvn_17_32_kernelILj18EdlifddEEvT2_20rocsparse_direction_NS_24const_host_device_scalarIT0_EES1_PKS1_PKT1_SA_S7_PKT3_PKT4_S5_PT5_21rocsparse_index_base_b
		.amdhsa_group_segment_fixed_size 2592
		.amdhsa_private_segment_fixed_size 0
		.amdhsa_kernarg_size 96
		.amdhsa_user_sgpr_count 15
		.amdhsa_user_sgpr_dispatch_ptr 0
		.amdhsa_user_sgpr_queue_ptr 0
		.amdhsa_user_sgpr_kernarg_segment_ptr 1
		.amdhsa_user_sgpr_dispatch_id 0
		.amdhsa_user_sgpr_private_segment_size 0
		.amdhsa_wavefront_size32 1
		.amdhsa_uses_dynamic_stack 0
		.amdhsa_enable_private_segment 0
		.amdhsa_system_sgpr_workgroup_id_x 1
		.amdhsa_system_sgpr_workgroup_id_y 0
		.amdhsa_system_sgpr_workgroup_id_z 0
		.amdhsa_system_sgpr_workgroup_info 0
		.amdhsa_system_vgpr_workitem_id 0
		.amdhsa_next_free_vgpr 18
		.amdhsa_next_free_sgpr 20
		.amdhsa_reserve_vcc 1
		.amdhsa_float_round_mode_32 0
		.amdhsa_float_round_mode_16_64 0
		.amdhsa_float_denorm_mode_32 3
		.amdhsa_float_denorm_mode_16_64 3
		.amdhsa_dx10_clamp 1
		.amdhsa_ieee_mode 1
		.amdhsa_fp16_overflow 0
		.amdhsa_workgroup_processor_mode 1
		.amdhsa_memory_ordered 1
		.amdhsa_forward_progress 0
		.amdhsa_shared_vgpr_count 0
		.amdhsa_exception_fp_ieee_invalid_op 0
		.amdhsa_exception_fp_denorm_src 0
		.amdhsa_exception_fp_ieee_div_zero 0
		.amdhsa_exception_fp_ieee_overflow 0
		.amdhsa_exception_fp_ieee_underflow 0
		.amdhsa_exception_fp_ieee_inexact 0
		.amdhsa_exception_int_div_zero 0
	.end_amdhsa_kernel
	.section	.text._ZN9rocsparseL20bsrxmvn_17_32_kernelILj18EdlifddEEvT2_20rocsparse_direction_NS_24const_host_device_scalarIT0_EES1_PKS1_PKT1_SA_S7_PKT3_PKT4_S5_PT5_21rocsparse_index_base_b,"axG",@progbits,_ZN9rocsparseL20bsrxmvn_17_32_kernelILj18EdlifddEEvT2_20rocsparse_direction_NS_24const_host_device_scalarIT0_EES1_PKS1_PKT1_SA_S7_PKT3_PKT4_S5_PT5_21rocsparse_index_base_b,comdat
.Lfunc_end497:
	.size	_ZN9rocsparseL20bsrxmvn_17_32_kernelILj18EdlifddEEvT2_20rocsparse_direction_NS_24const_host_device_scalarIT0_EES1_PKS1_PKT1_SA_S7_PKT3_PKT4_S5_PT5_21rocsparse_index_base_b, .Lfunc_end497-_ZN9rocsparseL20bsrxmvn_17_32_kernelILj18EdlifddEEvT2_20rocsparse_direction_NS_24const_host_device_scalarIT0_EES1_PKS1_PKT1_SA_S7_PKT3_PKT4_S5_PT5_21rocsparse_index_base_b
                                        ; -- End function
	.section	.AMDGPU.csdata,"",@progbits
; Kernel info:
; codeLenInByte = 1720
; NumSgprs: 22
; NumVgprs: 18
; ScratchSize: 0
; MemoryBound: 0
; FloatMode: 240
; IeeeMode: 1
; LDSByteSize: 2592 bytes/workgroup (compile time only)
; SGPRBlocks: 2
; VGPRBlocks: 2
; NumSGPRsForWavesPerEU: 22
; NumVGPRsForWavesPerEU: 18
; Occupancy: 14
; WaveLimiterHint : 1
; COMPUTE_PGM_RSRC2:SCRATCH_EN: 0
; COMPUTE_PGM_RSRC2:USER_SGPR: 15
; COMPUTE_PGM_RSRC2:TRAP_HANDLER: 0
; COMPUTE_PGM_RSRC2:TGID_X_EN: 1
; COMPUTE_PGM_RSRC2:TGID_Y_EN: 0
; COMPUTE_PGM_RSRC2:TGID_Z_EN: 0
; COMPUTE_PGM_RSRC2:TIDIG_COMP_CNT: 0
	.section	.text._ZN9rocsparseL20bsrxmvn_17_32_kernelILj19EdlifddEEvT2_20rocsparse_direction_NS_24const_host_device_scalarIT0_EES1_PKS1_PKT1_SA_S7_PKT3_PKT4_S5_PT5_21rocsparse_index_base_b,"axG",@progbits,_ZN9rocsparseL20bsrxmvn_17_32_kernelILj19EdlifddEEvT2_20rocsparse_direction_NS_24const_host_device_scalarIT0_EES1_PKS1_PKT1_SA_S7_PKT3_PKT4_S5_PT5_21rocsparse_index_base_b,comdat
	.globl	_ZN9rocsparseL20bsrxmvn_17_32_kernelILj19EdlifddEEvT2_20rocsparse_direction_NS_24const_host_device_scalarIT0_EES1_PKS1_PKT1_SA_S7_PKT3_PKT4_S5_PT5_21rocsparse_index_base_b ; -- Begin function _ZN9rocsparseL20bsrxmvn_17_32_kernelILj19EdlifddEEvT2_20rocsparse_direction_NS_24const_host_device_scalarIT0_EES1_PKS1_PKT1_SA_S7_PKT3_PKT4_S5_PT5_21rocsparse_index_base_b
	.p2align	8
	.type	_ZN9rocsparseL20bsrxmvn_17_32_kernelILj19EdlifddEEvT2_20rocsparse_direction_NS_24const_host_device_scalarIT0_EES1_PKS1_PKT1_SA_S7_PKT3_PKT4_S5_PT5_21rocsparse_index_base_b,@function
_ZN9rocsparseL20bsrxmvn_17_32_kernelILj19EdlifddEEvT2_20rocsparse_direction_NS_24const_host_device_scalarIT0_EES1_PKS1_PKT1_SA_S7_PKT3_PKT4_S5_PT5_21rocsparse_index_base_b: ; @_ZN9rocsparseL20bsrxmvn_17_32_kernelILj19EdlifddEEvT2_20rocsparse_direction_NS_24const_host_device_scalarIT0_EES1_PKS1_PKT1_SA_S7_PKT3_PKT4_S5_PT5_21rocsparse_index_base_b
; %bb.0:
	s_clause 0x2
	s_load_b64 s[12:13], s[0:1], 0x58
	s_load_b64 s[4:5], s[0:1], 0x8
	;; [unrolled: 1-line block ×3, first 2 shown]
	s_mov_b32 s8, s15
	s_waitcnt lgkmcnt(0)
	s_bitcmp1_b32 s13, 0
	v_dual_mov_b32 v3, s4 :: v_dual_mov_b32 v4, s5
	s_cselect_b32 s6, -1, 0
	s_delay_alu instid0(SALU_CYCLE_1)
	s_and_b32 vcc_lo, exec_lo, s6
	s_xor_b32 s6, s6, -1
	s_cbranch_vccnz .LBB498_2
; %bb.1:
	v_dual_mov_b32 v1, s4 :: v_dual_mov_b32 v2, s5
	flat_load_b64 v[3:4], v[1:2]
.LBB498_2:
	v_dual_mov_b32 v1, s2 :: v_dual_mov_b32 v2, s3
	s_and_not1_b32 vcc_lo, exec_lo, s6
	s_cbranch_vccnz .LBB498_4
; %bb.3:
	v_dual_mov_b32 v1, s2 :: v_dual_mov_b32 v2, s3
	flat_load_b64 v[1:2], v[1:2]
.LBB498_4:
	s_waitcnt vmcnt(0) lgkmcnt(0)
	v_cmp_neq_f64_e32 vcc_lo, 0, v[3:4]
	v_cmp_neq_f64_e64 s2, 1.0, v[1:2]
	s_delay_alu instid0(VALU_DEP_1) | instskip(NEXT) | instid1(SALU_CYCLE_1)
	s_or_b32 s2, vcc_lo, s2
	s_and_saveexec_b32 s3, s2
	s_cbranch_execz .LBB498_38
; %bb.5:
	s_clause 0x1
	s_load_b128 s[4:7], s[0:1], 0x18
	s_load_b64 s[10:11], s[0:1], 0x28
	s_waitcnt lgkmcnt(0)
	s_cmp_eq_u64 s[4:5], 0
	s_cbranch_scc1 .LBB498_7
; %bb.6:
	s_ashr_i32 s9, s8, 31
	s_delay_alu instid0(SALU_CYCLE_1) | instskip(NEXT) | instid1(SALU_CYCLE_1)
	s_lshl_b64 s[2:3], s[8:9], 2
	s_add_u32 s2, s4, s2
	s_addc_u32 s3, s5, s3
	s_load_b32 s2, s[2:3], 0x0
	s_waitcnt lgkmcnt(0)
	s_sub_i32 s8, s2, s12
.LBB498_7:
	s_load_b32 s3, s[0:1], 0x4
	v_mul_u32_u24_e32 v5, 0xd7a, v0
	s_delay_alu instid0(VALU_DEP_1) | instskip(NEXT) | instid1(VALU_DEP_1)
	v_lshrrev_b32_e32 v7, 16, v5
	v_mul_lo_u16 v5, v7, 19
	s_delay_alu instid0(VALU_DEP_1)
	v_sub_nc_u16 v12, v0, v5
	v_mov_b32_e32 v5, 0
	v_mov_b32_e32 v6, 0
	s_waitcnt lgkmcnt(0)
	s_cmp_eq_u32 s3, 1
	s_cselect_b32 s2, -1, 0
	s_cmp_lg_u32 s3, 1
	s_cselect_b32 s3, -1, 0
	s_ashr_i32 s9, s8, 31
	s_delay_alu instid0(SALU_CYCLE_1) | instskip(NEXT) | instid1(SALU_CYCLE_1)
	s_lshl_b64 s[4:5], s[8:9], 3
	s_add_u32 s6, s6, s4
	s_addc_u32 s7, s7, s5
	s_add_u32 s9, s6, 8
	s_addc_u32 s13, s7, 0
	s_add_u32 s4, s10, s4
	s_addc_u32 s5, s11, s5
	s_cmp_eq_u64 s[10:11], 0
	s_load_b64 s[10:11], s[0:1], 0x50
	s_cselect_b32 s5, s13, s5
	s_cselect_b32 s4, s9, s4
	s_load_b64 s[18:19], s[6:7], 0x0
	s_load_b64 s[14:15], s[4:5], 0x0
	s_waitcnt lgkmcnt(0)
	v_cmp_ge_i64_e64 s4, s[18:19], s[14:15]
	s_delay_alu instid0(VALU_DEP_1)
	s_and_b32 vcc_lo, exec_lo, s4
	s_cbranch_vccnz .LBB498_12
; %bb.8:
	v_mul_lo_u16 v5, v7, 14
	v_and_b32_e32 v6, 0xffff, v0
	s_sub_u32 s14, s14, s12
	s_subb_u32 s15, s15, 0
	s_sub_u32 s16, s18, s12
	v_lshrrev_b16 v5, 8, v5
	v_mul_u32_u24_e32 v6, 0xb6, v6
	s_subb_u32 s17, s19, 0
	s_clause 0x1
	s_load_b128 s[4:7], s[0:1], 0x30
	s_load_b64 s[0:1], s[0:1], 0x40
	s_mul_hi_u32 s9, s16, 0x5a4
	v_mul_lo_u16 v5, v5, 19
	v_lshrrev_b32_e32 v13, 16, v6
	s_mul_i32 s13, s17, 0x5a4
	v_and_b32_e32 v6, 0xffff, v12
	s_add_i32 s9, s9, s13
	v_sub_nc_u16 v5, v7, v5
	v_add_co_u32 v8, s13, s18, v13
	s_delay_alu instid0(VALU_DEP_1) | instskip(NEXT) | instid1(VALU_DEP_3)
	v_add_co_ci_u32_e64 v9, null, s19, 0, s13
	v_and_b32_e32 v5, 0xff, v5
	s_delay_alu instid0(VALU_DEP_1) | instskip(NEXT) | instid1(VALU_DEP_4)
	v_cndmask_b32_e64 v7, v6, v5, s2
	v_sub_co_u32 v5, vcc_lo, v8, s12
	s_delay_alu instid0(VALU_DEP_4) | instskip(SKIP_2) | instid1(VALU_DEP_2)
	v_subrev_co_ci_u32_e32 v6, vcc_lo, 0, v9, vcc_lo
	v_lshlrev_b32_e32 v8, 2, v0
	s_mul_i32 s2, s16, 0x5a4
	v_lshlrev_b64 v[10:11], 2, v[5:6]
	v_mov_b32_e32 v5, 0
	s_waitcnt lgkmcnt(0)
	s_add_u32 s2, s6, s2
	s_addc_u32 s6, s7, s9
	v_add_co_u32 v8, s2, s2, v8
	v_add_co_u32 v10, vcc_lo, s4, v10
	v_add_co_ci_u32_e64 v9, null, s6, 0, s2
	v_mov_b32_e32 v6, 0
	v_add_co_ci_u32_e32 v11, vcc_lo, s5, v11, vcc_lo
	s_set_inst_prefetch_distance 0x1
	s_branch .LBB498_10
	.p2align	6
.LBB498_9:                              ;   in Loop: Header=BB498_10 Depth=1
	s_or_b32 exec_lo, exec_lo, s2
	s_add_u32 s16, s16, 1
	s_addc_u32 s17, s17, 0
	v_add_co_u32 v10, vcc_lo, v10, 4
	v_cmp_lt_i64_e64 s2, s[16:17], s[14:15]
	v_add_co_ci_u32_e32 v11, vcc_lo, 0, v11, vcc_lo
	s_delay_alu instid0(VALU_DEP_2)
	s_and_b32 vcc_lo, exec_lo, s2
	s_cbranch_vccz .LBB498_12
.LBB498_10:                             ; =>This Inner Loop Header: Depth=1
	v_add_co_u32 v14, s2, v13, s16
	s_delay_alu instid0(VALU_DEP_1) | instskip(SKIP_1) | instid1(VALU_DEP_1)
	v_add_co_ci_u32_e64 v15, null, 0, s17, s2
	s_mov_b32 s2, exec_lo
	v_cmpx_gt_i64_e64 s[14:15], v[14:15]
	s_cbranch_execz .LBB498_9
; %bb.11:                               ;   in Loop: Header=BB498_10 Depth=1
	global_load_b32 v14, v[10:11], off
	global_load_b32 v16, v[8:9], off
	s_waitcnt vmcnt(1)
	v_subrev_nc_u32_e32 v17, s12, v14
	s_delay_alu instid0(VALU_DEP_1) | instskip(SKIP_2) | instid1(VALU_DEP_2)
	v_mad_u64_u32 v[14:15], null, v17, 19, v[7:8]
	s_waitcnt vmcnt(0)
	v_cvt_f64_f32_e32 v[16:17], v16
	v_ashrrev_i32_e32 v15, 31, v14
	s_delay_alu instid0(VALU_DEP_1) | instskip(NEXT) | instid1(VALU_DEP_1)
	v_lshlrev_b64 v[14:15], 3, v[14:15]
	v_add_co_u32 v14, vcc_lo, s0, v14
	s_delay_alu instid0(VALU_DEP_2)
	v_add_co_ci_u32_e32 v15, vcc_lo, s1, v15, vcc_lo
	v_add_co_u32 v8, vcc_lo, 0x5a4, v8
	v_add_co_ci_u32_e32 v9, vcc_lo, 0, v9, vcc_lo
	global_load_b64 v[14:15], v[14:15], off
	s_waitcnt vmcnt(0)
	v_fma_f64 v[5:6], v[16:17], v[14:15], v[5:6]
	s_branch .LBB498_9
.LBB498_12:
	s_set_inst_prefetch_distance 0x2
	v_lshlrev_b32_e32 v7, 3, v0
	s_and_b32 vcc_lo, exec_lo, s3
	ds_store_b64 v7, v[5:6]
	s_waitcnt lgkmcnt(0)
	s_barrier
	buffer_gl0_inv
	s_cbranch_vccz .LBB498_24
; %bb.13:
	s_mov_b32 s0, exec_lo
	v_cmpx_gt_u16_e32 3, v12
	s_cbranch_execz .LBB498_15
; %bb.14:
	ds_load_2addr_b64 v[8:11], v7 offset1:16
	s_waitcnt lgkmcnt(0)
	v_add_f64 v[8:9], v[10:11], v[8:9]
	ds_store_b64 v7, v[8:9]
.LBB498_15:
	s_or_b32 exec_lo, exec_lo, s0
	s_delay_alu instid0(SALU_CYCLE_1)
	s_mov_b32 s0, exec_lo
	s_waitcnt lgkmcnt(0)
	s_barrier
	buffer_gl0_inv
	v_cmpx_gt_u16_e32 8, v12
	s_cbranch_execz .LBB498_17
; %bb.16:
	ds_load_2addr_b64 v[8:11], v7 offset1:8
	s_waitcnt lgkmcnt(0)
	v_add_f64 v[8:9], v[10:11], v[8:9]
	ds_store_b64 v7, v[8:9]
.LBB498_17:
	s_or_b32 exec_lo, exec_lo, s0
	s_delay_alu instid0(SALU_CYCLE_1)
	s_mov_b32 s0, exec_lo
	s_waitcnt lgkmcnt(0)
	s_barrier
	buffer_gl0_inv
	v_cmpx_gt_u16_e32 4, v12
	s_cbranch_execz .LBB498_19
; %bb.18:
	ds_load_2addr_b64 v[8:11], v7 offset1:4
	s_waitcnt lgkmcnt(0)
	v_add_f64 v[8:9], v[10:11], v[8:9]
	ds_store_b64 v7, v[8:9]
.LBB498_19:
	s_or_b32 exec_lo, exec_lo, s0
	s_delay_alu instid0(SALU_CYCLE_1)
	s_mov_b32 s0, exec_lo
	s_waitcnt lgkmcnt(0)
	s_barrier
	buffer_gl0_inv
	v_cmpx_gt_u16_e32 2, v12
	s_cbranch_execz .LBB498_21
; %bb.20:
	ds_load_2addr_b64 v[8:11], v7 offset1:2
	s_waitcnt lgkmcnt(0)
	v_add_f64 v[8:9], v[10:11], v[8:9]
	ds_store_b64 v7, v[8:9]
.LBB498_21:
	s_or_b32 exec_lo, exec_lo, s0
	s_mov_b32 s1, 0
	s_mov_b32 s0, 0
	s_mov_b32 s2, exec_lo
	s_waitcnt lgkmcnt(0)
	s_barrier
	buffer_gl0_inv
                                        ; implicit-def: $vgpr8
                                        ; implicit-def: $vgpr9
	v_cmpx_gt_u32_e32 19, v0
	s_xor_b32 s2, exec_lo, s2
; %bb.22:
	v_mad_u32_u24 v8, v0, 19, 1
	v_mad_u32_u24 v9, 0x90, v0, v7
	s_mov_b32 s0, exec_lo
; %bb.23:
	s_or_b32 exec_lo, exec_lo, s2
	s_delay_alu instid0(SALU_CYCLE_1)
	s_and_b32 vcc_lo, exec_lo, s1
	s_cbranch_vccnz .LBB498_25
	s_branch .LBB498_36
.LBB498_24:
	s_mov_b32 s0, 0
                                        ; implicit-def: $vgpr8
                                        ; implicit-def: $vgpr9
	s_cbranch_execz .LBB498_36
.LBB498_25:
	s_mov_b32 s1, exec_lo
	v_cmpx_gt_u32_e32 57, v0
	s_cbranch_execz .LBB498_27
; %bb.26:
	ds_load_b64 v[8:9], v7 offset:2432
	ds_load_b64 v[10:11], v7
	s_waitcnt lgkmcnt(0)
	v_add_f64 v[8:9], v[8:9], v[10:11]
	ds_store_b64 v7, v[8:9]
.LBB498_27:
	s_or_b32 exec_lo, exec_lo, s1
	s_delay_alu instid0(SALU_CYCLE_1)
	s_mov_b32 s1, exec_lo
	s_waitcnt lgkmcnt(0)
	s_barrier
	buffer_gl0_inv
	v_cmpx_gt_u32_e32 0x98, v0
	s_cbranch_execz .LBB498_29
; %bb.28:
	ds_load_2addr_b64 v[8:11], v7 offset1:152
	s_waitcnt lgkmcnt(0)
	v_add_f64 v[8:9], v[10:11], v[8:9]
	ds_store_b64 v7, v[8:9]
.LBB498_29:
	s_or_b32 exec_lo, exec_lo, s1
	s_delay_alu instid0(SALU_CYCLE_1)
	s_mov_b32 s1, exec_lo
	s_waitcnt lgkmcnt(0)
	s_barrier
	buffer_gl0_inv
	v_cmpx_gt_u32_e32 0x4c, v0
	s_cbranch_execz .LBB498_31
; %bb.30:
	ds_load_2addr_b64 v[8:11], v7 offset1:76
	s_waitcnt lgkmcnt(0)
	v_add_f64 v[8:9], v[10:11], v[8:9]
	ds_store_b64 v7, v[8:9]
.LBB498_31:
	;; [unrolled: 14-line block ×3, first 2 shown]
	s_or_b32 exec_lo, exec_lo, s1
	s_delay_alu instid0(SALU_CYCLE_1)
	s_mov_b32 s1, exec_lo
	s_waitcnt lgkmcnt(0)
	buffer_gl0_inv
                                        ; implicit-def: $vgpr8
	v_cmpx_gt_u32_e32 19, v0
; %bb.34:
	v_add_nc_u32_e32 v8, 19, v0
	s_or_b32 s0, s0, exec_lo
                                        ; implicit-def: $vgpr5_vgpr6
; %bb.35:
	s_or_b32 exec_lo, exec_lo, s1
	v_mov_b32_e32 v9, v7
.LBB498_36:
	s_and_saveexec_b32 s1, s0
	s_cbranch_execnz .LBB498_39
; %bb.37:
	s_or_b32 exec_lo, exec_lo, s1
	v_cmp_gt_u32_e32 vcc_lo, 19, v0
	s_and_b32 exec_lo, exec_lo, vcc_lo
	s_cbranch_execnz .LBB498_40
.LBB498_38:
	s_nop 0
	s_sendmsg sendmsg(MSG_DEALLOC_VGPRS)
	s_endpgm
.LBB498_39:
	v_lshlrev_b32_e32 v7, 3, v8
	ds_load_b64 v[5:6], v9
	ds_load_b64 v[7:8], v7
	s_waitcnt lgkmcnt(0)
	v_add_f64 v[5:6], v[5:6], v[7:8]
	s_or_b32 exec_lo, exec_lo, s1
	v_cmp_gt_u32_e32 vcc_lo, 19, v0
	s_and_b32 exec_lo, exec_lo, vcc_lo
	s_cbranch_execz .LBB498_38
.LBB498_40:
	s_delay_alu instid0(VALU_DEP_2)
	v_mul_f64 v[3:4], v[3:4], v[5:6]
	s_mov_b32 s0, exec_lo
	v_cmpx_eq_f64_e32 0, v[1:2]
	s_xor_b32 s0, exec_lo, s0
	s_cbranch_execz .LBB498_42
; %bb.41:
	v_mad_u64_u32 v[1:2], null, s8, 19, v[0:1]
	v_mov_b32_e32 v2, 0
	s_delay_alu instid0(VALU_DEP_1) | instskip(NEXT) | instid1(VALU_DEP_1)
	v_lshlrev_b64 v[0:1], 3, v[1:2]
	v_add_co_u32 v0, vcc_lo, s10, v0
	s_delay_alu instid0(VALU_DEP_2)
	v_add_co_ci_u32_e32 v1, vcc_lo, s11, v1, vcc_lo
	global_store_b64 v[0:1], v[3:4], off
                                        ; implicit-def: $vgpr0
                                        ; implicit-def: $vgpr1_vgpr2
                                        ; implicit-def: $vgpr3_vgpr4
.LBB498_42:
	s_and_not1_saveexec_b32 s0, s0
	s_cbranch_execz .LBB498_38
; %bb.43:
	v_mad_u64_u32 v[5:6], null, s8, 19, v[0:1]
	v_mov_b32_e32 v6, 0
	s_delay_alu instid0(VALU_DEP_1) | instskip(NEXT) | instid1(VALU_DEP_1)
	v_lshlrev_b64 v[5:6], 3, v[5:6]
	v_add_co_u32 v5, vcc_lo, s10, v5
	s_delay_alu instid0(VALU_DEP_2)
	v_add_co_ci_u32_e32 v6, vcc_lo, s11, v6, vcc_lo
	global_load_b64 v[7:8], v[5:6], off
	s_waitcnt vmcnt(0)
	v_fma_f64 v[0:1], v[1:2], v[7:8], v[3:4]
	global_store_b64 v[5:6], v[0:1], off
	s_nop 0
	s_sendmsg sendmsg(MSG_DEALLOC_VGPRS)
	s_endpgm
	.section	.rodata,"a",@progbits
	.p2align	6, 0x0
	.amdhsa_kernel _ZN9rocsparseL20bsrxmvn_17_32_kernelILj19EdlifddEEvT2_20rocsparse_direction_NS_24const_host_device_scalarIT0_EES1_PKS1_PKT1_SA_S7_PKT3_PKT4_S5_PT5_21rocsparse_index_base_b
		.amdhsa_group_segment_fixed_size 2888
		.amdhsa_private_segment_fixed_size 0
		.amdhsa_kernarg_size 96
		.amdhsa_user_sgpr_count 15
		.amdhsa_user_sgpr_dispatch_ptr 0
		.amdhsa_user_sgpr_queue_ptr 0
		.amdhsa_user_sgpr_kernarg_segment_ptr 1
		.amdhsa_user_sgpr_dispatch_id 0
		.amdhsa_user_sgpr_private_segment_size 0
		.amdhsa_wavefront_size32 1
		.amdhsa_uses_dynamic_stack 0
		.amdhsa_enable_private_segment 0
		.amdhsa_system_sgpr_workgroup_id_x 1
		.amdhsa_system_sgpr_workgroup_id_y 0
		.amdhsa_system_sgpr_workgroup_id_z 0
		.amdhsa_system_sgpr_workgroup_info 0
		.amdhsa_system_vgpr_workitem_id 0
		.amdhsa_next_free_vgpr 18
		.amdhsa_next_free_sgpr 20
		.amdhsa_reserve_vcc 1
		.amdhsa_float_round_mode_32 0
		.amdhsa_float_round_mode_16_64 0
		.amdhsa_float_denorm_mode_32 3
		.amdhsa_float_denorm_mode_16_64 3
		.amdhsa_dx10_clamp 1
		.amdhsa_ieee_mode 1
		.amdhsa_fp16_overflow 0
		.amdhsa_workgroup_processor_mode 1
		.amdhsa_memory_ordered 1
		.amdhsa_forward_progress 0
		.amdhsa_shared_vgpr_count 0
		.amdhsa_exception_fp_ieee_invalid_op 0
		.amdhsa_exception_fp_denorm_src 0
		.amdhsa_exception_fp_ieee_div_zero 0
		.amdhsa_exception_fp_ieee_overflow 0
		.amdhsa_exception_fp_ieee_underflow 0
		.amdhsa_exception_fp_ieee_inexact 0
		.amdhsa_exception_int_div_zero 0
	.end_amdhsa_kernel
	.section	.text._ZN9rocsparseL20bsrxmvn_17_32_kernelILj19EdlifddEEvT2_20rocsparse_direction_NS_24const_host_device_scalarIT0_EES1_PKS1_PKT1_SA_S7_PKT3_PKT4_S5_PT5_21rocsparse_index_base_b,"axG",@progbits,_ZN9rocsparseL20bsrxmvn_17_32_kernelILj19EdlifddEEvT2_20rocsparse_direction_NS_24const_host_device_scalarIT0_EES1_PKS1_PKT1_SA_S7_PKT3_PKT4_S5_PT5_21rocsparse_index_base_b,comdat
.Lfunc_end498:
	.size	_ZN9rocsparseL20bsrxmvn_17_32_kernelILj19EdlifddEEvT2_20rocsparse_direction_NS_24const_host_device_scalarIT0_EES1_PKS1_PKT1_SA_S7_PKT3_PKT4_S5_PT5_21rocsparse_index_base_b, .Lfunc_end498-_ZN9rocsparseL20bsrxmvn_17_32_kernelILj19EdlifddEEvT2_20rocsparse_direction_NS_24const_host_device_scalarIT0_EES1_PKS1_PKT1_SA_S7_PKT3_PKT4_S5_PT5_21rocsparse_index_base_b
                                        ; -- End function
	.section	.AMDGPU.csdata,"",@progbits
; Kernel info:
; codeLenInByte = 1732
; NumSgprs: 22
; NumVgprs: 18
; ScratchSize: 0
; MemoryBound: 0
; FloatMode: 240
; IeeeMode: 1
; LDSByteSize: 2888 bytes/workgroup (compile time only)
; SGPRBlocks: 2
; VGPRBlocks: 2
; NumSGPRsForWavesPerEU: 22
; NumVGPRsForWavesPerEU: 18
; Occupancy: 15
; WaveLimiterHint : 1
; COMPUTE_PGM_RSRC2:SCRATCH_EN: 0
; COMPUTE_PGM_RSRC2:USER_SGPR: 15
; COMPUTE_PGM_RSRC2:TRAP_HANDLER: 0
; COMPUTE_PGM_RSRC2:TGID_X_EN: 1
; COMPUTE_PGM_RSRC2:TGID_Y_EN: 0
; COMPUTE_PGM_RSRC2:TGID_Z_EN: 0
; COMPUTE_PGM_RSRC2:TIDIG_COMP_CNT: 0
	.section	.text._ZN9rocsparseL20bsrxmvn_17_32_kernelILj20EdlifddEEvT2_20rocsparse_direction_NS_24const_host_device_scalarIT0_EES1_PKS1_PKT1_SA_S7_PKT3_PKT4_S5_PT5_21rocsparse_index_base_b,"axG",@progbits,_ZN9rocsparseL20bsrxmvn_17_32_kernelILj20EdlifddEEvT2_20rocsparse_direction_NS_24const_host_device_scalarIT0_EES1_PKS1_PKT1_SA_S7_PKT3_PKT4_S5_PT5_21rocsparse_index_base_b,comdat
	.globl	_ZN9rocsparseL20bsrxmvn_17_32_kernelILj20EdlifddEEvT2_20rocsparse_direction_NS_24const_host_device_scalarIT0_EES1_PKS1_PKT1_SA_S7_PKT3_PKT4_S5_PT5_21rocsparse_index_base_b ; -- Begin function _ZN9rocsparseL20bsrxmvn_17_32_kernelILj20EdlifddEEvT2_20rocsparse_direction_NS_24const_host_device_scalarIT0_EES1_PKS1_PKT1_SA_S7_PKT3_PKT4_S5_PT5_21rocsparse_index_base_b
	.p2align	8
	.type	_ZN9rocsparseL20bsrxmvn_17_32_kernelILj20EdlifddEEvT2_20rocsparse_direction_NS_24const_host_device_scalarIT0_EES1_PKS1_PKT1_SA_S7_PKT3_PKT4_S5_PT5_21rocsparse_index_base_b,@function
_ZN9rocsparseL20bsrxmvn_17_32_kernelILj20EdlifddEEvT2_20rocsparse_direction_NS_24const_host_device_scalarIT0_EES1_PKS1_PKT1_SA_S7_PKT3_PKT4_S5_PT5_21rocsparse_index_base_b: ; @_ZN9rocsparseL20bsrxmvn_17_32_kernelILj20EdlifddEEvT2_20rocsparse_direction_NS_24const_host_device_scalarIT0_EES1_PKS1_PKT1_SA_S7_PKT3_PKT4_S5_PT5_21rocsparse_index_base_b
; %bb.0:
	s_clause 0x2
	s_load_b64 s[12:13], s[0:1], 0x58
	s_load_b64 s[4:5], s[0:1], 0x8
	;; [unrolled: 1-line block ×3, first 2 shown]
	s_mov_b32 s8, s15
	s_waitcnt lgkmcnt(0)
	s_bitcmp1_b32 s13, 0
	v_dual_mov_b32 v3, s4 :: v_dual_mov_b32 v4, s5
	s_cselect_b32 s6, -1, 0
	s_delay_alu instid0(SALU_CYCLE_1)
	s_and_b32 vcc_lo, exec_lo, s6
	s_xor_b32 s6, s6, -1
	s_cbranch_vccnz .LBB499_2
; %bb.1:
	v_dual_mov_b32 v1, s4 :: v_dual_mov_b32 v2, s5
	flat_load_b64 v[3:4], v[1:2]
.LBB499_2:
	v_dual_mov_b32 v1, s2 :: v_dual_mov_b32 v2, s3
	s_and_not1_b32 vcc_lo, exec_lo, s6
	s_cbranch_vccnz .LBB499_4
; %bb.3:
	v_dual_mov_b32 v1, s2 :: v_dual_mov_b32 v2, s3
	flat_load_b64 v[1:2], v[1:2]
.LBB499_4:
	s_waitcnt vmcnt(0) lgkmcnt(0)
	v_cmp_neq_f64_e32 vcc_lo, 0, v[3:4]
	v_cmp_neq_f64_e64 s2, 1.0, v[1:2]
	s_delay_alu instid0(VALU_DEP_1) | instskip(NEXT) | instid1(SALU_CYCLE_1)
	s_or_b32 s2, vcc_lo, s2
	s_and_saveexec_b32 s3, s2
	s_cbranch_execz .LBB499_38
; %bb.5:
	s_clause 0x1
	s_load_b128 s[4:7], s[0:1], 0x18
	s_load_b64 s[10:11], s[0:1], 0x28
	s_waitcnt lgkmcnt(0)
	s_cmp_eq_u64 s[4:5], 0
	s_cbranch_scc1 .LBB499_7
; %bb.6:
	s_ashr_i32 s9, s8, 31
	s_delay_alu instid0(SALU_CYCLE_1) | instskip(NEXT) | instid1(SALU_CYCLE_1)
	s_lshl_b64 s[2:3], s[8:9], 2
	s_add_u32 s2, s4, s2
	s_addc_u32 s3, s5, s3
	s_load_b32 s2, s[2:3], 0x0
	s_waitcnt lgkmcnt(0)
	s_sub_i32 s8, s2, s12
.LBB499_7:
	s_load_b32 s3, s[0:1], 0x4
	v_mul_u32_u24_e32 v5, 0xccd, v0
	s_delay_alu instid0(VALU_DEP_1) | instskip(NEXT) | instid1(VALU_DEP_1)
	v_lshrrev_b32_e32 v7, 16, v5
	v_mul_lo_u16 v5, v7, 20
	s_delay_alu instid0(VALU_DEP_1)
	v_sub_nc_u16 v12, v0, v5
	v_mov_b32_e32 v5, 0
	v_mov_b32_e32 v6, 0
	s_waitcnt lgkmcnt(0)
	s_cmp_eq_u32 s3, 1
	s_cselect_b32 s2, -1, 0
	s_cmp_lg_u32 s3, 1
	s_cselect_b32 s3, -1, 0
	s_ashr_i32 s9, s8, 31
	s_delay_alu instid0(SALU_CYCLE_1) | instskip(NEXT) | instid1(SALU_CYCLE_1)
	s_lshl_b64 s[4:5], s[8:9], 3
	s_add_u32 s6, s6, s4
	s_addc_u32 s7, s7, s5
	s_add_u32 s9, s6, 8
	s_addc_u32 s13, s7, 0
	;; [unrolled: 2-line block ×3, first 2 shown]
	s_cmp_eq_u64 s[10:11], 0
	s_load_b64 s[10:11], s[0:1], 0x50
	s_cselect_b32 s5, s13, s5
	s_cselect_b32 s4, s9, s4
	s_load_b64 s[18:19], s[6:7], 0x0
	s_load_b64 s[14:15], s[4:5], 0x0
	s_waitcnt lgkmcnt(0)
	v_cmp_ge_i64_e64 s4, s[18:19], s[14:15]
	s_delay_alu instid0(VALU_DEP_1)
	s_and_b32 vcc_lo, exec_lo, s4
	s_cbranch_vccnz .LBB499_12
; %bb.8:
	v_mul_lo_u16 v5, v7, 13
	v_and_b32_e32 v6, 0xffff, v0
	s_sub_u32 s14, s14, s12
	s_subb_u32 s15, s15, 0
	s_sub_u32 s16, s18, s12
	v_lshrrev_b16 v5, 8, v5
	v_mul_u32_u24_e32 v6, 0xa4, v6
	s_subb_u32 s17, s19, 0
	s_clause 0x1
	s_load_b128 s[4:7], s[0:1], 0x30
	s_load_b64 s[0:1], s[0:1], 0x40
	s_mul_hi_u32 s9, s16, 0x640
	v_mul_lo_u16 v5, v5, 20
	v_lshrrev_b32_e32 v13, 16, v6
	s_mul_i32 s13, s17, 0x640
	v_and_b32_e32 v6, 0xffff, v12
	s_add_i32 s9, s9, s13
	v_sub_nc_u16 v5, v7, v5
	v_add_co_u32 v8, s13, s18, v13
	s_delay_alu instid0(VALU_DEP_1) | instskip(NEXT) | instid1(VALU_DEP_3)
	v_add_co_ci_u32_e64 v9, null, s19, 0, s13
	v_and_b32_e32 v5, 0xff, v5
	s_delay_alu instid0(VALU_DEP_1) | instskip(NEXT) | instid1(VALU_DEP_4)
	v_cndmask_b32_e64 v7, v6, v5, s2
	v_sub_co_u32 v5, vcc_lo, v8, s12
	s_delay_alu instid0(VALU_DEP_4) | instskip(SKIP_2) | instid1(VALU_DEP_2)
	v_subrev_co_ci_u32_e32 v6, vcc_lo, 0, v9, vcc_lo
	v_lshlrev_b32_e32 v8, 2, v0
	s_mul_i32 s2, s16, 0x640
	v_lshlrev_b64 v[10:11], 2, v[5:6]
	v_mov_b32_e32 v5, 0
	s_waitcnt lgkmcnt(0)
	s_add_u32 s2, s6, s2
	s_addc_u32 s6, s7, s9
	v_add_co_u32 v8, s2, s2, v8
	v_add_co_u32 v10, vcc_lo, s4, v10
	v_add_co_ci_u32_e64 v9, null, s6, 0, s2
	v_mov_b32_e32 v6, 0
	v_add_co_ci_u32_e32 v11, vcc_lo, s5, v11, vcc_lo
	s_set_inst_prefetch_distance 0x1
	s_branch .LBB499_10
	.p2align	6
.LBB499_9:                              ;   in Loop: Header=BB499_10 Depth=1
	s_or_b32 exec_lo, exec_lo, s2
	s_add_u32 s16, s16, 1
	s_addc_u32 s17, s17, 0
	v_add_co_u32 v10, vcc_lo, v10, 4
	v_cmp_lt_i64_e64 s2, s[16:17], s[14:15]
	v_add_co_ci_u32_e32 v11, vcc_lo, 0, v11, vcc_lo
	s_delay_alu instid0(VALU_DEP_2)
	s_and_b32 vcc_lo, exec_lo, s2
	s_cbranch_vccz .LBB499_12
.LBB499_10:                             ; =>This Inner Loop Header: Depth=1
	v_add_co_u32 v14, s2, v13, s16
	s_delay_alu instid0(VALU_DEP_1) | instskip(SKIP_1) | instid1(VALU_DEP_1)
	v_add_co_ci_u32_e64 v15, null, 0, s17, s2
	s_mov_b32 s2, exec_lo
	v_cmpx_gt_i64_e64 s[14:15], v[14:15]
	s_cbranch_execz .LBB499_9
; %bb.11:                               ;   in Loop: Header=BB499_10 Depth=1
	global_load_b32 v14, v[10:11], off
	global_load_b32 v16, v[8:9], off
	s_waitcnt vmcnt(1)
	v_subrev_nc_u32_e32 v17, s12, v14
	s_delay_alu instid0(VALU_DEP_1) | instskip(SKIP_2) | instid1(VALU_DEP_2)
	v_mad_u64_u32 v[14:15], null, v17, 20, v[7:8]
	s_waitcnt vmcnt(0)
	v_cvt_f64_f32_e32 v[16:17], v16
	v_ashrrev_i32_e32 v15, 31, v14
	s_delay_alu instid0(VALU_DEP_1) | instskip(NEXT) | instid1(VALU_DEP_1)
	v_lshlrev_b64 v[14:15], 3, v[14:15]
	v_add_co_u32 v14, vcc_lo, s0, v14
	s_delay_alu instid0(VALU_DEP_2)
	v_add_co_ci_u32_e32 v15, vcc_lo, s1, v15, vcc_lo
	v_add_co_u32 v8, vcc_lo, 0x640, v8
	v_add_co_ci_u32_e32 v9, vcc_lo, 0, v9, vcc_lo
	global_load_b64 v[14:15], v[14:15], off
	s_waitcnt vmcnt(0)
	v_fma_f64 v[5:6], v[16:17], v[14:15], v[5:6]
	s_branch .LBB499_9
.LBB499_12:
	s_set_inst_prefetch_distance 0x2
	v_lshlrev_b32_e32 v7, 3, v0
	s_and_b32 vcc_lo, exec_lo, s3
	ds_store_b64 v7, v[5:6]
	s_waitcnt lgkmcnt(0)
	s_barrier
	buffer_gl0_inv
	s_cbranch_vccz .LBB499_24
; %bb.13:
	v_cmp_gt_u16_e32 vcc_lo, 4, v12
	s_and_saveexec_b32 s0, vcc_lo
	s_cbranch_execz .LBB499_15
; %bb.14:
	ds_load_2addr_b64 v[8:11], v7 offset1:16
	s_waitcnt lgkmcnt(0)
	v_add_f64 v[8:9], v[10:11], v[8:9]
	ds_store_b64 v7, v[8:9]
.LBB499_15:
	s_or_b32 exec_lo, exec_lo, s0
	s_delay_alu instid0(SALU_CYCLE_1)
	s_mov_b32 s1, exec_lo
	s_waitcnt lgkmcnt(0)
	s_barrier
	buffer_gl0_inv
	v_cmpx_gt_u16_e32 8, v12
	s_cbranch_execz .LBB499_17
; %bb.16:
	ds_load_2addr_b64 v[8:11], v7 offset1:8
	s_waitcnt lgkmcnt(0)
	v_add_f64 v[8:9], v[10:11], v[8:9]
	ds_store_b64 v7, v[8:9]
.LBB499_17:
	s_or_b32 exec_lo, exec_lo, s1
	s_waitcnt lgkmcnt(0)
	s_barrier
	buffer_gl0_inv
	s_and_saveexec_b32 s0, vcc_lo
	s_cbranch_execz .LBB499_19
; %bb.18:
	ds_load_2addr_b64 v[8:11], v7 offset1:4
	s_waitcnt lgkmcnt(0)
	v_add_f64 v[8:9], v[10:11], v[8:9]
	ds_store_b64 v7, v[8:9]
.LBB499_19:
	s_or_b32 exec_lo, exec_lo, s0
	s_delay_alu instid0(SALU_CYCLE_1)
	s_mov_b32 s0, exec_lo
	s_waitcnt lgkmcnt(0)
	s_barrier
	buffer_gl0_inv
	v_cmpx_gt_u16_e32 2, v12
	s_cbranch_execz .LBB499_21
; %bb.20:
	ds_load_2addr_b64 v[8:11], v7 offset1:2
	s_waitcnt lgkmcnt(0)
	v_add_f64 v[8:9], v[10:11], v[8:9]
	ds_store_b64 v7, v[8:9]
.LBB499_21:
	s_or_b32 exec_lo, exec_lo, s0
	s_mov_b32 s0, 0
	s_mov_b32 s1, 0
	s_mov_b32 s2, exec_lo
	s_waitcnt lgkmcnt(0)
	s_barrier
	buffer_gl0_inv
                                        ; implicit-def: $vgpr8
                                        ; implicit-def: $vgpr9
	v_cmpx_gt_u32_e32 20, v0
	s_xor_b32 s2, exec_lo, s2
; %bb.22:
	v_mul_u32_u24_e32 v8, 20, v0
	v_mad_u32_u24 v9, 0x98, v0, v7
	s_mov_b32 s1, exec_lo
	s_delay_alu instid0(VALU_DEP_2)
	v_or_b32_e32 v8, 1, v8
; %bb.23:
	s_or_b32 exec_lo, exec_lo, s2
	s_delay_alu instid0(SALU_CYCLE_1)
	s_and_b32 vcc_lo, exec_lo, s0
	s_cbranch_vccnz .LBB499_25
	s_branch .LBB499_36
.LBB499_24:
	s_mov_b32 s1, 0
                                        ; implicit-def: $vgpr8
                                        ; implicit-def: $vgpr9
	s_cbranch_execz .LBB499_36
.LBB499_25:
	v_cmp_gt_u32_e32 vcc_lo, 0x50, v0
	s_and_saveexec_b32 s0, vcc_lo
	s_cbranch_execz .LBB499_27
; %bb.26:
	ds_load_2addr_stride64_b64 v[8:11], v7 offset1:5
	s_waitcnt lgkmcnt(0)
	v_add_f64 v[8:9], v[10:11], v[8:9]
	ds_store_b64 v7, v[8:9]
.LBB499_27:
	s_or_b32 exec_lo, exec_lo, s0
	s_delay_alu instid0(SALU_CYCLE_1)
	s_mov_b32 s2, exec_lo
	s_waitcnt lgkmcnt(0)
	s_barrier
	buffer_gl0_inv
	v_cmpx_gt_u32_e32 0xa0, v0
	s_cbranch_execz .LBB499_29
; %bb.28:
	ds_load_2addr_b64 v[8:11], v7 offset1:160
	s_waitcnt lgkmcnt(0)
	v_add_f64 v[8:9], v[10:11], v[8:9]
	ds_store_b64 v7, v[8:9]
.LBB499_29:
	s_or_b32 exec_lo, exec_lo, s2
	s_waitcnt lgkmcnt(0)
	s_barrier
	buffer_gl0_inv
	s_and_saveexec_b32 s0, vcc_lo
	s_cbranch_execz .LBB499_31
; %bb.30:
	ds_load_2addr_b64 v[8:11], v7 offset1:80
	s_waitcnt lgkmcnt(0)
	v_add_f64 v[8:9], v[10:11], v[8:9]
	ds_store_b64 v7, v[8:9]
.LBB499_31:
	s_or_b32 exec_lo, exec_lo, s0
	s_delay_alu instid0(SALU_CYCLE_1)
	s_mov_b32 s0, exec_lo
	s_waitcnt lgkmcnt(0)
	s_barrier
	buffer_gl0_inv
	v_cmpx_gt_u32_e32 40, v0
	s_cbranch_execz .LBB499_33
; %bb.32:
	ds_load_2addr_b64 v[8:11], v7 offset1:40
	s_waitcnt lgkmcnt(0)
	v_add_f64 v[8:9], v[10:11], v[8:9]
	ds_store_b64 v7, v[8:9]
.LBB499_33:
	s_or_b32 exec_lo, exec_lo, s0
	s_delay_alu instid0(SALU_CYCLE_1)
	s_mov_b32 s0, exec_lo
	s_waitcnt lgkmcnt(0)
	buffer_gl0_inv
                                        ; implicit-def: $vgpr8
	v_cmpx_gt_u32_e32 20, v0
; %bb.34:
	v_add_nc_u32_e32 v8, 20, v0
	s_or_b32 s1, s1, exec_lo
                                        ; implicit-def: $vgpr5_vgpr6
; %bb.35:
	s_or_b32 exec_lo, exec_lo, s0
	v_mov_b32_e32 v9, v7
.LBB499_36:
	s_and_saveexec_b32 s0, s1
	s_cbranch_execnz .LBB499_39
; %bb.37:
	s_or_b32 exec_lo, exec_lo, s0
	v_cmp_gt_u32_e32 vcc_lo, 20, v0
	s_and_b32 exec_lo, exec_lo, vcc_lo
	s_cbranch_execnz .LBB499_40
.LBB499_38:
	s_nop 0
	s_sendmsg sendmsg(MSG_DEALLOC_VGPRS)
	s_endpgm
.LBB499_39:
	v_lshlrev_b32_e32 v7, 3, v8
	ds_load_b64 v[5:6], v9
	ds_load_b64 v[7:8], v7
	s_waitcnt lgkmcnt(0)
	v_add_f64 v[5:6], v[5:6], v[7:8]
	s_or_b32 exec_lo, exec_lo, s0
	v_cmp_gt_u32_e32 vcc_lo, 20, v0
	s_and_b32 exec_lo, exec_lo, vcc_lo
	s_cbranch_execz .LBB499_38
.LBB499_40:
	s_delay_alu instid0(VALU_DEP_2)
	v_mul_f64 v[3:4], v[3:4], v[5:6]
	s_mov_b32 s0, exec_lo
	v_cmpx_eq_f64_e32 0, v[1:2]
	s_xor_b32 s0, exec_lo, s0
	s_cbranch_execz .LBB499_42
; %bb.41:
	v_mad_u64_u32 v[1:2], null, s8, 20, v[0:1]
	v_mov_b32_e32 v2, 0
	s_delay_alu instid0(VALU_DEP_1) | instskip(NEXT) | instid1(VALU_DEP_1)
	v_lshlrev_b64 v[0:1], 3, v[1:2]
	v_add_co_u32 v0, vcc_lo, s10, v0
	s_delay_alu instid0(VALU_DEP_2)
	v_add_co_ci_u32_e32 v1, vcc_lo, s11, v1, vcc_lo
	global_store_b64 v[0:1], v[3:4], off
                                        ; implicit-def: $vgpr0
                                        ; implicit-def: $vgpr1_vgpr2
                                        ; implicit-def: $vgpr3_vgpr4
.LBB499_42:
	s_and_not1_saveexec_b32 s0, s0
	s_cbranch_execz .LBB499_38
; %bb.43:
	v_mad_u64_u32 v[5:6], null, s8, 20, v[0:1]
	v_mov_b32_e32 v6, 0
	s_delay_alu instid0(VALU_DEP_1) | instskip(NEXT) | instid1(VALU_DEP_1)
	v_lshlrev_b64 v[5:6], 3, v[5:6]
	v_add_co_u32 v5, vcc_lo, s10, v5
	s_delay_alu instid0(VALU_DEP_2)
	v_add_co_ci_u32_e32 v6, vcc_lo, s11, v6, vcc_lo
	global_load_b64 v[7:8], v[5:6], off
	s_waitcnt vmcnt(0)
	v_fma_f64 v[0:1], v[1:2], v[7:8], v[3:4]
	global_store_b64 v[5:6], v[0:1], off
	s_nop 0
	s_sendmsg sendmsg(MSG_DEALLOC_VGPRS)
	s_endpgm
	.section	.rodata,"a",@progbits
	.p2align	6, 0x0
	.amdhsa_kernel _ZN9rocsparseL20bsrxmvn_17_32_kernelILj20EdlifddEEvT2_20rocsparse_direction_NS_24const_host_device_scalarIT0_EES1_PKS1_PKT1_SA_S7_PKT3_PKT4_S5_PT5_21rocsparse_index_base_b
		.amdhsa_group_segment_fixed_size 3200
		.amdhsa_private_segment_fixed_size 0
		.amdhsa_kernarg_size 96
		.amdhsa_user_sgpr_count 15
		.amdhsa_user_sgpr_dispatch_ptr 0
		.amdhsa_user_sgpr_queue_ptr 0
		.amdhsa_user_sgpr_kernarg_segment_ptr 1
		.amdhsa_user_sgpr_dispatch_id 0
		.amdhsa_user_sgpr_private_segment_size 0
		.amdhsa_wavefront_size32 1
		.amdhsa_uses_dynamic_stack 0
		.amdhsa_enable_private_segment 0
		.amdhsa_system_sgpr_workgroup_id_x 1
		.amdhsa_system_sgpr_workgroup_id_y 0
		.amdhsa_system_sgpr_workgroup_id_z 0
		.amdhsa_system_sgpr_workgroup_info 0
		.amdhsa_system_vgpr_workitem_id 0
		.amdhsa_next_free_vgpr 18
		.amdhsa_next_free_sgpr 20
		.amdhsa_reserve_vcc 1
		.amdhsa_float_round_mode_32 0
		.amdhsa_float_round_mode_16_64 0
		.amdhsa_float_denorm_mode_32 3
		.amdhsa_float_denorm_mode_16_64 3
		.amdhsa_dx10_clamp 1
		.amdhsa_ieee_mode 1
		.amdhsa_fp16_overflow 0
		.amdhsa_workgroup_processor_mode 1
		.amdhsa_memory_ordered 1
		.amdhsa_forward_progress 0
		.amdhsa_shared_vgpr_count 0
		.amdhsa_exception_fp_ieee_invalid_op 0
		.amdhsa_exception_fp_denorm_src 0
		.amdhsa_exception_fp_ieee_div_zero 0
		.amdhsa_exception_fp_ieee_overflow 0
		.amdhsa_exception_fp_ieee_underflow 0
		.amdhsa_exception_fp_ieee_inexact 0
		.amdhsa_exception_int_div_zero 0
	.end_amdhsa_kernel
	.section	.text._ZN9rocsparseL20bsrxmvn_17_32_kernelILj20EdlifddEEvT2_20rocsparse_direction_NS_24const_host_device_scalarIT0_EES1_PKS1_PKT1_SA_S7_PKT3_PKT4_S5_PT5_21rocsparse_index_base_b,"axG",@progbits,_ZN9rocsparseL20bsrxmvn_17_32_kernelILj20EdlifddEEvT2_20rocsparse_direction_NS_24const_host_device_scalarIT0_EES1_PKS1_PKT1_SA_S7_PKT3_PKT4_S5_PT5_21rocsparse_index_base_b,comdat
.Lfunc_end499:
	.size	_ZN9rocsparseL20bsrxmvn_17_32_kernelILj20EdlifddEEvT2_20rocsparse_direction_NS_24const_host_device_scalarIT0_EES1_PKS1_PKT1_SA_S7_PKT3_PKT4_S5_PT5_21rocsparse_index_base_b, .Lfunc_end499-_ZN9rocsparseL20bsrxmvn_17_32_kernelILj20EdlifddEEvT2_20rocsparse_direction_NS_24const_host_device_scalarIT0_EES1_PKS1_PKT1_SA_S7_PKT3_PKT4_S5_PT5_21rocsparse_index_base_b
                                        ; -- End function
	.section	.AMDGPU.csdata,"",@progbits
; Kernel info:
; codeLenInByte = 1712
; NumSgprs: 22
; NumVgprs: 18
; ScratchSize: 0
; MemoryBound: 0
; FloatMode: 240
; IeeeMode: 1
; LDSByteSize: 3200 bytes/workgroup (compile time only)
; SGPRBlocks: 2
; VGPRBlocks: 2
; NumSGPRsForWavesPerEU: 22
; NumVGPRsForWavesPerEU: 18
; Occupancy: 13
; WaveLimiterHint : 1
; COMPUTE_PGM_RSRC2:SCRATCH_EN: 0
; COMPUTE_PGM_RSRC2:USER_SGPR: 15
; COMPUTE_PGM_RSRC2:TRAP_HANDLER: 0
; COMPUTE_PGM_RSRC2:TGID_X_EN: 1
; COMPUTE_PGM_RSRC2:TGID_Y_EN: 0
; COMPUTE_PGM_RSRC2:TGID_Z_EN: 0
; COMPUTE_PGM_RSRC2:TIDIG_COMP_CNT: 0
	.section	.text._ZN9rocsparseL20bsrxmvn_17_32_kernelILj21EdlifddEEvT2_20rocsparse_direction_NS_24const_host_device_scalarIT0_EES1_PKS1_PKT1_SA_S7_PKT3_PKT4_S5_PT5_21rocsparse_index_base_b,"axG",@progbits,_ZN9rocsparseL20bsrxmvn_17_32_kernelILj21EdlifddEEvT2_20rocsparse_direction_NS_24const_host_device_scalarIT0_EES1_PKS1_PKT1_SA_S7_PKT3_PKT4_S5_PT5_21rocsparse_index_base_b,comdat
	.globl	_ZN9rocsparseL20bsrxmvn_17_32_kernelILj21EdlifddEEvT2_20rocsparse_direction_NS_24const_host_device_scalarIT0_EES1_PKS1_PKT1_SA_S7_PKT3_PKT4_S5_PT5_21rocsparse_index_base_b ; -- Begin function _ZN9rocsparseL20bsrxmvn_17_32_kernelILj21EdlifddEEvT2_20rocsparse_direction_NS_24const_host_device_scalarIT0_EES1_PKS1_PKT1_SA_S7_PKT3_PKT4_S5_PT5_21rocsparse_index_base_b
	.p2align	8
	.type	_ZN9rocsparseL20bsrxmvn_17_32_kernelILj21EdlifddEEvT2_20rocsparse_direction_NS_24const_host_device_scalarIT0_EES1_PKS1_PKT1_SA_S7_PKT3_PKT4_S5_PT5_21rocsparse_index_base_b,@function
_ZN9rocsparseL20bsrxmvn_17_32_kernelILj21EdlifddEEvT2_20rocsparse_direction_NS_24const_host_device_scalarIT0_EES1_PKS1_PKT1_SA_S7_PKT3_PKT4_S5_PT5_21rocsparse_index_base_b: ; @_ZN9rocsparseL20bsrxmvn_17_32_kernelILj21EdlifddEEvT2_20rocsparse_direction_NS_24const_host_device_scalarIT0_EES1_PKS1_PKT1_SA_S7_PKT3_PKT4_S5_PT5_21rocsparse_index_base_b
; %bb.0:
	s_clause 0x2
	s_load_b64 s[12:13], s[0:1], 0x58
	s_load_b64 s[4:5], s[0:1], 0x8
	;; [unrolled: 1-line block ×3, first 2 shown]
	s_mov_b32 s8, s15
	s_waitcnt lgkmcnt(0)
	s_bitcmp1_b32 s13, 0
	v_dual_mov_b32 v3, s4 :: v_dual_mov_b32 v4, s5
	s_cselect_b32 s6, -1, 0
	s_delay_alu instid0(SALU_CYCLE_1)
	s_and_b32 vcc_lo, exec_lo, s6
	s_xor_b32 s6, s6, -1
	s_cbranch_vccnz .LBB500_2
; %bb.1:
	v_dual_mov_b32 v1, s4 :: v_dual_mov_b32 v2, s5
	flat_load_b64 v[3:4], v[1:2]
.LBB500_2:
	v_dual_mov_b32 v1, s2 :: v_dual_mov_b32 v2, s3
	s_and_not1_b32 vcc_lo, exec_lo, s6
	s_cbranch_vccnz .LBB500_4
; %bb.3:
	v_dual_mov_b32 v1, s2 :: v_dual_mov_b32 v2, s3
	flat_load_b64 v[1:2], v[1:2]
.LBB500_4:
	s_waitcnt vmcnt(0) lgkmcnt(0)
	v_cmp_neq_f64_e32 vcc_lo, 0, v[3:4]
	v_cmp_neq_f64_e64 s2, 1.0, v[1:2]
	s_delay_alu instid0(VALU_DEP_1) | instskip(NEXT) | instid1(SALU_CYCLE_1)
	s_or_b32 s2, vcc_lo, s2
	s_and_saveexec_b32 s3, s2
	s_cbranch_execz .LBB500_38
; %bb.5:
	s_clause 0x1
	s_load_b128 s[4:7], s[0:1], 0x18
	s_load_b64 s[10:11], s[0:1], 0x28
	s_waitcnt lgkmcnt(0)
	s_cmp_eq_u64 s[4:5], 0
	s_cbranch_scc1 .LBB500_7
; %bb.6:
	s_ashr_i32 s9, s8, 31
	s_delay_alu instid0(SALU_CYCLE_1) | instskip(NEXT) | instid1(SALU_CYCLE_1)
	s_lshl_b64 s[2:3], s[8:9], 2
	s_add_u32 s2, s4, s2
	s_addc_u32 s3, s5, s3
	s_load_b32 s2, s[2:3], 0x0
	s_waitcnt lgkmcnt(0)
	s_sub_i32 s8, s2, s12
.LBB500_7:
	s_load_b32 s3, s[0:1], 0x4
	v_mul_u32_u24_e32 v5, 0xc31, v0
	s_delay_alu instid0(VALU_DEP_1) | instskip(NEXT) | instid1(VALU_DEP_1)
	v_lshrrev_b32_e32 v7, 16, v5
	v_mul_lo_u16 v5, v7, 21
	s_delay_alu instid0(VALU_DEP_1)
	v_sub_nc_u16 v12, v0, v5
	v_mov_b32_e32 v5, 0
	v_mov_b32_e32 v6, 0
	s_waitcnt lgkmcnt(0)
	s_cmp_eq_u32 s3, 1
	s_cselect_b32 s2, -1, 0
	s_cmp_lg_u32 s3, 1
	s_cselect_b32 s3, -1, 0
	s_ashr_i32 s9, s8, 31
	s_delay_alu instid0(SALU_CYCLE_1) | instskip(NEXT) | instid1(SALU_CYCLE_1)
	s_lshl_b64 s[4:5], s[8:9], 3
	s_add_u32 s6, s6, s4
	s_addc_u32 s7, s7, s5
	s_add_u32 s9, s6, 8
	s_addc_u32 s13, s7, 0
	;; [unrolled: 2-line block ×3, first 2 shown]
	s_cmp_eq_u64 s[10:11], 0
	s_load_b64 s[10:11], s[0:1], 0x50
	s_cselect_b32 s5, s13, s5
	s_cselect_b32 s4, s9, s4
	s_load_b64 s[18:19], s[6:7], 0x0
	s_load_b64 s[14:15], s[4:5], 0x0
	s_waitcnt lgkmcnt(0)
	v_cmp_ge_i64_e64 s4, s[18:19], s[14:15]
	s_delay_alu instid0(VALU_DEP_1)
	s_and_b32 vcc_lo, exec_lo, s4
	s_cbranch_vccnz .LBB500_12
; %bb.8:
	v_mul_lo_u16 v5, v7, 25
	v_and_b32_e32 v6, 0xffff, v0
	s_sub_u32 s14, s14, s12
	s_subb_u32 s15, s15, 0
	s_sub_u32 s16, s18, s12
	v_lshrrev_b16 v5, 9, v5
	v_mul_u32_u24_e32 v6, 0x253, v6
	s_subb_u32 s17, s19, 0
	s_clause 0x1
	s_load_b128 s[4:7], s[0:1], 0x30
	s_load_b64 s[0:1], s[0:1], 0x40
	s_mul_hi_u32 s9, s16, 0x6e4
	v_mul_lo_u16 v5, v5, 21
	v_lshrrev_b32_e32 v13, 18, v6
	s_mul_i32 s13, s17, 0x6e4
	v_and_b32_e32 v6, 0xffff, v12
	s_add_i32 s9, s9, s13
	v_sub_nc_u16 v5, v7, v5
	v_add_co_u32 v8, s13, s18, v13
	s_delay_alu instid0(VALU_DEP_1) | instskip(NEXT) | instid1(VALU_DEP_3)
	v_add_co_ci_u32_e64 v9, null, s19, 0, s13
	v_and_b32_e32 v5, 0xff, v5
	s_delay_alu instid0(VALU_DEP_1) | instskip(NEXT) | instid1(VALU_DEP_4)
	v_cndmask_b32_e64 v7, v6, v5, s2
	v_sub_co_u32 v5, vcc_lo, v8, s12
	s_delay_alu instid0(VALU_DEP_4) | instskip(SKIP_2) | instid1(VALU_DEP_2)
	v_subrev_co_ci_u32_e32 v6, vcc_lo, 0, v9, vcc_lo
	v_lshlrev_b32_e32 v8, 2, v0
	s_mul_i32 s2, s16, 0x6e4
	v_lshlrev_b64 v[10:11], 2, v[5:6]
	v_mov_b32_e32 v5, 0
	s_waitcnt lgkmcnt(0)
	s_add_u32 s2, s6, s2
	s_addc_u32 s6, s7, s9
	v_add_co_u32 v8, s2, s2, v8
	v_add_co_u32 v10, vcc_lo, s4, v10
	v_add_co_ci_u32_e64 v9, null, s6, 0, s2
	v_mov_b32_e32 v6, 0
	v_add_co_ci_u32_e32 v11, vcc_lo, s5, v11, vcc_lo
	s_set_inst_prefetch_distance 0x1
	s_branch .LBB500_10
	.p2align	6
.LBB500_9:                              ;   in Loop: Header=BB500_10 Depth=1
	s_or_b32 exec_lo, exec_lo, s2
	s_add_u32 s16, s16, 1
	s_addc_u32 s17, s17, 0
	v_add_co_u32 v10, vcc_lo, v10, 4
	v_cmp_lt_i64_e64 s2, s[16:17], s[14:15]
	v_add_co_ci_u32_e32 v11, vcc_lo, 0, v11, vcc_lo
	s_delay_alu instid0(VALU_DEP_2)
	s_and_b32 vcc_lo, exec_lo, s2
	s_cbranch_vccz .LBB500_12
.LBB500_10:                             ; =>This Inner Loop Header: Depth=1
	v_add_co_u32 v14, s2, v13, s16
	s_delay_alu instid0(VALU_DEP_1) | instskip(SKIP_1) | instid1(VALU_DEP_1)
	v_add_co_ci_u32_e64 v15, null, 0, s17, s2
	s_mov_b32 s2, exec_lo
	v_cmpx_gt_i64_e64 s[14:15], v[14:15]
	s_cbranch_execz .LBB500_9
; %bb.11:                               ;   in Loop: Header=BB500_10 Depth=1
	global_load_b32 v14, v[10:11], off
	global_load_b32 v16, v[8:9], off
	s_waitcnt vmcnt(1)
	v_subrev_nc_u32_e32 v17, s12, v14
	s_delay_alu instid0(VALU_DEP_1) | instskip(SKIP_2) | instid1(VALU_DEP_2)
	v_mad_u64_u32 v[14:15], null, v17, 21, v[7:8]
	s_waitcnt vmcnt(0)
	v_cvt_f64_f32_e32 v[16:17], v16
	v_ashrrev_i32_e32 v15, 31, v14
	s_delay_alu instid0(VALU_DEP_1) | instskip(NEXT) | instid1(VALU_DEP_1)
	v_lshlrev_b64 v[14:15], 3, v[14:15]
	v_add_co_u32 v14, vcc_lo, s0, v14
	s_delay_alu instid0(VALU_DEP_2)
	v_add_co_ci_u32_e32 v15, vcc_lo, s1, v15, vcc_lo
	v_add_co_u32 v8, vcc_lo, 0x6e4, v8
	v_add_co_ci_u32_e32 v9, vcc_lo, 0, v9, vcc_lo
	global_load_b64 v[14:15], v[14:15], off
	s_waitcnt vmcnt(0)
	v_fma_f64 v[5:6], v[16:17], v[14:15], v[5:6]
	s_branch .LBB500_9
.LBB500_12:
	s_set_inst_prefetch_distance 0x2
	v_lshlrev_b32_e32 v7, 3, v0
	s_and_b32 vcc_lo, exec_lo, s3
	ds_store_b64 v7, v[5:6]
	s_waitcnt lgkmcnt(0)
	s_barrier
	buffer_gl0_inv
	s_cbranch_vccz .LBB500_24
; %bb.13:
	s_mov_b32 s0, exec_lo
	v_cmpx_gt_u16_e32 5, v12
	s_cbranch_execz .LBB500_15
; %bb.14:
	ds_load_2addr_b64 v[8:11], v7 offset1:16
	s_waitcnt lgkmcnt(0)
	v_add_f64 v[8:9], v[10:11], v[8:9]
	ds_store_b64 v7, v[8:9]
.LBB500_15:
	s_or_b32 exec_lo, exec_lo, s0
	s_delay_alu instid0(SALU_CYCLE_1)
	s_mov_b32 s0, exec_lo
	s_waitcnt lgkmcnt(0)
	s_barrier
	buffer_gl0_inv
	v_cmpx_gt_u16_e32 8, v12
	s_cbranch_execz .LBB500_17
; %bb.16:
	ds_load_2addr_b64 v[8:11], v7 offset1:8
	s_waitcnt lgkmcnt(0)
	v_add_f64 v[8:9], v[10:11], v[8:9]
	ds_store_b64 v7, v[8:9]
.LBB500_17:
	s_or_b32 exec_lo, exec_lo, s0
	s_delay_alu instid0(SALU_CYCLE_1)
	s_mov_b32 s0, exec_lo
	s_waitcnt lgkmcnt(0)
	s_barrier
	buffer_gl0_inv
	v_cmpx_gt_u16_e32 4, v12
	s_cbranch_execz .LBB500_19
; %bb.18:
	ds_load_2addr_b64 v[8:11], v7 offset1:4
	s_waitcnt lgkmcnt(0)
	v_add_f64 v[8:9], v[10:11], v[8:9]
	ds_store_b64 v7, v[8:9]
.LBB500_19:
	s_or_b32 exec_lo, exec_lo, s0
	s_delay_alu instid0(SALU_CYCLE_1)
	s_mov_b32 s0, exec_lo
	s_waitcnt lgkmcnt(0)
	s_barrier
	buffer_gl0_inv
	v_cmpx_gt_u16_e32 2, v12
	s_cbranch_execz .LBB500_21
; %bb.20:
	ds_load_2addr_b64 v[8:11], v7 offset1:2
	s_waitcnt lgkmcnt(0)
	v_add_f64 v[8:9], v[10:11], v[8:9]
	ds_store_b64 v7, v[8:9]
.LBB500_21:
	s_or_b32 exec_lo, exec_lo, s0
	s_mov_b32 s1, 0
	s_mov_b32 s0, 0
	s_mov_b32 s2, exec_lo
	s_waitcnt lgkmcnt(0)
	s_barrier
	buffer_gl0_inv
                                        ; implicit-def: $vgpr8
                                        ; implicit-def: $vgpr9
	v_cmpx_gt_u32_e32 21, v0
	s_xor_b32 s2, exec_lo, s2
; %bb.22:
	v_mad_u32_u24 v8, v0, 21, 1
	v_mad_u32_u24 v9, 0xa0, v0, v7
	s_mov_b32 s0, exec_lo
; %bb.23:
	s_or_b32 exec_lo, exec_lo, s2
	s_delay_alu instid0(SALU_CYCLE_1)
	s_and_b32 vcc_lo, exec_lo, s1
	s_cbranch_vccnz .LBB500_25
	s_branch .LBB500_36
.LBB500_24:
	s_mov_b32 s0, 0
                                        ; implicit-def: $vgpr8
                                        ; implicit-def: $vgpr9
	s_cbranch_execz .LBB500_36
.LBB500_25:
	s_mov_b32 s1, exec_lo
	v_cmpx_gt_u32_e32 0x69, v0
	s_cbranch_execz .LBB500_27
; %bb.26:
	ds_load_b64 v[8:9], v7 offset:2688
	ds_load_b64 v[10:11], v7
	s_waitcnt lgkmcnt(0)
	v_add_f64 v[8:9], v[8:9], v[10:11]
	ds_store_b64 v7, v[8:9]
.LBB500_27:
	s_or_b32 exec_lo, exec_lo, s1
	s_delay_alu instid0(SALU_CYCLE_1)
	s_mov_b32 s1, exec_lo
	s_waitcnt lgkmcnt(0)
	s_barrier
	buffer_gl0_inv
	v_cmpx_gt_u32_e32 0xa8, v0
	s_cbranch_execz .LBB500_29
; %bb.28:
	ds_load_2addr_b64 v[8:11], v7 offset1:168
	s_waitcnt lgkmcnt(0)
	v_add_f64 v[8:9], v[10:11], v[8:9]
	ds_store_b64 v7, v[8:9]
.LBB500_29:
	s_or_b32 exec_lo, exec_lo, s1
	s_delay_alu instid0(SALU_CYCLE_1)
	s_mov_b32 s1, exec_lo
	s_waitcnt lgkmcnt(0)
	s_barrier
	buffer_gl0_inv
	v_cmpx_gt_u32_e32 0x54, v0
	s_cbranch_execz .LBB500_31
; %bb.30:
	ds_load_2addr_b64 v[8:11], v7 offset1:84
	s_waitcnt lgkmcnt(0)
	v_add_f64 v[8:9], v[10:11], v[8:9]
	ds_store_b64 v7, v[8:9]
.LBB500_31:
	s_or_b32 exec_lo, exec_lo, s1
	s_delay_alu instid0(SALU_CYCLE_1)
	s_mov_b32 s1, exec_lo
	s_waitcnt lgkmcnt(0)
	s_barrier
	buffer_gl0_inv
	v_cmpx_gt_u32_e32 42, v0
	s_cbranch_execz .LBB500_33
; %bb.32:
	ds_load_2addr_b64 v[8:11], v7 offset1:42
	s_waitcnt lgkmcnt(0)
	v_add_f64 v[8:9], v[10:11], v[8:9]
	ds_store_b64 v7, v[8:9]
.LBB500_33:
	s_or_b32 exec_lo, exec_lo, s1
	s_delay_alu instid0(SALU_CYCLE_1)
	s_mov_b32 s1, exec_lo
	s_waitcnt lgkmcnt(0)
	buffer_gl0_inv
                                        ; implicit-def: $vgpr8
	v_cmpx_gt_u32_e32 21, v0
; %bb.34:
	v_add_nc_u32_e32 v8, 21, v0
	s_or_b32 s0, s0, exec_lo
                                        ; implicit-def: $vgpr5_vgpr6
; %bb.35:
	s_or_b32 exec_lo, exec_lo, s1
	v_mov_b32_e32 v9, v7
.LBB500_36:
	s_and_saveexec_b32 s1, s0
	s_cbranch_execnz .LBB500_39
; %bb.37:
	s_or_b32 exec_lo, exec_lo, s1
	v_cmp_gt_u32_e32 vcc_lo, 21, v0
	s_and_b32 exec_lo, exec_lo, vcc_lo
	s_cbranch_execnz .LBB500_40
.LBB500_38:
	s_nop 0
	s_sendmsg sendmsg(MSG_DEALLOC_VGPRS)
	s_endpgm
.LBB500_39:
	v_lshlrev_b32_e32 v7, 3, v8
	ds_load_b64 v[5:6], v9
	ds_load_b64 v[7:8], v7
	s_waitcnt lgkmcnt(0)
	v_add_f64 v[5:6], v[5:6], v[7:8]
	s_or_b32 exec_lo, exec_lo, s1
	v_cmp_gt_u32_e32 vcc_lo, 21, v0
	s_and_b32 exec_lo, exec_lo, vcc_lo
	s_cbranch_execz .LBB500_38
.LBB500_40:
	s_delay_alu instid0(VALU_DEP_2)
	v_mul_f64 v[3:4], v[3:4], v[5:6]
	s_mov_b32 s0, exec_lo
	v_cmpx_eq_f64_e32 0, v[1:2]
	s_xor_b32 s0, exec_lo, s0
	s_cbranch_execz .LBB500_42
; %bb.41:
	v_mad_u64_u32 v[1:2], null, s8, 21, v[0:1]
	v_mov_b32_e32 v2, 0
	s_delay_alu instid0(VALU_DEP_1) | instskip(NEXT) | instid1(VALU_DEP_1)
	v_lshlrev_b64 v[0:1], 3, v[1:2]
	v_add_co_u32 v0, vcc_lo, s10, v0
	s_delay_alu instid0(VALU_DEP_2)
	v_add_co_ci_u32_e32 v1, vcc_lo, s11, v1, vcc_lo
	global_store_b64 v[0:1], v[3:4], off
                                        ; implicit-def: $vgpr0
                                        ; implicit-def: $vgpr1_vgpr2
                                        ; implicit-def: $vgpr3_vgpr4
.LBB500_42:
	s_and_not1_saveexec_b32 s0, s0
	s_cbranch_execz .LBB500_38
; %bb.43:
	v_mad_u64_u32 v[5:6], null, s8, 21, v[0:1]
	v_mov_b32_e32 v6, 0
	s_delay_alu instid0(VALU_DEP_1) | instskip(NEXT) | instid1(VALU_DEP_1)
	v_lshlrev_b64 v[5:6], 3, v[5:6]
	v_add_co_u32 v5, vcc_lo, s10, v5
	s_delay_alu instid0(VALU_DEP_2)
	v_add_co_ci_u32_e32 v6, vcc_lo, s11, v6, vcc_lo
	global_load_b64 v[7:8], v[5:6], off
	s_waitcnt vmcnt(0)
	v_fma_f64 v[0:1], v[1:2], v[7:8], v[3:4]
	global_store_b64 v[5:6], v[0:1], off
	s_nop 0
	s_sendmsg sendmsg(MSG_DEALLOC_VGPRS)
	s_endpgm
	.section	.rodata,"a",@progbits
	.p2align	6, 0x0
	.amdhsa_kernel _ZN9rocsparseL20bsrxmvn_17_32_kernelILj21EdlifddEEvT2_20rocsparse_direction_NS_24const_host_device_scalarIT0_EES1_PKS1_PKT1_SA_S7_PKT3_PKT4_S5_PT5_21rocsparse_index_base_b
		.amdhsa_group_segment_fixed_size 3528
		.amdhsa_private_segment_fixed_size 0
		.amdhsa_kernarg_size 96
		.amdhsa_user_sgpr_count 15
		.amdhsa_user_sgpr_dispatch_ptr 0
		.amdhsa_user_sgpr_queue_ptr 0
		.amdhsa_user_sgpr_kernarg_segment_ptr 1
		.amdhsa_user_sgpr_dispatch_id 0
		.amdhsa_user_sgpr_private_segment_size 0
		.amdhsa_wavefront_size32 1
		.amdhsa_uses_dynamic_stack 0
		.amdhsa_enable_private_segment 0
		.amdhsa_system_sgpr_workgroup_id_x 1
		.amdhsa_system_sgpr_workgroup_id_y 0
		.amdhsa_system_sgpr_workgroup_id_z 0
		.amdhsa_system_sgpr_workgroup_info 0
		.amdhsa_system_vgpr_workitem_id 0
		.amdhsa_next_free_vgpr 18
		.amdhsa_next_free_sgpr 20
		.amdhsa_reserve_vcc 1
		.amdhsa_float_round_mode_32 0
		.amdhsa_float_round_mode_16_64 0
		.amdhsa_float_denorm_mode_32 3
		.amdhsa_float_denorm_mode_16_64 3
		.amdhsa_dx10_clamp 1
		.amdhsa_ieee_mode 1
		.amdhsa_fp16_overflow 0
		.amdhsa_workgroup_processor_mode 1
		.amdhsa_memory_ordered 1
		.amdhsa_forward_progress 0
		.amdhsa_shared_vgpr_count 0
		.amdhsa_exception_fp_ieee_invalid_op 0
		.amdhsa_exception_fp_denorm_src 0
		.amdhsa_exception_fp_ieee_div_zero 0
		.amdhsa_exception_fp_ieee_overflow 0
		.amdhsa_exception_fp_ieee_underflow 0
		.amdhsa_exception_fp_ieee_inexact 0
		.amdhsa_exception_int_div_zero 0
	.end_amdhsa_kernel
	.section	.text._ZN9rocsparseL20bsrxmvn_17_32_kernelILj21EdlifddEEvT2_20rocsparse_direction_NS_24const_host_device_scalarIT0_EES1_PKS1_PKT1_SA_S7_PKT3_PKT4_S5_PT5_21rocsparse_index_base_b,"axG",@progbits,_ZN9rocsparseL20bsrxmvn_17_32_kernelILj21EdlifddEEvT2_20rocsparse_direction_NS_24const_host_device_scalarIT0_EES1_PKS1_PKT1_SA_S7_PKT3_PKT4_S5_PT5_21rocsparse_index_base_b,comdat
.Lfunc_end500:
	.size	_ZN9rocsparseL20bsrxmvn_17_32_kernelILj21EdlifddEEvT2_20rocsparse_direction_NS_24const_host_device_scalarIT0_EES1_PKS1_PKT1_SA_S7_PKT3_PKT4_S5_PT5_21rocsparse_index_base_b, .Lfunc_end500-_ZN9rocsparseL20bsrxmvn_17_32_kernelILj21EdlifddEEvT2_20rocsparse_direction_NS_24const_host_device_scalarIT0_EES1_PKS1_PKT1_SA_S7_PKT3_PKT4_S5_PT5_21rocsparse_index_base_b
                                        ; -- End function
	.section	.AMDGPU.csdata,"",@progbits
; Kernel info:
; codeLenInByte = 1736
; NumSgprs: 22
; NumVgprs: 18
; ScratchSize: 0
; MemoryBound: 0
; FloatMode: 240
; IeeeMode: 1
; LDSByteSize: 3528 bytes/workgroup (compile time only)
; SGPRBlocks: 2
; VGPRBlocks: 2
; NumSGPRsForWavesPerEU: 22
; NumVGPRsForWavesPerEU: 18
; Occupancy: 14
; WaveLimiterHint : 1
; COMPUTE_PGM_RSRC2:SCRATCH_EN: 0
; COMPUTE_PGM_RSRC2:USER_SGPR: 15
; COMPUTE_PGM_RSRC2:TRAP_HANDLER: 0
; COMPUTE_PGM_RSRC2:TGID_X_EN: 1
; COMPUTE_PGM_RSRC2:TGID_Y_EN: 0
; COMPUTE_PGM_RSRC2:TGID_Z_EN: 0
; COMPUTE_PGM_RSRC2:TIDIG_COMP_CNT: 0
	.section	.text._ZN9rocsparseL20bsrxmvn_17_32_kernelILj22EdlifddEEvT2_20rocsparse_direction_NS_24const_host_device_scalarIT0_EES1_PKS1_PKT1_SA_S7_PKT3_PKT4_S5_PT5_21rocsparse_index_base_b,"axG",@progbits,_ZN9rocsparseL20bsrxmvn_17_32_kernelILj22EdlifddEEvT2_20rocsparse_direction_NS_24const_host_device_scalarIT0_EES1_PKS1_PKT1_SA_S7_PKT3_PKT4_S5_PT5_21rocsparse_index_base_b,comdat
	.globl	_ZN9rocsparseL20bsrxmvn_17_32_kernelILj22EdlifddEEvT2_20rocsparse_direction_NS_24const_host_device_scalarIT0_EES1_PKS1_PKT1_SA_S7_PKT3_PKT4_S5_PT5_21rocsparse_index_base_b ; -- Begin function _ZN9rocsparseL20bsrxmvn_17_32_kernelILj22EdlifddEEvT2_20rocsparse_direction_NS_24const_host_device_scalarIT0_EES1_PKS1_PKT1_SA_S7_PKT3_PKT4_S5_PT5_21rocsparse_index_base_b
	.p2align	8
	.type	_ZN9rocsparseL20bsrxmvn_17_32_kernelILj22EdlifddEEvT2_20rocsparse_direction_NS_24const_host_device_scalarIT0_EES1_PKS1_PKT1_SA_S7_PKT3_PKT4_S5_PT5_21rocsparse_index_base_b,@function
_ZN9rocsparseL20bsrxmvn_17_32_kernelILj22EdlifddEEvT2_20rocsparse_direction_NS_24const_host_device_scalarIT0_EES1_PKS1_PKT1_SA_S7_PKT3_PKT4_S5_PT5_21rocsparse_index_base_b: ; @_ZN9rocsparseL20bsrxmvn_17_32_kernelILj22EdlifddEEvT2_20rocsparse_direction_NS_24const_host_device_scalarIT0_EES1_PKS1_PKT1_SA_S7_PKT3_PKT4_S5_PT5_21rocsparse_index_base_b
; %bb.0:
	s_clause 0x2
	s_load_b64 s[12:13], s[0:1], 0x58
	s_load_b64 s[4:5], s[0:1], 0x8
	;; [unrolled: 1-line block ×3, first 2 shown]
	s_mov_b32 s8, s15
	s_waitcnt lgkmcnt(0)
	s_bitcmp1_b32 s13, 0
	v_dual_mov_b32 v3, s4 :: v_dual_mov_b32 v4, s5
	s_cselect_b32 s6, -1, 0
	s_delay_alu instid0(SALU_CYCLE_1)
	s_and_b32 vcc_lo, exec_lo, s6
	s_xor_b32 s6, s6, -1
	s_cbranch_vccnz .LBB501_2
; %bb.1:
	v_dual_mov_b32 v1, s4 :: v_dual_mov_b32 v2, s5
	flat_load_b64 v[3:4], v[1:2]
.LBB501_2:
	v_dual_mov_b32 v1, s2 :: v_dual_mov_b32 v2, s3
	s_and_not1_b32 vcc_lo, exec_lo, s6
	s_cbranch_vccnz .LBB501_4
; %bb.3:
	v_dual_mov_b32 v1, s2 :: v_dual_mov_b32 v2, s3
	flat_load_b64 v[1:2], v[1:2]
.LBB501_4:
	s_waitcnt vmcnt(0) lgkmcnt(0)
	v_cmp_neq_f64_e32 vcc_lo, 0, v[3:4]
	v_cmp_neq_f64_e64 s2, 1.0, v[1:2]
	s_delay_alu instid0(VALU_DEP_1) | instskip(NEXT) | instid1(SALU_CYCLE_1)
	s_or_b32 s2, vcc_lo, s2
	s_and_saveexec_b32 s3, s2
	s_cbranch_execz .LBB501_38
; %bb.5:
	s_clause 0x1
	s_load_b128 s[4:7], s[0:1], 0x18
	s_load_b64 s[10:11], s[0:1], 0x28
	s_waitcnt lgkmcnt(0)
	s_cmp_eq_u64 s[4:5], 0
	s_cbranch_scc1 .LBB501_7
; %bb.6:
	s_ashr_i32 s9, s8, 31
	s_delay_alu instid0(SALU_CYCLE_1) | instskip(NEXT) | instid1(SALU_CYCLE_1)
	s_lshl_b64 s[2:3], s[8:9], 2
	s_add_u32 s2, s4, s2
	s_addc_u32 s3, s5, s3
	s_load_b32 s2, s[2:3], 0x0
	s_waitcnt lgkmcnt(0)
	s_sub_i32 s8, s2, s12
.LBB501_7:
	s_load_b32 s3, s[0:1], 0x4
	v_mul_u32_u24_e32 v5, 0xba3, v0
	s_delay_alu instid0(VALU_DEP_1) | instskip(NEXT) | instid1(VALU_DEP_1)
	v_lshrrev_b32_e32 v7, 16, v5
	v_mul_lo_u16 v5, v7, 22
	s_delay_alu instid0(VALU_DEP_1)
	v_sub_nc_u16 v12, v0, v5
	v_mov_b32_e32 v5, 0
	v_mov_b32_e32 v6, 0
	s_waitcnt lgkmcnt(0)
	s_cmp_eq_u32 s3, 1
	s_cselect_b32 s2, -1, 0
	s_cmp_lg_u32 s3, 1
	s_cselect_b32 s3, -1, 0
	s_ashr_i32 s9, s8, 31
	s_delay_alu instid0(SALU_CYCLE_1) | instskip(NEXT) | instid1(SALU_CYCLE_1)
	s_lshl_b64 s[4:5], s[8:9], 3
	s_add_u32 s6, s6, s4
	s_addc_u32 s7, s7, s5
	s_add_u32 s9, s6, 8
	s_addc_u32 s13, s7, 0
	;; [unrolled: 2-line block ×3, first 2 shown]
	s_cmp_eq_u64 s[10:11], 0
	s_load_b64 s[10:11], s[0:1], 0x50
	s_cselect_b32 s5, s13, s5
	s_cselect_b32 s4, s9, s4
	s_load_b64 s[18:19], s[6:7], 0x0
	s_load_b64 s[14:15], s[4:5], 0x0
	s_waitcnt lgkmcnt(0)
	v_cmp_ge_i64_e64 s4, s[18:19], s[14:15]
	s_delay_alu instid0(VALU_DEP_1)
	s_and_b32 vcc_lo, exec_lo, s4
	s_cbranch_vccnz .LBB501_12
; %bb.8:
	v_mul_lo_u16 v5, v7, 12
	v_and_b32_e32 v6, 0xffff, v0
	s_sub_u32 s14, s14, s12
	s_subb_u32 s15, s15, 0
	s_sub_u32 s16, s18, s12
	v_lshrrev_b16 v5, 8, v5
	v_mul_u32_u24_e32 v6, 0x10f, v6
	s_subb_u32 s17, s19, 0
	s_clause 0x1
	s_load_b128 s[4:7], s[0:1], 0x30
	s_load_b64 s[0:1], s[0:1], 0x40
	s_mul_hi_u32 s9, s16, 0x790
	v_mul_lo_u16 v5, v5, 22
	v_lshrrev_b32_e32 v13, 17, v6
	s_mul_i32 s13, s17, 0x790
	v_and_b32_e32 v6, 0xffff, v12
	s_add_i32 s9, s9, s13
	v_sub_nc_u16 v5, v7, v5
	v_add_co_u32 v8, s13, s18, v13
	s_delay_alu instid0(VALU_DEP_1) | instskip(NEXT) | instid1(VALU_DEP_3)
	v_add_co_ci_u32_e64 v9, null, s19, 0, s13
	v_and_b32_e32 v5, 0xff, v5
	s_delay_alu instid0(VALU_DEP_1) | instskip(NEXT) | instid1(VALU_DEP_4)
	v_cndmask_b32_e64 v7, v6, v5, s2
	v_sub_co_u32 v5, vcc_lo, v8, s12
	s_delay_alu instid0(VALU_DEP_4) | instskip(SKIP_2) | instid1(VALU_DEP_2)
	v_subrev_co_ci_u32_e32 v6, vcc_lo, 0, v9, vcc_lo
	v_lshlrev_b32_e32 v8, 2, v0
	s_mul_i32 s2, s16, 0x790
	v_lshlrev_b64 v[10:11], 2, v[5:6]
	v_mov_b32_e32 v5, 0
	s_waitcnt lgkmcnt(0)
	s_add_u32 s2, s6, s2
	s_addc_u32 s6, s7, s9
	v_add_co_u32 v8, s2, s2, v8
	v_add_co_u32 v10, vcc_lo, s4, v10
	v_add_co_ci_u32_e64 v9, null, s6, 0, s2
	v_mov_b32_e32 v6, 0
	v_add_co_ci_u32_e32 v11, vcc_lo, s5, v11, vcc_lo
	s_set_inst_prefetch_distance 0x1
	s_branch .LBB501_10
	.p2align	6
.LBB501_9:                              ;   in Loop: Header=BB501_10 Depth=1
	s_or_b32 exec_lo, exec_lo, s2
	s_add_u32 s16, s16, 1
	s_addc_u32 s17, s17, 0
	v_add_co_u32 v10, vcc_lo, v10, 4
	v_cmp_lt_i64_e64 s2, s[16:17], s[14:15]
	v_add_co_ci_u32_e32 v11, vcc_lo, 0, v11, vcc_lo
	s_delay_alu instid0(VALU_DEP_2)
	s_and_b32 vcc_lo, exec_lo, s2
	s_cbranch_vccz .LBB501_12
.LBB501_10:                             ; =>This Inner Loop Header: Depth=1
	v_add_co_u32 v14, s2, v13, s16
	s_delay_alu instid0(VALU_DEP_1) | instskip(SKIP_1) | instid1(VALU_DEP_1)
	v_add_co_ci_u32_e64 v15, null, 0, s17, s2
	s_mov_b32 s2, exec_lo
	v_cmpx_gt_i64_e64 s[14:15], v[14:15]
	s_cbranch_execz .LBB501_9
; %bb.11:                               ;   in Loop: Header=BB501_10 Depth=1
	global_load_b32 v14, v[10:11], off
	global_load_b32 v16, v[8:9], off
	s_waitcnt vmcnt(1)
	v_subrev_nc_u32_e32 v17, s12, v14
	s_delay_alu instid0(VALU_DEP_1) | instskip(SKIP_2) | instid1(VALU_DEP_2)
	v_mad_u64_u32 v[14:15], null, v17, 22, v[7:8]
	s_waitcnt vmcnt(0)
	v_cvt_f64_f32_e32 v[16:17], v16
	v_ashrrev_i32_e32 v15, 31, v14
	s_delay_alu instid0(VALU_DEP_1) | instskip(NEXT) | instid1(VALU_DEP_1)
	v_lshlrev_b64 v[14:15], 3, v[14:15]
	v_add_co_u32 v14, vcc_lo, s0, v14
	s_delay_alu instid0(VALU_DEP_2)
	v_add_co_ci_u32_e32 v15, vcc_lo, s1, v15, vcc_lo
	v_add_co_u32 v8, vcc_lo, 0x790, v8
	v_add_co_ci_u32_e32 v9, vcc_lo, 0, v9, vcc_lo
	global_load_b64 v[14:15], v[14:15], off
	s_waitcnt vmcnt(0)
	v_fma_f64 v[5:6], v[16:17], v[14:15], v[5:6]
	s_branch .LBB501_9
.LBB501_12:
	s_set_inst_prefetch_distance 0x2
	v_lshlrev_b32_e32 v7, 3, v0
	s_and_b32 vcc_lo, exec_lo, s3
	ds_store_b64 v7, v[5:6]
	s_waitcnt lgkmcnt(0)
	s_barrier
	buffer_gl0_inv
	s_cbranch_vccz .LBB501_24
; %bb.13:
	s_mov_b32 s0, exec_lo
	v_cmpx_gt_u16_e32 6, v12
	s_cbranch_execz .LBB501_15
; %bb.14:
	ds_load_2addr_b64 v[8:11], v7 offset1:16
	s_waitcnt lgkmcnt(0)
	v_add_f64 v[8:9], v[10:11], v[8:9]
	ds_store_b64 v7, v[8:9]
.LBB501_15:
	s_or_b32 exec_lo, exec_lo, s0
	s_delay_alu instid0(SALU_CYCLE_1)
	s_mov_b32 s0, exec_lo
	s_waitcnt lgkmcnt(0)
	s_barrier
	buffer_gl0_inv
	v_cmpx_gt_u16_e32 8, v12
	s_cbranch_execz .LBB501_17
; %bb.16:
	ds_load_2addr_b64 v[8:11], v7 offset1:8
	s_waitcnt lgkmcnt(0)
	v_add_f64 v[8:9], v[10:11], v[8:9]
	ds_store_b64 v7, v[8:9]
.LBB501_17:
	s_or_b32 exec_lo, exec_lo, s0
	s_delay_alu instid0(SALU_CYCLE_1)
	s_mov_b32 s0, exec_lo
	s_waitcnt lgkmcnt(0)
	s_barrier
	buffer_gl0_inv
	;; [unrolled: 14-line block ×3, first 2 shown]
	v_cmpx_gt_u16_e32 2, v12
	s_cbranch_execz .LBB501_21
; %bb.20:
	ds_load_2addr_b64 v[8:11], v7 offset1:2
	s_waitcnt lgkmcnt(0)
	v_add_f64 v[8:9], v[10:11], v[8:9]
	ds_store_b64 v7, v[8:9]
.LBB501_21:
	s_or_b32 exec_lo, exec_lo, s0
	s_mov_b32 s1, 0
	s_mov_b32 s0, 0
	s_mov_b32 s2, exec_lo
	s_waitcnt lgkmcnt(0)
	s_barrier
	buffer_gl0_inv
                                        ; implicit-def: $vgpr8
                                        ; implicit-def: $vgpr9
	v_cmpx_gt_u32_e32 22, v0
	s_xor_b32 s2, exec_lo, s2
; %bb.22:
	v_mul_u32_u24_e32 v8, 22, v0
	v_mad_u32_u24 v9, 0xa8, v0, v7
	s_mov_b32 s0, exec_lo
	s_delay_alu instid0(VALU_DEP_2)
	v_or_b32_e32 v8, 1, v8
; %bb.23:
	s_or_b32 exec_lo, exec_lo, s2
	s_delay_alu instid0(SALU_CYCLE_1)
	s_and_b32 vcc_lo, exec_lo, s1
	s_cbranch_vccnz .LBB501_25
	s_branch .LBB501_36
.LBB501_24:
	s_mov_b32 s0, 0
                                        ; implicit-def: $vgpr8
                                        ; implicit-def: $vgpr9
	s_cbranch_execz .LBB501_36
.LBB501_25:
	s_mov_b32 s1, exec_lo
	v_cmpx_gt_u32_e32 0x84, v0
	s_cbranch_execz .LBB501_27
; %bb.26:
	ds_load_b64 v[8:9], v7 offset:2816
	ds_load_b64 v[10:11], v7
	s_waitcnt lgkmcnt(0)
	v_add_f64 v[8:9], v[8:9], v[10:11]
	ds_store_b64 v7, v[8:9]
.LBB501_27:
	s_or_b32 exec_lo, exec_lo, s1
	s_delay_alu instid0(SALU_CYCLE_1)
	s_mov_b32 s1, exec_lo
	s_waitcnt lgkmcnt(0)
	s_barrier
	buffer_gl0_inv
	v_cmpx_gt_u32_e32 0xb0, v0
	s_cbranch_execz .LBB501_29
; %bb.28:
	ds_load_2addr_b64 v[8:11], v7 offset1:176
	s_waitcnt lgkmcnt(0)
	v_add_f64 v[8:9], v[10:11], v[8:9]
	ds_store_b64 v7, v[8:9]
.LBB501_29:
	s_or_b32 exec_lo, exec_lo, s1
	s_delay_alu instid0(SALU_CYCLE_1)
	s_mov_b32 s1, exec_lo
	s_waitcnt lgkmcnt(0)
	s_barrier
	buffer_gl0_inv
	v_cmpx_gt_u32_e32 0x58, v0
	s_cbranch_execz .LBB501_31
; %bb.30:
	ds_load_2addr_b64 v[8:11], v7 offset1:88
	s_waitcnt lgkmcnt(0)
	v_add_f64 v[8:9], v[10:11], v[8:9]
	ds_store_b64 v7, v[8:9]
.LBB501_31:
	;; [unrolled: 14-line block ×3, first 2 shown]
	s_or_b32 exec_lo, exec_lo, s1
	s_delay_alu instid0(SALU_CYCLE_1)
	s_mov_b32 s1, exec_lo
	s_waitcnt lgkmcnt(0)
	buffer_gl0_inv
                                        ; implicit-def: $vgpr8
	v_cmpx_gt_u32_e32 22, v0
; %bb.34:
	v_add_nc_u32_e32 v8, 22, v0
	s_or_b32 s0, s0, exec_lo
                                        ; implicit-def: $vgpr5_vgpr6
; %bb.35:
	s_or_b32 exec_lo, exec_lo, s1
	v_mov_b32_e32 v9, v7
.LBB501_36:
	s_and_saveexec_b32 s1, s0
	s_cbranch_execnz .LBB501_39
; %bb.37:
	s_or_b32 exec_lo, exec_lo, s1
	v_cmp_gt_u32_e32 vcc_lo, 22, v0
	s_and_b32 exec_lo, exec_lo, vcc_lo
	s_cbranch_execnz .LBB501_40
.LBB501_38:
	s_nop 0
	s_sendmsg sendmsg(MSG_DEALLOC_VGPRS)
	s_endpgm
.LBB501_39:
	v_lshlrev_b32_e32 v7, 3, v8
	ds_load_b64 v[5:6], v9
	ds_load_b64 v[7:8], v7
	s_waitcnt lgkmcnt(0)
	v_add_f64 v[5:6], v[5:6], v[7:8]
	s_or_b32 exec_lo, exec_lo, s1
	v_cmp_gt_u32_e32 vcc_lo, 22, v0
	s_and_b32 exec_lo, exec_lo, vcc_lo
	s_cbranch_execz .LBB501_38
.LBB501_40:
	s_delay_alu instid0(VALU_DEP_2)
	v_mul_f64 v[3:4], v[3:4], v[5:6]
	s_mov_b32 s0, exec_lo
	v_cmpx_eq_f64_e32 0, v[1:2]
	s_xor_b32 s0, exec_lo, s0
	s_cbranch_execz .LBB501_42
; %bb.41:
	v_mad_u64_u32 v[1:2], null, s8, 22, v[0:1]
	v_mov_b32_e32 v2, 0
	s_delay_alu instid0(VALU_DEP_1) | instskip(NEXT) | instid1(VALU_DEP_1)
	v_lshlrev_b64 v[0:1], 3, v[1:2]
	v_add_co_u32 v0, vcc_lo, s10, v0
	s_delay_alu instid0(VALU_DEP_2)
	v_add_co_ci_u32_e32 v1, vcc_lo, s11, v1, vcc_lo
	global_store_b64 v[0:1], v[3:4], off
                                        ; implicit-def: $vgpr0
                                        ; implicit-def: $vgpr1_vgpr2
                                        ; implicit-def: $vgpr3_vgpr4
.LBB501_42:
	s_and_not1_saveexec_b32 s0, s0
	s_cbranch_execz .LBB501_38
; %bb.43:
	v_mad_u64_u32 v[5:6], null, s8, 22, v[0:1]
	v_mov_b32_e32 v6, 0
	s_delay_alu instid0(VALU_DEP_1) | instskip(NEXT) | instid1(VALU_DEP_1)
	v_lshlrev_b64 v[5:6], 3, v[5:6]
	v_add_co_u32 v5, vcc_lo, s10, v5
	s_delay_alu instid0(VALU_DEP_2)
	v_add_co_ci_u32_e32 v6, vcc_lo, s11, v6, vcc_lo
	global_load_b64 v[7:8], v[5:6], off
	s_waitcnt vmcnt(0)
	v_fma_f64 v[0:1], v[1:2], v[7:8], v[3:4]
	global_store_b64 v[5:6], v[0:1], off
	s_nop 0
	s_sendmsg sendmsg(MSG_DEALLOC_VGPRS)
	s_endpgm
	.section	.rodata,"a",@progbits
	.p2align	6, 0x0
	.amdhsa_kernel _ZN9rocsparseL20bsrxmvn_17_32_kernelILj22EdlifddEEvT2_20rocsparse_direction_NS_24const_host_device_scalarIT0_EES1_PKS1_PKT1_SA_S7_PKT3_PKT4_S5_PT5_21rocsparse_index_base_b
		.amdhsa_group_segment_fixed_size 3872
		.amdhsa_private_segment_fixed_size 0
		.amdhsa_kernarg_size 96
		.amdhsa_user_sgpr_count 15
		.amdhsa_user_sgpr_dispatch_ptr 0
		.amdhsa_user_sgpr_queue_ptr 0
		.amdhsa_user_sgpr_kernarg_segment_ptr 1
		.amdhsa_user_sgpr_dispatch_id 0
		.amdhsa_user_sgpr_private_segment_size 0
		.amdhsa_wavefront_size32 1
		.amdhsa_uses_dynamic_stack 0
		.amdhsa_enable_private_segment 0
		.amdhsa_system_sgpr_workgroup_id_x 1
		.amdhsa_system_sgpr_workgroup_id_y 0
		.amdhsa_system_sgpr_workgroup_id_z 0
		.amdhsa_system_sgpr_workgroup_info 0
		.amdhsa_system_vgpr_workitem_id 0
		.amdhsa_next_free_vgpr 18
		.amdhsa_next_free_sgpr 20
		.amdhsa_reserve_vcc 1
		.amdhsa_float_round_mode_32 0
		.amdhsa_float_round_mode_16_64 0
		.amdhsa_float_denorm_mode_32 3
		.amdhsa_float_denorm_mode_16_64 3
		.amdhsa_dx10_clamp 1
		.amdhsa_ieee_mode 1
		.amdhsa_fp16_overflow 0
		.amdhsa_workgroup_processor_mode 1
		.amdhsa_memory_ordered 1
		.amdhsa_forward_progress 0
		.amdhsa_shared_vgpr_count 0
		.amdhsa_exception_fp_ieee_invalid_op 0
		.amdhsa_exception_fp_denorm_src 0
		.amdhsa_exception_fp_ieee_div_zero 0
		.amdhsa_exception_fp_ieee_overflow 0
		.amdhsa_exception_fp_ieee_underflow 0
		.amdhsa_exception_fp_ieee_inexact 0
		.amdhsa_exception_int_div_zero 0
	.end_amdhsa_kernel
	.section	.text._ZN9rocsparseL20bsrxmvn_17_32_kernelILj22EdlifddEEvT2_20rocsparse_direction_NS_24const_host_device_scalarIT0_EES1_PKS1_PKT1_SA_S7_PKT3_PKT4_S5_PT5_21rocsparse_index_base_b,"axG",@progbits,_ZN9rocsparseL20bsrxmvn_17_32_kernelILj22EdlifddEEvT2_20rocsparse_direction_NS_24const_host_device_scalarIT0_EES1_PKS1_PKT1_SA_S7_PKT3_PKT4_S5_PT5_21rocsparse_index_base_b,comdat
.Lfunc_end501:
	.size	_ZN9rocsparseL20bsrxmvn_17_32_kernelILj22EdlifddEEvT2_20rocsparse_direction_NS_24const_host_device_scalarIT0_EES1_PKS1_PKT1_SA_S7_PKT3_PKT4_S5_PT5_21rocsparse_index_base_b, .Lfunc_end501-_ZN9rocsparseL20bsrxmvn_17_32_kernelILj22EdlifddEEvT2_20rocsparse_direction_NS_24const_host_device_scalarIT0_EES1_PKS1_PKT1_SA_S7_PKT3_PKT4_S5_PT5_21rocsparse_index_base_b
                                        ; -- End function
	.section	.AMDGPU.csdata,"",@progbits
; Kernel info:
; codeLenInByte = 1740
; NumSgprs: 22
; NumVgprs: 18
; ScratchSize: 0
; MemoryBound: 0
; FloatMode: 240
; IeeeMode: 1
; LDSByteSize: 3872 bytes/workgroup (compile time only)
; SGPRBlocks: 2
; VGPRBlocks: 2
; NumSGPRsForWavesPerEU: 22
; NumVGPRsForWavesPerEU: 18
; Occupancy: 16
; WaveLimiterHint : 1
; COMPUTE_PGM_RSRC2:SCRATCH_EN: 0
; COMPUTE_PGM_RSRC2:USER_SGPR: 15
; COMPUTE_PGM_RSRC2:TRAP_HANDLER: 0
; COMPUTE_PGM_RSRC2:TGID_X_EN: 1
; COMPUTE_PGM_RSRC2:TGID_Y_EN: 0
; COMPUTE_PGM_RSRC2:TGID_Z_EN: 0
; COMPUTE_PGM_RSRC2:TIDIG_COMP_CNT: 0
	.section	.text._ZN9rocsparseL20bsrxmvn_17_32_kernelILj23EdlifddEEvT2_20rocsparse_direction_NS_24const_host_device_scalarIT0_EES1_PKS1_PKT1_SA_S7_PKT3_PKT4_S5_PT5_21rocsparse_index_base_b,"axG",@progbits,_ZN9rocsparseL20bsrxmvn_17_32_kernelILj23EdlifddEEvT2_20rocsparse_direction_NS_24const_host_device_scalarIT0_EES1_PKS1_PKT1_SA_S7_PKT3_PKT4_S5_PT5_21rocsparse_index_base_b,comdat
	.globl	_ZN9rocsparseL20bsrxmvn_17_32_kernelILj23EdlifddEEvT2_20rocsparse_direction_NS_24const_host_device_scalarIT0_EES1_PKS1_PKT1_SA_S7_PKT3_PKT4_S5_PT5_21rocsparse_index_base_b ; -- Begin function _ZN9rocsparseL20bsrxmvn_17_32_kernelILj23EdlifddEEvT2_20rocsparse_direction_NS_24const_host_device_scalarIT0_EES1_PKS1_PKT1_SA_S7_PKT3_PKT4_S5_PT5_21rocsparse_index_base_b
	.p2align	8
	.type	_ZN9rocsparseL20bsrxmvn_17_32_kernelILj23EdlifddEEvT2_20rocsparse_direction_NS_24const_host_device_scalarIT0_EES1_PKS1_PKT1_SA_S7_PKT3_PKT4_S5_PT5_21rocsparse_index_base_b,@function
_ZN9rocsparseL20bsrxmvn_17_32_kernelILj23EdlifddEEvT2_20rocsparse_direction_NS_24const_host_device_scalarIT0_EES1_PKS1_PKT1_SA_S7_PKT3_PKT4_S5_PT5_21rocsparse_index_base_b: ; @_ZN9rocsparseL20bsrxmvn_17_32_kernelILj23EdlifddEEvT2_20rocsparse_direction_NS_24const_host_device_scalarIT0_EES1_PKS1_PKT1_SA_S7_PKT3_PKT4_S5_PT5_21rocsparse_index_base_b
; %bb.0:
	s_clause 0x2
	s_load_b64 s[12:13], s[0:1], 0x58
	s_load_b64 s[4:5], s[0:1], 0x8
	;; [unrolled: 1-line block ×3, first 2 shown]
	s_mov_b32 s8, s15
	s_waitcnt lgkmcnt(0)
	s_bitcmp1_b32 s13, 0
	v_dual_mov_b32 v3, s4 :: v_dual_mov_b32 v4, s5
	s_cselect_b32 s6, -1, 0
	s_delay_alu instid0(SALU_CYCLE_1)
	s_and_b32 vcc_lo, exec_lo, s6
	s_xor_b32 s6, s6, -1
	s_cbranch_vccnz .LBB502_2
; %bb.1:
	v_dual_mov_b32 v1, s4 :: v_dual_mov_b32 v2, s5
	flat_load_b64 v[3:4], v[1:2]
.LBB502_2:
	v_dual_mov_b32 v1, s2 :: v_dual_mov_b32 v2, s3
	s_and_not1_b32 vcc_lo, exec_lo, s6
	s_cbranch_vccnz .LBB502_4
; %bb.3:
	v_dual_mov_b32 v1, s2 :: v_dual_mov_b32 v2, s3
	flat_load_b64 v[1:2], v[1:2]
.LBB502_4:
	s_waitcnt vmcnt(0) lgkmcnt(0)
	v_cmp_neq_f64_e32 vcc_lo, 0, v[3:4]
	v_cmp_neq_f64_e64 s2, 1.0, v[1:2]
	s_delay_alu instid0(VALU_DEP_1) | instskip(NEXT) | instid1(SALU_CYCLE_1)
	s_or_b32 s2, vcc_lo, s2
	s_and_saveexec_b32 s3, s2
	s_cbranch_execz .LBB502_38
; %bb.5:
	s_clause 0x1
	s_load_b128 s[4:7], s[0:1], 0x18
	s_load_b64 s[10:11], s[0:1], 0x28
	s_waitcnt lgkmcnt(0)
	s_cmp_eq_u64 s[4:5], 0
	s_cbranch_scc1 .LBB502_7
; %bb.6:
	s_ashr_i32 s9, s8, 31
	s_delay_alu instid0(SALU_CYCLE_1) | instskip(NEXT) | instid1(SALU_CYCLE_1)
	s_lshl_b64 s[2:3], s[8:9], 2
	s_add_u32 s2, s4, s2
	s_addc_u32 s3, s5, s3
	s_load_b32 s2, s[2:3], 0x0
	s_waitcnt lgkmcnt(0)
	s_sub_i32 s8, s2, s12
.LBB502_7:
	s_load_b32 s3, s[0:1], 0x4
	v_mul_u32_u24_e32 v5, 0xb22, v0
	s_delay_alu instid0(VALU_DEP_1) | instskip(NEXT) | instid1(VALU_DEP_1)
	v_lshrrev_b32_e32 v7, 16, v5
	v_mul_lo_u16 v5, v7, 23
	s_delay_alu instid0(VALU_DEP_1)
	v_sub_nc_u16 v12, v0, v5
	v_mov_b32_e32 v5, 0
	v_mov_b32_e32 v6, 0
	s_waitcnt lgkmcnt(0)
	s_cmp_eq_u32 s3, 1
	s_cselect_b32 s2, -1, 0
	s_cmp_lg_u32 s3, 1
	s_cselect_b32 s3, -1, 0
	s_ashr_i32 s9, s8, 31
	s_delay_alu instid0(SALU_CYCLE_1) | instskip(NEXT) | instid1(SALU_CYCLE_1)
	s_lshl_b64 s[4:5], s[8:9], 3
	s_add_u32 s6, s6, s4
	s_addc_u32 s7, s7, s5
	s_add_u32 s9, s6, 8
	s_addc_u32 s13, s7, 0
	;; [unrolled: 2-line block ×3, first 2 shown]
	s_cmp_eq_u64 s[10:11], 0
	s_load_b64 s[10:11], s[0:1], 0x50
	s_cselect_b32 s5, s13, s5
	s_cselect_b32 s4, s9, s4
	s_load_b64 s[18:19], s[6:7], 0x0
	s_load_b64 s[14:15], s[4:5], 0x0
	s_waitcnt lgkmcnt(0)
	v_cmp_ge_i64_e64 s4, s[18:19], s[14:15]
	s_delay_alu instid0(VALU_DEP_1)
	s_and_b32 vcc_lo, exec_lo, s4
	s_cbranch_vccnz .LBB502_12
; %bb.8:
	v_and_b32_e32 v5, 0xffff, v7
	v_cmp_lt_u32_e32 vcc_lo, 0x210, v0
	s_clause 0x1
	s_load_b128 s[4:7], s[0:1], 0x30
	s_load_b64 s[0:1], s[0:1], 0x40
	s_sub_u32 s14, s14, s12
	s_subb_u32 s15, s15, 0
	v_subrev_nc_u32_e32 v7, 23, v5
	v_cndmask_b32_e64 v13, 0, 1, vcc_lo
	v_cmp_gt_u32_e32 vcc_lo, 0x211, v0
	v_and_b32_e32 v6, 0xffff, v12
	s_sub_u32 s16, s18, s12
	s_subb_u32 s17, s19, 0
	s_mul_hi_u32 s9, s16, 0x844
	v_cndmask_b32_e32 v5, v7, v5, vcc_lo
	s_mul_i32 s13, s17, 0x844
	v_lshlrev_b32_e32 v8, 2, v0
	s_add_i32 s9, s9, s13
	s_delay_alu instid0(VALU_DEP_2) | instskip(SKIP_1) | instid1(VALU_DEP_1)
	v_cndmask_b32_e64 v7, v6, v5, s2
	v_add_co_u32 v5, s2, s18, v13
	v_add_co_ci_u32_e64 v6, null, s19, 0, s2
	s_mul_i32 s2, s16, 0x844
	s_delay_alu instid0(VALU_DEP_2) | instskip(NEXT) | instid1(VALU_DEP_2)
	v_sub_co_u32 v5, vcc_lo, v5, s12
	v_subrev_co_ci_u32_e32 v6, vcc_lo, 0, v6, vcc_lo
	s_waitcnt lgkmcnt(0)
	s_add_u32 s2, s6, s2
	s_addc_u32 s6, s7, s9
	s_delay_alu instid0(VALU_DEP_1) | instskip(SKIP_2) | instid1(VALU_DEP_1)
	v_lshlrev_b64 v[10:11], 2, v[5:6]
	v_mov_b32_e32 v5, 0
	v_add_co_u32 v8, s2, s2, v8
	v_add_co_ci_u32_e64 v9, null, s6, 0, s2
	s_delay_alu instid0(VALU_DEP_4)
	v_add_co_u32 v10, vcc_lo, s4, v10
	v_mov_b32_e32 v6, 0
	v_add_co_ci_u32_e32 v11, vcc_lo, s5, v11, vcc_lo
	s_set_inst_prefetch_distance 0x1
	s_branch .LBB502_10
	.p2align	6
.LBB502_9:                              ;   in Loop: Header=BB502_10 Depth=1
	s_or_b32 exec_lo, exec_lo, s2
	s_add_u32 s16, s16, 1
	s_addc_u32 s17, s17, 0
	v_add_co_u32 v10, vcc_lo, v10, 4
	v_cmp_lt_i64_e64 s2, s[16:17], s[14:15]
	v_add_co_ci_u32_e32 v11, vcc_lo, 0, v11, vcc_lo
	s_delay_alu instid0(VALU_DEP_2)
	s_and_b32 vcc_lo, exec_lo, s2
	s_cbranch_vccz .LBB502_12
.LBB502_10:                             ; =>This Inner Loop Header: Depth=1
	v_add_co_u32 v14, s2, v13, s16
	s_delay_alu instid0(VALU_DEP_1) | instskip(SKIP_1) | instid1(VALU_DEP_1)
	v_add_co_ci_u32_e64 v15, null, 0, s17, s2
	s_mov_b32 s2, exec_lo
	v_cmpx_gt_i64_e64 s[14:15], v[14:15]
	s_cbranch_execz .LBB502_9
; %bb.11:                               ;   in Loop: Header=BB502_10 Depth=1
	global_load_b32 v14, v[10:11], off
	global_load_b32 v16, v[8:9], off
	s_waitcnt vmcnt(1)
	v_subrev_nc_u32_e32 v17, s12, v14
	s_delay_alu instid0(VALU_DEP_1) | instskip(SKIP_2) | instid1(VALU_DEP_2)
	v_mad_u64_u32 v[14:15], null, v17, 23, v[7:8]
	s_waitcnt vmcnt(0)
	v_cvt_f64_f32_e32 v[16:17], v16
	v_ashrrev_i32_e32 v15, 31, v14
	s_delay_alu instid0(VALU_DEP_1) | instskip(NEXT) | instid1(VALU_DEP_1)
	v_lshlrev_b64 v[14:15], 3, v[14:15]
	v_add_co_u32 v14, vcc_lo, s0, v14
	s_delay_alu instid0(VALU_DEP_2)
	v_add_co_ci_u32_e32 v15, vcc_lo, s1, v15, vcc_lo
	v_add_co_u32 v8, vcc_lo, 0x844, v8
	v_add_co_ci_u32_e32 v9, vcc_lo, 0, v9, vcc_lo
	global_load_b64 v[14:15], v[14:15], off
	s_waitcnt vmcnt(0)
	v_fma_f64 v[5:6], v[16:17], v[14:15], v[5:6]
	s_branch .LBB502_9
.LBB502_12:
	s_set_inst_prefetch_distance 0x2
	v_lshlrev_b32_e32 v7, 3, v0
	s_and_b32 vcc_lo, exec_lo, s3
	ds_store_b64 v7, v[5:6]
	s_waitcnt lgkmcnt(0)
	s_barrier
	buffer_gl0_inv
	s_cbranch_vccz .LBB502_24
; %bb.13:
	s_mov_b32 s0, exec_lo
	v_cmpx_gt_u16_e32 7, v12
	s_cbranch_execz .LBB502_15
; %bb.14:
	ds_load_2addr_b64 v[8:11], v7 offset1:16
	s_waitcnt lgkmcnt(0)
	v_add_f64 v[8:9], v[10:11], v[8:9]
	ds_store_b64 v7, v[8:9]
.LBB502_15:
	s_or_b32 exec_lo, exec_lo, s0
	s_delay_alu instid0(SALU_CYCLE_1)
	s_mov_b32 s0, exec_lo
	s_waitcnt lgkmcnt(0)
	s_barrier
	buffer_gl0_inv
	v_cmpx_gt_u16_e32 8, v12
	s_cbranch_execz .LBB502_17
; %bb.16:
	ds_load_2addr_b64 v[8:11], v7 offset1:8
	s_waitcnt lgkmcnt(0)
	v_add_f64 v[8:9], v[10:11], v[8:9]
	ds_store_b64 v7, v[8:9]
.LBB502_17:
	s_or_b32 exec_lo, exec_lo, s0
	s_delay_alu instid0(SALU_CYCLE_1)
	s_mov_b32 s0, exec_lo
	s_waitcnt lgkmcnt(0)
	s_barrier
	buffer_gl0_inv
	;; [unrolled: 14-line block ×3, first 2 shown]
	v_cmpx_gt_u16_e32 2, v12
	s_cbranch_execz .LBB502_21
; %bb.20:
	ds_load_2addr_b64 v[8:11], v7 offset1:2
	s_waitcnt lgkmcnt(0)
	v_add_f64 v[8:9], v[10:11], v[8:9]
	ds_store_b64 v7, v[8:9]
.LBB502_21:
	s_or_b32 exec_lo, exec_lo, s0
	s_mov_b32 s1, 0
	s_mov_b32 s0, 0
	s_mov_b32 s2, exec_lo
	s_waitcnt lgkmcnt(0)
	s_barrier
	buffer_gl0_inv
                                        ; implicit-def: $vgpr8
                                        ; implicit-def: $vgpr9
	v_cmpx_gt_u32_e32 23, v0
	s_xor_b32 s2, exec_lo, s2
; %bb.22:
	v_mad_u32_u24 v8, v0, 23, 1
	v_mad_u32_u24 v9, 0xb0, v0, v7
	s_mov_b32 s0, exec_lo
; %bb.23:
	s_or_b32 exec_lo, exec_lo, s2
	s_delay_alu instid0(SALU_CYCLE_1)
	s_and_b32 vcc_lo, exec_lo, s1
	s_cbranch_vccnz .LBB502_25
	s_branch .LBB502_36
.LBB502_24:
	s_mov_b32 s0, 0
                                        ; implicit-def: $vgpr8
                                        ; implicit-def: $vgpr9
	s_cbranch_execz .LBB502_36
.LBB502_25:
	s_mov_b32 s1, exec_lo
	v_cmpx_gt_u32_e32 0xa1, v0
	s_cbranch_execz .LBB502_27
; %bb.26:
	ds_load_b64 v[8:9], v7 offset:2944
	ds_load_b64 v[10:11], v7
	s_waitcnt lgkmcnt(0)
	v_add_f64 v[8:9], v[8:9], v[10:11]
	ds_store_b64 v7, v[8:9]
.LBB502_27:
	s_or_b32 exec_lo, exec_lo, s1
	s_delay_alu instid0(SALU_CYCLE_1)
	s_mov_b32 s1, exec_lo
	s_waitcnt lgkmcnt(0)
	s_barrier
	buffer_gl0_inv
	v_cmpx_gt_u32_e32 0xb8, v0
	s_cbranch_execz .LBB502_29
; %bb.28:
	ds_load_2addr_b64 v[8:11], v7 offset1:184
	s_waitcnt lgkmcnt(0)
	v_add_f64 v[8:9], v[10:11], v[8:9]
	ds_store_b64 v7, v[8:9]
.LBB502_29:
	s_or_b32 exec_lo, exec_lo, s1
	s_delay_alu instid0(SALU_CYCLE_1)
	s_mov_b32 s1, exec_lo
	s_waitcnt lgkmcnt(0)
	s_barrier
	buffer_gl0_inv
	v_cmpx_gt_u32_e32 0x5c, v0
	s_cbranch_execz .LBB502_31
; %bb.30:
	ds_load_2addr_b64 v[8:11], v7 offset1:92
	s_waitcnt lgkmcnt(0)
	v_add_f64 v[8:9], v[10:11], v[8:9]
	ds_store_b64 v7, v[8:9]
.LBB502_31:
	;; [unrolled: 14-line block ×3, first 2 shown]
	s_or_b32 exec_lo, exec_lo, s1
	s_delay_alu instid0(SALU_CYCLE_1)
	s_mov_b32 s1, exec_lo
	s_waitcnt lgkmcnt(0)
	buffer_gl0_inv
                                        ; implicit-def: $vgpr8
	v_cmpx_gt_u32_e32 23, v0
; %bb.34:
	v_add_nc_u32_e32 v8, 23, v0
	s_or_b32 s0, s0, exec_lo
                                        ; implicit-def: $vgpr5_vgpr6
; %bb.35:
	s_or_b32 exec_lo, exec_lo, s1
	v_mov_b32_e32 v9, v7
.LBB502_36:
	s_and_saveexec_b32 s1, s0
	s_cbranch_execnz .LBB502_39
; %bb.37:
	s_or_b32 exec_lo, exec_lo, s1
	v_cmp_gt_u32_e32 vcc_lo, 23, v0
	s_and_b32 exec_lo, exec_lo, vcc_lo
	s_cbranch_execnz .LBB502_40
.LBB502_38:
	s_nop 0
	s_sendmsg sendmsg(MSG_DEALLOC_VGPRS)
	s_endpgm
.LBB502_39:
	v_lshlrev_b32_e32 v7, 3, v8
	ds_load_b64 v[5:6], v9
	ds_load_b64 v[7:8], v7
	s_waitcnt lgkmcnt(0)
	v_add_f64 v[5:6], v[5:6], v[7:8]
	s_or_b32 exec_lo, exec_lo, s1
	v_cmp_gt_u32_e32 vcc_lo, 23, v0
	s_and_b32 exec_lo, exec_lo, vcc_lo
	s_cbranch_execz .LBB502_38
.LBB502_40:
	s_delay_alu instid0(VALU_DEP_2)
	v_mul_f64 v[3:4], v[3:4], v[5:6]
	s_mov_b32 s0, exec_lo
	v_cmpx_eq_f64_e32 0, v[1:2]
	s_xor_b32 s0, exec_lo, s0
	s_cbranch_execz .LBB502_42
; %bb.41:
	v_mad_u64_u32 v[1:2], null, s8, 23, v[0:1]
	v_mov_b32_e32 v2, 0
	s_delay_alu instid0(VALU_DEP_1) | instskip(NEXT) | instid1(VALU_DEP_1)
	v_lshlrev_b64 v[0:1], 3, v[1:2]
	v_add_co_u32 v0, vcc_lo, s10, v0
	s_delay_alu instid0(VALU_DEP_2)
	v_add_co_ci_u32_e32 v1, vcc_lo, s11, v1, vcc_lo
	global_store_b64 v[0:1], v[3:4], off
                                        ; implicit-def: $vgpr0
                                        ; implicit-def: $vgpr1_vgpr2
                                        ; implicit-def: $vgpr3_vgpr4
.LBB502_42:
	s_and_not1_saveexec_b32 s0, s0
	s_cbranch_execz .LBB502_38
; %bb.43:
	v_mad_u64_u32 v[5:6], null, s8, 23, v[0:1]
	v_mov_b32_e32 v6, 0
	s_delay_alu instid0(VALU_DEP_1) | instskip(NEXT) | instid1(VALU_DEP_1)
	v_lshlrev_b64 v[5:6], 3, v[5:6]
	v_add_co_u32 v5, vcc_lo, s10, v5
	s_delay_alu instid0(VALU_DEP_2)
	v_add_co_ci_u32_e32 v6, vcc_lo, s11, v6, vcc_lo
	global_load_b64 v[7:8], v[5:6], off
	s_waitcnt vmcnt(0)
	v_fma_f64 v[0:1], v[1:2], v[7:8], v[3:4]
	global_store_b64 v[5:6], v[0:1], off
	s_nop 0
	s_sendmsg sendmsg(MSG_DEALLOC_VGPRS)
	s_endpgm
	.section	.rodata,"a",@progbits
	.p2align	6, 0x0
	.amdhsa_kernel _ZN9rocsparseL20bsrxmvn_17_32_kernelILj23EdlifddEEvT2_20rocsparse_direction_NS_24const_host_device_scalarIT0_EES1_PKS1_PKT1_SA_S7_PKT3_PKT4_S5_PT5_21rocsparse_index_base_b
		.amdhsa_group_segment_fixed_size 4232
		.amdhsa_private_segment_fixed_size 0
		.amdhsa_kernarg_size 96
		.amdhsa_user_sgpr_count 15
		.amdhsa_user_sgpr_dispatch_ptr 0
		.amdhsa_user_sgpr_queue_ptr 0
		.amdhsa_user_sgpr_kernarg_segment_ptr 1
		.amdhsa_user_sgpr_dispatch_id 0
		.amdhsa_user_sgpr_private_segment_size 0
		.amdhsa_wavefront_size32 1
		.amdhsa_uses_dynamic_stack 0
		.amdhsa_enable_private_segment 0
		.amdhsa_system_sgpr_workgroup_id_x 1
		.amdhsa_system_sgpr_workgroup_id_y 0
		.amdhsa_system_sgpr_workgroup_id_z 0
		.amdhsa_system_sgpr_workgroup_info 0
		.amdhsa_system_vgpr_workitem_id 0
		.amdhsa_next_free_vgpr 18
		.amdhsa_next_free_sgpr 20
		.amdhsa_reserve_vcc 1
		.amdhsa_float_round_mode_32 0
		.amdhsa_float_round_mode_16_64 0
		.amdhsa_float_denorm_mode_32 3
		.amdhsa_float_denorm_mode_16_64 3
		.amdhsa_dx10_clamp 1
		.amdhsa_ieee_mode 1
		.amdhsa_fp16_overflow 0
		.amdhsa_workgroup_processor_mode 1
		.amdhsa_memory_ordered 1
		.amdhsa_forward_progress 0
		.amdhsa_shared_vgpr_count 0
		.amdhsa_exception_fp_ieee_invalid_op 0
		.amdhsa_exception_fp_denorm_src 0
		.amdhsa_exception_fp_ieee_div_zero 0
		.amdhsa_exception_fp_ieee_overflow 0
		.amdhsa_exception_fp_ieee_underflow 0
		.amdhsa_exception_fp_ieee_inexact 0
		.amdhsa_exception_int_div_zero 0
	.end_amdhsa_kernel
	.section	.text._ZN9rocsparseL20bsrxmvn_17_32_kernelILj23EdlifddEEvT2_20rocsparse_direction_NS_24const_host_device_scalarIT0_EES1_PKS1_PKT1_SA_S7_PKT3_PKT4_S5_PT5_21rocsparse_index_base_b,"axG",@progbits,_ZN9rocsparseL20bsrxmvn_17_32_kernelILj23EdlifddEEvT2_20rocsparse_direction_NS_24const_host_device_scalarIT0_EES1_PKS1_PKT1_SA_S7_PKT3_PKT4_S5_PT5_21rocsparse_index_base_b,comdat
.Lfunc_end502:
	.size	_ZN9rocsparseL20bsrxmvn_17_32_kernelILj23EdlifddEEvT2_20rocsparse_direction_NS_24const_host_device_scalarIT0_EES1_PKS1_PKT1_SA_S7_PKT3_PKT4_S5_PT5_21rocsparse_index_base_b, .Lfunc_end502-_ZN9rocsparseL20bsrxmvn_17_32_kernelILj23EdlifddEEvT2_20rocsparse_direction_NS_24const_host_device_scalarIT0_EES1_PKS1_PKT1_SA_S7_PKT3_PKT4_S5_PT5_21rocsparse_index_base_b
                                        ; -- End function
	.section	.AMDGPU.csdata,"",@progbits
; Kernel info:
; codeLenInByte = 1720
; NumSgprs: 22
; NumVgprs: 18
; ScratchSize: 0
; MemoryBound: 0
; FloatMode: 240
; IeeeMode: 1
; LDSByteSize: 4232 bytes/workgroup (compile time only)
; SGPRBlocks: 2
; VGPRBlocks: 2
; NumSGPRsForWavesPerEU: 22
; NumVGPRsForWavesPerEU: 18
; Occupancy: 13
; WaveLimiterHint : 1
; COMPUTE_PGM_RSRC2:SCRATCH_EN: 0
; COMPUTE_PGM_RSRC2:USER_SGPR: 15
; COMPUTE_PGM_RSRC2:TRAP_HANDLER: 0
; COMPUTE_PGM_RSRC2:TGID_X_EN: 1
; COMPUTE_PGM_RSRC2:TGID_Y_EN: 0
; COMPUTE_PGM_RSRC2:TGID_Z_EN: 0
; COMPUTE_PGM_RSRC2:TIDIG_COMP_CNT: 0
	.section	.text._ZN9rocsparseL20bsrxmvn_17_32_kernelILj24EdlifddEEvT2_20rocsparse_direction_NS_24const_host_device_scalarIT0_EES1_PKS1_PKT1_SA_S7_PKT3_PKT4_S5_PT5_21rocsparse_index_base_b,"axG",@progbits,_ZN9rocsparseL20bsrxmvn_17_32_kernelILj24EdlifddEEvT2_20rocsparse_direction_NS_24const_host_device_scalarIT0_EES1_PKS1_PKT1_SA_S7_PKT3_PKT4_S5_PT5_21rocsparse_index_base_b,comdat
	.globl	_ZN9rocsparseL20bsrxmvn_17_32_kernelILj24EdlifddEEvT2_20rocsparse_direction_NS_24const_host_device_scalarIT0_EES1_PKS1_PKT1_SA_S7_PKT3_PKT4_S5_PT5_21rocsparse_index_base_b ; -- Begin function _ZN9rocsparseL20bsrxmvn_17_32_kernelILj24EdlifddEEvT2_20rocsparse_direction_NS_24const_host_device_scalarIT0_EES1_PKS1_PKT1_SA_S7_PKT3_PKT4_S5_PT5_21rocsparse_index_base_b
	.p2align	8
	.type	_ZN9rocsparseL20bsrxmvn_17_32_kernelILj24EdlifddEEvT2_20rocsparse_direction_NS_24const_host_device_scalarIT0_EES1_PKS1_PKT1_SA_S7_PKT3_PKT4_S5_PT5_21rocsparse_index_base_b,@function
_ZN9rocsparseL20bsrxmvn_17_32_kernelILj24EdlifddEEvT2_20rocsparse_direction_NS_24const_host_device_scalarIT0_EES1_PKS1_PKT1_SA_S7_PKT3_PKT4_S5_PT5_21rocsparse_index_base_b: ; @_ZN9rocsparseL20bsrxmvn_17_32_kernelILj24EdlifddEEvT2_20rocsparse_direction_NS_24const_host_device_scalarIT0_EES1_PKS1_PKT1_SA_S7_PKT3_PKT4_S5_PT5_21rocsparse_index_base_b
; %bb.0:
	s_clause 0x2
	s_load_b64 s[12:13], s[0:1], 0x58
	s_load_b64 s[4:5], s[0:1], 0x8
	;; [unrolled: 1-line block ×3, first 2 shown]
	s_mov_b32 s8, s15
	s_waitcnt lgkmcnt(0)
	s_bitcmp1_b32 s13, 0
	v_dual_mov_b32 v3, s4 :: v_dual_mov_b32 v4, s5
	s_cselect_b32 s6, -1, 0
	s_delay_alu instid0(SALU_CYCLE_1)
	s_and_b32 vcc_lo, exec_lo, s6
	s_xor_b32 s6, s6, -1
	s_cbranch_vccnz .LBB503_2
; %bb.1:
	v_dual_mov_b32 v1, s4 :: v_dual_mov_b32 v2, s5
	flat_load_b64 v[3:4], v[1:2]
.LBB503_2:
	v_dual_mov_b32 v1, s2 :: v_dual_mov_b32 v2, s3
	s_and_not1_b32 vcc_lo, exec_lo, s6
	s_cbranch_vccnz .LBB503_4
; %bb.3:
	v_dual_mov_b32 v1, s2 :: v_dual_mov_b32 v2, s3
	flat_load_b64 v[1:2], v[1:2]
.LBB503_4:
	s_waitcnt vmcnt(0) lgkmcnt(0)
	v_cmp_neq_f64_e32 vcc_lo, 0, v[3:4]
	v_cmp_neq_f64_e64 s2, 1.0, v[1:2]
	s_delay_alu instid0(VALU_DEP_1) | instskip(NEXT) | instid1(SALU_CYCLE_1)
	s_or_b32 s2, vcc_lo, s2
	s_and_saveexec_b32 s3, s2
	s_cbranch_execz .LBB503_38
; %bb.5:
	s_clause 0x1
	s_load_b128 s[4:7], s[0:1], 0x18
	s_load_b64 s[10:11], s[0:1], 0x28
	s_waitcnt lgkmcnt(0)
	s_cmp_eq_u64 s[4:5], 0
	s_cbranch_scc1 .LBB503_7
; %bb.6:
	s_ashr_i32 s9, s8, 31
	s_delay_alu instid0(SALU_CYCLE_1) | instskip(NEXT) | instid1(SALU_CYCLE_1)
	s_lshl_b64 s[2:3], s[8:9], 2
	s_add_u32 s2, s4, s2
	s_addc_u32 s3, s5, s3
	s_load_b32 s2, s[2:3], 0x0
	s_waitcnt lgkmcnt(0)
	s_sub_i32 s8, s2, s12
.LBB503_7:
	s_load_b32 s3, s[0:1], 0x4
	v_mul_u32_u24_e32 v5, 0xaab, v0
	s_delay_alu instid0(VALU_DEP_1) | instskip(NEXT) | instid1(VALU_DEP_1)
	v_lshrrev_b32_e32 v7, 16, v5
	v_mul_lo_u16 v5, v7, 24
	s_delay_alu instid0(VALU_DEP_1)
	v_sub_nc_u16 v12, v0, v5
	v_mov_b32_e32 v5, 0
	v_mov_b32_e32 v6, 0
	s_waitcnt lgkmcnt(0)
	s_cmp_eq_u32 s3, 1
	s_cselect_b32 s2, -1, 0
	s_cmp_lg_u32 s3, 1
	s_cselect_b32 s3, -1, 0
	s_ashr_i32 s9, s8, 31
	s_delay_alu instid0(SALU_CYCLE_1) | instskip(NEXT) | instid1(SALU_CYCLE_1)
	s_lshl_b64 s[4:5], s[8:9], 3
	s_add_u32 s6, s6, s4
	s_addc_u32 s7, s7, s5
	s_add_u32 s9, s6, 8
	s_addc_u32 s13, s7, 0
	;; [unrolled: 2-line block ×3, first 2 shown]
	s_cmp_eq_u64 s[10:11], 0
	s_load_b64 s[10:11], s[0:1], 0x50
	s_cselect_b32 s5, s13, s5
	s_cselect_b32 s4, s9, s4
	s_load_b64 s[18:19], s[6:7], 0x0
	s_load_b64 s[14:15], s[4:5], 0x0
	s_waitcnt lgkmcnt(0)
	v_cmp_ge_i64_e64 s4, s[18:19], s[14:15]
	s_delay_alu instid0(VALU_DEP_1)
	s_and_b32 vcc_lo, exec_lo, s4
	s_cbranch_vccnz .LBB503_12
; %bb.8:
	v_and_b32_e32 v5, 0xffff, v7
	v_cmp_lt_u32_e32 vcc_lo, 0x23f, v0
	s_clause 0x1
	s_load_b128 s[4:7], s[0:1], 0x30
	s_load_b64 s[0:1], s[0:1], 0x40
	s_sub_u32 s14, s14, s12
	s_subb_u32 s15, s15, 0
	v_subrev_nc_u32_e32 v7, 24, v5
	v_cndmask_b32_e64 v13, 0, 1, vcc_lo
	v_cmp_gt_u32_e32 vcc_lo, 0x240, v0
	v_and_b32_e32 v6, 0xffff, v12
	s_sub_u32 s16, s18, s12
	s_subb_u32 s17, s19, 0
	s_mul_hi_u32 s9, s16, 0x900
	v_cndmask_b32_e32 v5, v7, v5, vcc_lo
	s_mul_i32 s13, s17, 0x900
	v_lshlrev_b32_e32 v8, 2, v0
	s_add_i32 s9, s9, s13
	s_delay_alu instid0(VALU_DEP_2) | instskip(SKIP_1) | instid1(VALU_DEP_1)
	v_cndmask_b32_e64 v7, v6, v5, s2
	v_add_co_u32 v5, s2, s18, v13
	v_add_co_ci_u32_e64 v6, null, s19, 0, s2
	s_mul_i32 s2, s16, 0x900
	s_delay_alu instid0(VALU_DEP_2) | instskip(NEXT) | instid1(VALU_DEP_2)
	v_sub_co_u32 v5, vcc_lo, v5, s12
	v_subrev_co_ci_u32_e32 v6, vcc_lo, 0, v6, vcc_lo
	s_waitcnt lgkmcnt(0)
	s_add_u32 s2, s6, s2
	s_addc_u32 s6, s7, s9
	s_delay_alu instid0(VALU_DEP_1) | instskip(SKIP_2) | instid1(VALU_DEP_1)
	v_lshlrev_b64 v[10:11], 2, v[5:6]
	v_mov_b32_e32 v5, 0
	v_add_co_u32 v8, s2, s2, v8
	v_add_co_ci_u32_e64 v9, null, s6, 0, s2
	s_delay_alu instid0(VALU_DEP_4)
	v_add_co_u32 v10, vcc_lo, s4, v10
	v_mov_b32_e32 v6, 0
	v_add_co_ci_u32_e32 v11, vcc_lo, s5, v11, vcc_lo
	s_set_inst_prefetch_distance 0x1
	s_branch .LBB503_10
	.p2align	6
.LBB503_9:                              ;   in Loop: Header=BB503_10 Depth=1
	s_or_b32 exec_lo, exec_lo, s2
	s_add_u32 s16, s16, 1
	s_addc_u32 s17, s17, 0
	v_add_co_u32 v10, vcc_lo, v10, 4
	v_cmp_lt_i64_e64 s2, s[16:17], s[14:15]
	v_add_co_ci_u32_e32 v11, vcc_lo, 0, v11, vcc_lo
	s_delay_alu instid0(VALU_DEP_2)
	s_and_b32 vcc_lo, exec_lo, s2
	s_cbranch_vccz .LBB503_12
.LBB503_10:                             ; =>This Inner Loop Header: Depth=1
	v_add_co_u32 v14, s2, v13, s16
	s_delay_alu instid0(VALU_DEP_1) | instskip(SKIP_1) | instid1(VALU_DEP_1)
	v_add_co_ci_u32_e64 v15, null, 0, s17, s2
	s_mov_b32 s2, exec_lo
	v_cmpx_gt_i64_e64 s[14:15], v[14:15]
	s_cbranch_execz .LBB503_9
; %bb.11:                               ;   in Loop: Header=BB503_10 Depth=1
	global_load_b32 v14, v[10:11], off
	global_load_b32 v16, v[8:9], off
	s_waitcnt vmcnt(1)
	v_subrev_nc_u32_e32 v17, s12, v14
	s_delay_alu instid0(VALU_DEP_1) | instskip(SKIP_2) | instid1(VALU_DEP_2)
	v_mad_u64_u32 v[14:15], null, v17, 24, v[7:8]
	s_waitcnt vmcnt(0)
	v_cvt_f64_f32_e32 v[16:17], v16
	v_ashrrev_i32_e32 v15, 31, v14
	s_delay_alu instid0(VALU_DEP_1) | instskip(NEXT) | instid1(VALU_DEP_1)
	v_lshlrev_b64 v[14:15], 3, v[14:15]
	v_add_co_u32 v14, vcc_lo, s0, v14
	s_delay_alu instid0(VALU_DEP_2)
	v_add_co_ci_u32_e32 v15, vcc_lo, s1, v15, vcc_lo
	v_add_co_u32 v8, vcc_lo, 0x900, v8
	v_add_co_ci_u32_e32 v9, vcc_lo, 0, v9, vcc_lo
	global_load_b64 v[14:15], v[14:15], off
	s_waitcnt vmcnt(0)
	v_fma_f64 v[5:6], v[16:17], v[14:15], v[5:6]
	s_branch .LBB503_9
.LBB503_12:
	s_set_inst_prefetch_distance 0x2
	v_lshlrev_b32_e32 v7, 3, v0
	s_and_b32 vcc_lo, exec_lo, s3
	ds_store_b64 v7, v[5:6]
	s_waitcnt lgkmcnt(0)
	s_barrier
	buffer_gl0_inv
	s_cbranch_vccz .LBB503_24
; %bb.13:
	v_cmp_gt_u16_e32 vcc_lo, 8, v12
	s_and_saveexec_b32 s0, vcc_lo
	s_cbranch_execz .LBB503_15
; %bb.14:
	ds_load_2addr_b64 v[8:11], v7 offset1:16
	s_waitcnt lgkmcnt(0)
	v_add_f64 v[8:9], v[10:11], v[8:9]
	ds_store_b64 v7, v[8:9]
.LBB503_15:
	s_or_b32 exec_lo, exec_lo, s0
	s_waitcnt lgkmcnt(0)
	s_barrier
	buffer_gl0_inv
	s_and_saveexec_b32 s0, vcc_lo
	s_cbranch_execz .LBB503_17
; %bb.16:
	ds_load_2addr_b64 v[8:11], v7 offset1:8
	s_waitcnt lgkmcnt(0)
	v_add_f64 v[8:9], v[10:11], v[8:9]
	ds_store_b64 v7, v[8:9]
.LBB503_17:
	s_or_b32 exec_lo, exec_lo, s0
	s_delay_alu instid0(SALU_CYCLE_1)
	s_mov_b32 s0, exec_lo
	s_waitcnt lgkmcnt(0)
	s_barrier
	buffer_gl0_inv
	v_cmpx_gt_u16_e32 4, v12
	s_cbranch_execz .LBB503_19
; %bb.18:
	ds_load_2addr_b64 v[8:11], v7 offset1:4
	s_waitcnt lgkmcnt(0)
	v_add_f64 v[8:9], v[10:11], v[8:9]
	ds_store_b64 v7, v[8:9]
.LBB503_19:
	s_or_b32 exec_lo, exec_lo, s0
	s_delay_alu instid0(SALU_CYCLE_1)
	s_mov_b32 s0, exec_lo
	s_waitcnt lgkmcnt(0)
	s_barrier
	buffer_gl0_inv
	v_cmpx_gt_u16_e32 2, v12
	s_cbranch_execz .LBB503_21
; %bb.20:
	ds_load_2addr_b64 v[8:11], v7 offset1:2
	s_waitcnt lgkmcnt(0)
	v_add_f64 v[8:9], v[10:11], v[8:9]
	ds_store_b64 v7, v[8:9]
.LBB503_21:
	s_or_b32 exec_lo, exec_lo, s0
	s_mov_b32 s1, 0
	s_mov_b32 s0, 0
	s_mov_b32 s2, exec_lo
	s_waitcnt lgkmcnt(0)
	s_barrier
	buffer_gl0_inv
                                        ; implicit-def: $vgpr8
                                        ; implicit-def: $vgpr9
	v_cmpx_gt_u32_e32 24, v0
	s_xor_b32 s2, exec_lo, s2
; %bb.22:
	v_mul_u32_u24_e32 v8, 24, v0
	v_mad_u32_u24 v9, 0xb8, v0, v7
	s_mov_b32 s0, exec_lo
	s_delay_alu instid0(VALU_DEP_2)
	v_or_b32_e32 v8, 1, v8
; %bb.23:
	s_or_b32 exec_lo, exec_lo, s2
	s_delay_alu instid0(SALU_CYCLE_1)
	s_and_b32 vcc_lo, exec_lo, s1
	s_cbranch_vccnz .LBB503_25
	s_branch .LBB503_36
.LBB503_24:
	s_mov_b32 s0, 0
                                        ; implicit-def: $vgpr8
                                        ; implicit-def: $vgpr9
	s_cbranch_execz .LBB503_36
.LBB503_25:
	v_cmp_gt_u32_e32 vcc_lo, 0xc0, v0
	s_and_saveexec_b32 s1, vcc_lo
	s_cbranch_execz .LBB503_27
; %bb.26:
	ds_load_2addr_stride64_b64 v[8:11], v7 offset1:6
	s_waitcnt lgkmcnt(0)
	v_add_f64 v[8:9], v[10:11], v[8:9]
	ds_store_b64 v7, v[8:9]
.LBB503_27:
	s_or_b32 exec_lo, exec_lo, s1
	s_waitcnt lgkmcnt(0)
	s_barrier
	buffer_gl0_inv
	s_and_saveexec_b32 s1, vcc_lo
	s_cbranch_execz .LBB503_29
; %bb.28:
	ds_load_2addr_stride64_b64 v[8:11], v7 offset1:3
	s_waitcnt lgkmcnt(0)
	v_add_f64 v[8:9], v[10:11], v[8:9]
	ds_store_b64 v7, v[8:9]
.LBB503_29:
	s_or_b32 exec_lo, exec_lo, s1
	s_delay_alu instid0(SALU_CYCLE_1)
	s_mov_b32 s1, exec_lo
	s_waitcnt lgkmcnt(0)
	s_barrier
	buffer_gl0_inv
	v_cmpx_gt_u32_e32 0x60, v0
	s_cbranch_execz .LBB503_31
; %bb.30:
	ds_load_2addr_b64 v[8:11], v7 offset1:96
	s_waitcnt lgkmcnt(0)
	v_add_f64 v[8:9], v[10:11], v[8:9]
	ds_store_b64 v7, v[8:9]
.LBB503_31:
	s_or_b32 exec_lo, exec_lo, s1
	s_delay_alu instid0(SALU_CYCLE_1)
	s_mov_b32 s1, exec_lo
	s_waitcnt lgkmcnt(0)
	s_barrier
	buffer_gl0_inv
	v_cmpx_gt_u32_e32 48, v0
	s_cbranch_execz .LBB503_33
; %bb.32:
	ds_load_2addr_b64 v[8:11], v7 offset1:48
	s_waitcnt lgkmcnt(0)
	v_add_f64 v[8:9], v[10:11], v[8:9]
	ds_store_b64 v7, v[8:9]
.LBB503_33:
	s_or_b32 exec_lo, exec_lo, s1
	s_delay_alu instid0(SALU_CYCLE_1)
	s_mov_b32 s1, exec_lo
	s_waitcnt lgkmcnt(0)
	buffer_gl0_inv
                                        ; implicit-def: $vgpr8
	v_cmpx_gt_u32_e32 24, v0
; %bb.34:
	v_add_nc_u32_e32 v8, 24, v0
	s_or_b32 s0, s0, exec_lo
                                        ; implicit-def: $vgpr5_vgpr6
; %bb.35:
	s_or_b32 exec_lo, exec_lo, s1
	v_mov_b32_e32 v9, v7
.LBB503_36:
	s_and_saveexec_b32 s1, s0
	s_cbranch_execnz .LBB503_39
; %bb.37:
	s_or_b32 exec_lo, exec_lo, s1
	v_cmp_gt_u32_e32 vcc_lo, 24, v0
	s_and_b32 exec_lo, exec_lo, vcc_lo
	s_cbranch_execnz .LBB503_40
.LBB503_38:
	s_nop 0
	s_sendmsg sendmsg(MSG_DEALLOC_VGPRS)
	s_endpgm
.LBB503_39:
	v_lshlrev_b32_e32 v7, 3, v8
	ds_load_b64 v[5:6], v9
	ds_load_b64 v[7:8], v7
	s_waitcnt lgkmcnt(0)
	v_add_f64 v[5:6], v[5:6], v[7:8]
	s_or_b32 exec_lo, exec_lo, s1
	v_cmp_gt_u32_e32 vcc_lo, 24, v0
	s_and_b32 exec_lo, exec_lo, vcc_lo
	s_cbranch_execz .LBB503_38
.LBB503_40:
	s_delay_alu instid0(VALU_DEP_2)
	v_mul_f64 v[3:4], v[3:4], v[5:6]
	s_mov_b32 s0, exec_lo
	v_cmpx_eq_f64_e32 0, v[1:2]
	s_xor_b32 s0, exec_lo, s0
	s_cbranch_execz .LBB503_42
; %bb.41:
	v_mad_u64_u32 v[1:2], null, s8, 24, v[0:1]
	v_mov_b32_e32 v2, 0
	s_delay_alu instid0(VALU_DEP_1) | instskip(NEXT) | instid1(VALU_DEP_1)
	v_lshlrev_b64 v[0:1], 3, v[1:2]
	v_add_co_u32 v0, vcc_lo, s10, v0
	s_delay_alu instid0(VALU_DEP_2)
	v_add_co_ci_u32_e32 v1, vcc_lo, s11, v1, vcc_lo
	global_store_b64 v[0:1], v[3:4], off
                                        ; implicit-def: $vgpr0
                                        ; implicit-def: $vgpr1_vgpr2
                                        ; implicit-def: $vgpr3_vgpr4
.LBB503_42:
	s_and_not1_saveexec_b32 s0, s0
	s_cbranch_execz .LBB503_38
; %bb.43:
	v_mad_u64_u32 v[5:6], null, s8, 24, v[0:1]
	v_mov_b32_e32 v6, 0
	s_delay_alu instid0(VALU_DEP_1) | instskip(NEXT) | instid1(VALU_DEP_1)
	v_lshlrev_b64 v[5:6], 3, v[5:6]
	v_add_co_u32 v5, vcc_lo, s10, v5
	s_delay_alu instid0(VALU_DEP_2)
	v_add_co_ci_u32_e32 v6, vcc_lo, s11, v6, vcc_lo
	global_load_b64 v[7:8], v[5:6], off
	s_waitcnt vmcnt(0)
	v_fma_f64 v[0:1], v[1:2], v[7:8], v[3:4]
	global_store_b64 v[5:6], v[0:1], off
	s_nop 0
	s_sendmsg sendmsg(MSG_DEALLOC_VGPRS)
	s_endpgm
	.section	.rodata,"a",@progbits
	.p2align	6, 0x0
	.amdhsa_kernel _ZN9rocsparseL20bsrxmvn_17_32_kernelILj24EdlifddEEvT2_20rocsparse_direction_NS_24const_host_device_scalarIT0_EES1_PKS1_PKT1_SA_S7_PKT3_PKT4_S5_PT5_21rocsparse_index_base_b
		.amdhsa_group_segment_fixed_size 4608
		.amdhsa_private_segment_fixed_size 0
		.amdhsa_kernarg_size 96
		.amdhsa_user_sgpr_count 15
		.amdhsa_user_sgpr_dispatch_ptr 0
		.amdhsa_user_sgpr_queue_ptr 0
		.amdhsa_user_sgpr_kernarg_segment_ptr 1
		.amdhsa_user_sgpr_dispatch_id 0
		.amdhsa_user_sgpr_private_segment_size 0
		.amdhsa_wavefront_size32 1
		.amdhsa_uses_dynamic_stack 0
		.amdhsa_enable_private_segment 0
		.amdhsa_system_sgpr_workgroup_id_x 1
		.amdhsa_system_sgpr_workgroup_id_y 0
		.amdhsa_system_sgpr_workgroup_id_z 0
		.amdhsa_system_sgpr_workgroup_info 0
		.amdhsa_system_vgpr_workitem_id 0
		.amdhsa_next_free_vgpr 18
		.amdhsa_next_free_sgpr 20
		.amdhsa_reserve_vcc 1
		.amdhsa_float_round_mode_32 0
		.amdhsa_float_round_mode_16_64 0
		.amdhsa_float_denorm_mode_32 3
		.amdhsa_float_denorm_mode_16_64 3
		.amdhsa_dx10_clamp 1
		.amdhsa_ieee_mode 1
		.amdhsa_fp16_overflow 0
		.amdhsa_workgroup_processor_mode 1
		.amdhsa_memory_ordered 1
		.amdhsa_forward_progress 0
		.amdhsa_shared_vgpr_count 0
		.amdhsa_exception_fp_ieee_invalid_op 0
		.amdhsa_exception_fp_denorm_src 0
		.amdhsa_exception_fp_ieee_div_zero 0
		.amdhsa_exception_fp_ieee_overflow 0
		.amdhsa_exception_fp_ieee_underflow 0
		.amdhsa_exception_fp_ieee_inexact 0
		.amdhsa_exception_int_div_zero 0
	.end_amdhsa_kernel
	.section	.text._ZN9rocsparseL20bsrxmvn_17_32_kernelILj24EdlifddEEvT2_20rocsparse_direction_NS_24const_host_device_scalarIT0_EES1_PKS1_PKT1_SA_S7_PKT3_PKT4_S5_PT5_21rocsparse_index_base_b,"axG",@progbits,_ZN9rocsparseL20bsrxmvn_17_32_kernelILj24EdlifddEEvT2_20rocsparse_direction_NS_24const_host_device_scalarIT0_EES1_PKS1_PKT1_SA_S7_PKT3_PKT4_S5_PT5_21rocsparse_index_base_b,comdat
.Lfunc_end503:
	.size	_ZN9rocsparseL20bsrxmvn_17_32_kernelILj24EdlifddEEvT2_20rocsparse_direction_NS_24const_host_device_scalarIT0_EES1_PKS1_PKT1_SA_S7_PKT3_PKT4_S5_PT5_21rocsparse_index_base_b, .Lfunc_end503-_ZN9rocsparseL20bsrxmvn_17_32_kernelILj24EdlifddEEvT2_20rocsparse_direction_NS_24const_host_device_scalarIT0_EES1_PKS1_PKT1_SA_S7_PKT3_PKT4_S5_PT5_21rocsparse_index_base_b
                                        ; -- End function
	.section	.AMDGPU.csdata,"",@progbits
; Kernel info:
; codeLenInByte = 1696
; NumSgprs: 22
; NumVgprs: 18
; ScratchSize: 0
; MemoryBound: 0
; FloatMode: 240
; IeeeMode: 1
; LDSByteSize: 4608 bytes/workgroup (compile time only)
; SGPRBlocks: 2
; VGPRBlocks: 2
; NumSGPRsForWavesPerEU: 22
; NumVGPRsForWavesPerEU: 18
; Occupancy: 14
; WaveLimiterHint : 1
; COMPUTE_PGM_RSRC2:SCRATCH_EN: 0
; COMPUTE_PGM_RSRC2:USER_SGPR: 15
; COMPUTE_PGM_RSRC2:TRAP_HANDLER: 0
; COMPUTE_PGM_RSRC2:TGID_X_EN: 1
; COMPUTE_PGM_RSRC2:TGID_Y_EN: 0
; COMPUTE_PGM_RSRC2:TGID_Z_EN: 0
; COMPUTE_PGM_RSRC2:TIDIG_COMP_CNT: 0
	.section	.text._ZN9rocsparseL20bsrxmvn_17_32_kernelILj25EdlifddEEvT2_20rocsparse_direction_NS_24const_host_device_scalarIT0_EES1_PKS1_PKT1_SA_S7_PKT3_PKT4_S5_PT5_21rocsparse_index_base_b,"axG",@progbits,_ZN9rocsparseL20bsrxmvn_17_32_kernelILj25EdlifddEEvT2_20rocsparse_direction_NS_24const_host_device_scalarIT0_EES1_PKS1_PKT1_SA_S7_PKT3_PKT4_S5_PT5_21rocsparse_index_base_b,comdat
	.globl	_ZN9rocsparseL20bsrxmvn_17_32_kernelILj25EdlifddEEvT2_20rocsparse_direction_NS_24const_host_device_scalarIT0_EES1_PKS1_PKT1_SA_S7_PKT3_PKT4_S5_PT5_21rocsparse_index_base_b ; -- Begin function _ZN9rocsparseL20bsrxmvn_17_32_kernelILj25EdlifddEEvT2_20rocsparse_direction_NS_24const_host_device_scalarIT0_EES1_PKS1_PKT1_SA_S7_PKT3_PKT4_S5_PT5_21rocsparse_index_base_b
	.p2align	8
	.type	_ZN9rocsparseL20bsrxmvn_17_32_kernelILj25EdlifddEEvT2_20rocsparse_direction_NS_24const_host_device_scalarIT0_EES1_PKS1_PKT1_SA_S7_PKT3_PKT4_S5_PT5_21rocsparse_index_base_b,@function
_ZN9rocsparseL20bsrxmvn_17_32_kernelILj25EdlifddEEvT2_20rocsparse_direction_NS_24const_host_device_scalarIT0_EES1_PKS1_PKT1_SA_S7_PKT3_PKT4_S5_PT5_21rocsparse_index_base_b: ; @_ZN9rocsparseL20bsrxmvn_17_32_kernelILj25EdlifddEEvT2_20rocsparse_direction_NS_24const_host_device_scalarIT0_EES1_PKS1_PKT1_SA_S7_PKT3_PKT4_S5_PT5_21rocsparse_index_base_b
; %bb.0:
	s_clause 0x2
	s_load_b64 s[12:13], s[0:1], 0x58
	s_load_b64 s[4:5], s[0:1], 0x8
	;; [unrolled: 1-line block ×3, first 2 shown]
	s_mov_b32 s8, s15
	s_waitcnt lgkmcnt(0)
	s_bitcmp1_b32 s13, 0
	v_dual_mov_b32 v3, s4 :: v_dual_mov_b32 v4, s5
	s_cselect_b32 s6, -1, 0
	s_delay_alu instid0(SALU_CYCLE_1)
	s_and_b32 vcc_lo, exec_lo, s6
	s_xor_b32 s6, s6, -1
	s_cbranch_vccnz .LBB504_2
; %bb.1:
	v_dual_mov_b32 v1, s4 :: v_dual_mov_b32 v2, s5
	flat_load_b64 v[3:4], v[1:2]
.LBB504_2:
	v_dual_mov_b32 v1, s2 :: v_dual_mov_b32 v2, s3
	s_and_not1_b32 vcc_lo, exec_lo, s6
	s_cbranch_vccnz .LBB504_4
; %bb.3:
	v_dual_mov_b32 v1, s2 :: v_dual_mov_b32 v2, s3
	flat_load_b64 v[1:2], v[1:2]
.LBB504_4:
	s_waitcnt vmcnt(0) lgkmcnt(0)
	v_cmp_neq_f64_e32 vcc_lo, 0, v[3:4]
	v_cmp_neq_f64_e64 s2, 1.0, v[1:2]
	s_delay_alu instid0(VALU_DEP_1) | instskip(NEXT) | instid1(SALU_CYCLE_1)
	s_or_b32 s2, vcc_lo, s2
	s_and_saveexec_b32 s3, s2
	s_cbranch_execz .LBB504_38
; %bb.5:
	s_clause 0x1
	s_load_b128 s[4:7], s[0:1], 0x18
	s_load_b64 s[10:11], s[0:1], 0x28
	s_waitcnt lgkmcnt(0)
	s_cmp_eq_u64 s[4:5], 0
	s_cbranch_scc1 .LBB504_7
; %bb.6:
	s_ashr_i32 s9, s8, 31
	s_delay_alu instid0(SALU_CYCLE_1) | instskip(NEXT) | instid1(SALU_CYCLE_1)
	s_lshl_b64 s[2:3], s[8:9], 2
	s_add_u32 s2, s4, s2
	s_addc_u32 s3, s5, s3
	s_load_b32 s2, s[2:3], 0x0
	s_waitcnt lgkmcnt(0)
	s_sub_i32 s8, s2, s12
.LBB504_7:
	s_load_b32 s3, s[0:1], 0x4
	v_mul_u32_u24_e32 v5, 0xa3e, v0
	s_delay_alu instid0(VALU_DEP_1) | instskip(NEXT) | instid1(VALU_DEP_1)
	v_lshrrev_b32_e32 v7, 16, v5
	v_mul_lo_u16 v5, v7, 25
	s_delay_alu instid0(VALU_DEP_1)
	v_sub_nc_u16 v12, v0, v5
	v_mov_b32_e32 v5, 0
	v_mov_b32_e32 v6, 0
	s_waitcnt lgkmcnt(0)
	s_cmp_eq_u32 s3, 1
	s_cselect_b32 s2, -1, 0
	s_cmp_lg_u32 s3, 1
	s_cselect_b32 s3, -1, 0
	s_ashr_i32 s9, s8, 31
	s_delay_alu instid0(SALU_CYCLE_1) | instskip(NEXT) | instid1(SALU_CYCLE_1)
	s_lshl_b64 s[4:5], s[8:9], 3
	s_add_u32 s6, s6, s4
	s_addc_u32 s7, s7, s5
	s_add_u32 s9, s6, 8
	s_addc_u32 s13, s7, 0
	;; [unrolled: 2-line block ×3, first 2 shown]
	s_cmp_eq_u64 s[10:11], 0
	s_load_b64 s[10:11], s[0:1], 0x50
	s_cselect_b32 s5, s13, s5
	s_cselect_b32 s4, s9, s4
	s_load_b64 s[18:19], s[6:7], 0x0
	s_load_b64 s[14:15], s[4:5], 0x0
	s_waitcnt lgkmcnt(0)
	v_cmp_ge_i64_e64 s4, s[18:19], s[14:15]
	s_delay_alu instid0(VALU_DEP_1)
	s_and_b32 vcc_lo, exec_lo, s4
	s_cbranch_vccnz .LBB504_12
; %bb.8:
	v_and_b32_e32 v5, 0xffff, v7
	v_cmp_lt_u32_e32 vcc_lo, 0x270, v0
	s_clause 0x1
	s_load_b128 s[4:7], s[0:1], 0x30
	s_load_b64 s[0:1], s[0:1], 0x40
	s_sub_u32 s14, s14, s12
	s_subb_u32 s15, s15, 0
	v_subrev_nc_u32_e32 v7, 25, v5
	v_cndmask_b32_e64 v13, 0, 1, vcc_lo
	v_cmp_gt_u32_e32 vcc_lo, 0x271, v0
	v_and_b32_e32 v6, 0xffff, v12
	s_sub_u32 s16, s18, s12
	s_subb_u32 s17, s19, 0
	s_mul_hi_u32 s9, s16, 0x9c4
	v_cndmask_b32_e32 v5, v7, v5, vcc_lo
	s_mul_i32 s13, s17, 0x9c4
	v_lshlrev_b32_e32 v8, 2, v0
	s_add_i32 s9, s9, s13
	s_delay_alu instid0(VALU_DEP_2) | instskip(SKIP_1) | instid1(VALU_DEP_1)
	v_cndmask_b32_e64 v7, v6, v5, s2
	v_add_co_u32 v5, s2, s18, v13
	v_add_co_ci_u32_e64 v6, null, s19, 0, s2
	s_mul_i32 s2, s16, 0x9c4
	s_delay_alu instid0(VALU_DEP_2) | instskip(NEXT) | instid1(VALU_DEP_2)
	v_sub_co_u32 v5, vcc_lo, v5, s12
	v_subrev_co_ci_u32_e32 v6, vcc_lo, 0, v6, vcc_lo
	s_waitcnt lgkmcnt(0)
	s_add_u32 s2, s6, s2
	s_addc_u32 s6, s7, s9
	s_delay_alu instid0(VALU_DEP_1) | instskip(SKIP_2) | instid1(VALU_DEP_1)
	v_lshlrev_b64 v[10:11], 2, v[5:6]
	v_mov_b32_e32 v5, 0
	v_add_co_u32 v8, s2, s2, v8
	v_add_co_ci_u32_e64 v9, null, s6, 0, s2
	s_delay_alu instid0(VALU_DEP_4)
	v_add_co_u32 v10, vcc_lo, s4, v10
	v_mov_b32_e32 v6, 0
	v_add_co_ci_u32_e32 v11, vcc_lo, s5, v11, vcc_lo
	s_set_inst_prefetch_distance 0x1
	s_branch .LBB504_10
	.p2align	6
.LBB504_9:                              ;   in Loop: Header=BB504_10 Depth=1
	s_or_b32 exec_lo, exec_lo, s2
	s_add_u32 s16, s16, 1
	s_addc_u32 s17, s17, 0
	v_add_co_u32 v10, vcc_lo, v10, 4
	v_cmp_lt_i64_e64 s2, s[16:17], s[14:15]
	v_add_co_ci_u32_e32 v11, vcc_lo, 0, v11, vcc_lo
	s_delay_alu instid0(VALU_DEP_2)
	s_and_b32 vcc_lo, exec_lo, s2
	s_cbranch_vccz .LBB504_12
.LBB504_10:                             ; =>This Inner Loop Header: Depth=1
	v_add_co_u32 v14, s2, v13, s16
	s_delay_alu instid0(VALU_DEP_1) | instskip(SKIP_1) | instid1(VALU_DEP_1)
	v_add_co_ci_u32_e64 v15, null, 0, s17, s2
	s_mov_b32 s2, exec_lo
	v_cmpx_gt_i64_e64 s[14:15], v[14:15]
	s_cbranch_execz .LBB504_9
; %bb.11:                               ;   in Loop: Header=BB504_10 Depth=1
	global_load_b32 v14, v[10:11], off
	global_load_b32 v16, v[8:9], off
	s_waitcnt vmcnt(1)
	v_subrev_nc_u32_e32 v17, s12, v14
	s_delay_alu instid0(VALU_DEP_1) | instskip(SKIP_2) | instid1(VALU_DEP_2)
	v_mad_u64_u32 v[14:15], null, v17, 25, v[7:8]
	s_waitcnt vmcnt(0)
	v_cvt_f64_f32_e32 v[16:17], v16
	v_ashrrev_i32_e32 v15, 31, v14
	s_delay_alu instid0(VALU_DEP_1) | instskip(NEXT) | instid1(VALU_DEP_1)
	v_lshlrev_b64 v[14:15], 3, v[14:15]
	v_add_co_u32 v14, vcc_lo, s0, v14
	s_delay_alu instid0(VALU_DEP_2)
	v_add_co_ci_u32_e32 v15, vcc_lo, s1, v15, vcc_lo
	v_add_co_u32 v8, vcc_lo, 0x9c4, v8
	v_add_co_ci_u32_e32 v9, vcc_lo, 0, v9, vcc_lo
	global_load_b64 v[14:15], v[14:15], off
	s_waitcnt vmcnt(0)
	v_fma_f64 v[5:6], v[16:17], v[14:15], v[5:6]
	s_branch .LBB504_9
.LBB504_12:
	s_set_inst_prefetch_distance 0x2
	v_lshlrev_b32_e32 v7, 3, v0
	s_and_b32 vcc_lo, exec_lo, s3
	ds_store_b64 v7, v[5:6]
	s_waitcnt lgkmcnt(0)
	s_barrier
	buffer_gl0_inv
	s_cbranch_vccz .LBB504_24
; %bb.13:
	s_mov_b32 s0, exec_lo
	v_cmpx_gt_u16_e32 9, v12
	s_cbranch_execz .LBB504_15
; %bb.14:
	ds_load_2addr_b64 v[8:11], v7 offset1:16
	s_waitcnt lgkmcnt(0)
	v_add_f64 v[8:9], v[10:11], v[8:9]
	ds_store_b64 v7, v[8:9]
.LBB504_15:
	s_or_b32 exec_lo, exec_lo, s0
	s_delay_alu instid0(SALU_CYCLE_1)
	s_mov_b32 s0, exec_lo
	s_waitcnt lgkmcnt(0)
	s_barrier
	buffer_gl0_inv
	v_cmpx_gt_u16_e32 8, v12
	s_cbranch_execz .LBB504_17
; %bb.16:
	ds_load_2addr_b64 v[8:11], v7 offset1:8
	s_waitcnt lgkmcnt(0)
	v_add_f64 v[8:9], v[10:11], v[8:9]
	ds_store_b64 v7, v[8:9]
.LBB504_17:
	s_or_b32 exec_lo, exec_lo, s0
	s_delay_alu instid0(SALU_CYCLE_1)
	s_mov_b32 s0, exec_lo
	s_waitcnt lgkmcnt(0)
	s_barrier
	buffer_gl0_inv
	;; [unrolled: 14-line block ×3, first 2 shown]
	v_cmpx_gt_u16_e32 2, v12
	s_cbranch_execz .LBB504_21
; %bb.20:
	ds_load_2addr_b64 v[8:11], v7 offset1:2
	s_waitcnt lgkmcnt(0)
	v_add_f64 v[8:9], v[10:11], v[8:9]
	ds_store_b64 v7, v[8:9]
.LBB504_21:
	s_or_b32 exec_lo, exec_lo, s0
	s_mov_b32 s1, 0
	s_mov_b32 s0, 0
	s_mov_b32 s2, exec_lo
	s_waitcnt lgkmcnt(0)
	s_barrier
	buffer_gl0_inv
                                        ; implicit-def: $vgpr8
                                        ; implicit-def: $vgpr9
	v_cmpx_gt_u32_e32 25, v0
	s_xor_b32 s2, exec_lo, s2
; %bb.22:
	v_mad_u32_u24 v8, v0, 25, 1
	v_mad_u32_u24 v9, 0xc0, v0, v7
	s_mov_b32 s0, exec_lo
; %bb.23:
	s_or_b32 exec_lo, exec_lo, s2
	s_delay_alu instid0(SALU_CYCLE_1)
	s_and_b32 vcc_lo, exec_lo, s1
	s_cbranch_vccnz .LBB504_25
	s_branch .LBB504_36
.LBB504_24:
	s_mov_b32 s0, 0
                                        ; implicit-def: $vgpr8
                                        ; implicit-def: $vgpr9
	s_cbranch_execz .LBB504_36
.LBB504_25:
	s_mov_b32 s1, exec_lo
	v_cmpx_gt_u32_e32 0xe1, v0
	s_cbranch_execz .LBB504_27
; %bb.26:
	ds_load_b64 v[8:9], v7 offset:3200
	ds_load_b64 v[10:11], v7
	s_waitcnt lgkmcnt(0)
	v_add_f64 v[8:9], v[8:9], v[10:11]
	ds_store_b64 v7, v[8:9]
.LBB504_27:
	s_or_b32 exec_lo, exec_lo, s1
	s_delay_alu instid0(SALU_CYCLE_1)
	s_mov_b32 s1, exec_lo
	s_waitcnt lgkmcnt(0)
	s_barrier
	buffer_gl0_inv
	v_cmpx_gt_u32_e32 0xc8, v0
	s_cbranch_execz .LBB504_29
; %bb.28:
	ds_load_2addr_b64 v[8:11], v7 offset1:200
	s_waitcnt lgkmcnt(0)
	v_add_f64 v[8:9], v[10:11], v[8:9]
	ds_store_b64 v7, v[8:9]
.LBB504_29:
	s_or_b32 exec_lo, exec_lo, s1
	s_delay_alu instid0(SALU_CYCLE_1)
	s_mov_b32 s1, exec_lo
	s_waitcnt lgkmcnt(0)
	s_barrier
	buffer_gl0_inv
	v_cmpx_gt_u32_e32 0x64, v0
	s_cbranch_execz .LBB504_31
; %bb.30:
	ds_load_2addr_b64 v[8:11], v7 offset1:100
	s_waitcnt lgkmcnt(0)
	v_add_f64 v[8:9], v[10:11], v[8:9]
	ds_store_b64 v7, v[8:9]
.LBB504_31:
	;; [unrolled: 14-line block ×3, first 2 shown]
	s_or_b32 exec_lo, exec_lo, s1
	s_delay_alu instid0(SALU_CYCLE_1)
	s_mov_b32 s1, exec_lo
	s_waitcnt lgkmcnt(0)
	buffer_gl0_inv
                                        ; implicit-def: $vgpr8
	v_cmpx_gt_u32_e32 25, v0
; %bb.34:
	v_add_nc_u32_e32 v8, 25, v0
	s_or_b32 s0, s0, exec_lo
                                        ; implicit-def: $vgpr5_vgpr6
; %bb.35:
	s_or_b32 exec_lo, exec_lo, s1
	v_mov_b32_e32 v9, v7
.LBB504_36:
	s_and_saveexec_b32 s1, s0
	s_cbranch_execnz .LBB504_39
; %bb.37:
	s_or_b32 exec_lo, exec_lo, s1
	v_cmp_gt_u32_e32 vcc_lo, 25, v0
	s_and_b32 exec_lo, exec_lo, vcc_lo
	s_cbranch_execnz .LBB504_40
.LBB504_38:
	s_nop 0
	s_sendmsg sendmsg(MSG_DEALLOC_VGPRS)
	s_endpgm
.LBB504_39:
	v_lshlrev_b32_e32 v7, 3, v8
	ds_load_b64 v[5:6], v9
	ds_load_b64 v[7:8], v7
	s_waitcnt lgkmcnt(0)
	v_add_f64 v[5:6], v[5:6], v[7:8]
	s_or_b32 exec_lo, exec_lo, s1
	v_cmp_gt_u32_e32 vcc_lo, 25, v0
	s_and_b32 exec_lo, exec_lo, vcc_lo
	s_cbranch_execz .LBB504_38
.LBB504_40:
	s_delay_alu instid0(VALU_DEP_2)
	v_mul_f64 v[3:4], v[3:4], v[5:6]
	s_mov_b32 s0, exec_lo
	v_cmpx_eq_f64_e32 0, v[1:2]
	s_xor_b32 s0, exec_lo, s0
	s_cbranch_execz .LBB504_42
; %bb.41:
	v_mad_u64_u32 v[1:2], null, s8, 25, v[0:1]
	v_mov_b32_e32 v2, 0
	s_delay_alu instid0(VALU_DEP_1) | instskip(NEXT) | instid1(VALU_DEP_1)
	v_lshlrev_b64 v[0:1], 3, v[1:2]
	v_add_co_u32 v0, vcc_lo, s10, v0
	s_delay_alu instid0(VALU_DEP_2)
	v_add_co_ci_u32_e32 v1, vcc_lo, s11, v1, vcc_lo
	global_store_b64 v[0:1], v[3:4], off
                                        ; implicit-def: $vgpr0
                                        ; implicit-def: $vgpr1_vgpr2
                                        ; implicit-def: $vgpr3_vgpr4
.LBB504_42:
	s_and_not1_saveexec_b32 s0, s0
	s_cbranch_execz .LBB504_38
; %bb.43:
	v_mad_u64_u32 v[5:6], null, s8, 25, v[0:1]
	v_mov_b32_e32 v6, 0
	s_delay_alu instid0(VALU_DEP_1) | instskip(NEXT) | instid1(VALU_DEP_1)
	v_lshlrev_b64 v[5:6], 3, v[5:6]
	v_add_co_u32 v5, vcc_lo, s10, v5
	s_delay_alu instid0(VALU_DEP_2)
	v_add_co_ci_u32_e32 v6, vcc_lo, s11, v6, vcc_lo
	global_load_b64 v[7:8], v[5:6], off
	s_waitcnt vmcnt(0)
	v_fma_f64 v[0:1], v[1:2], v[7:8], v[3:4]
	global_store_b64 v[5:6], v[0:1], off
	s_nop 0
	s_sendmsg sendmsg(MSG_DEALLOC_VGPRS)
	s_endpgm
	.section	.rodata,"a",@progbits
	.p2align	6, 0x0
	.amdhsa_kernel _ZN9rocsparseL20bsrxmvn_17_32_kernelILj25EdlifddEEvT2_20rocsparse_direction_NS_24const_host_device_scalarIT0_EES1_PKS1_PKT1_SA_S7_PKT3_PKT4_S5_PT5_21rocsparse_index_base_b
		.amdhsa_group_segment_fixed_size 5000
		.amdhsa_private_segment_fixed_size 0
		.amdhsa_kernarg_size 96
		.amdhsa_user_sgpr_count 15
		.amdhsa_user_sgpr_dispatch_ptr 0
		.amdhsa_user_sgpr_queue_ptr 0
		.amdhsa_user_sgpr_kernarg_segment_ptr 1
		.amdhsa_user_sgpr_dispatch_id 0
		.amdhsa_user_sgpr_private_segment_size 0
		.amdhsa_wavefront_size32 1
		.amdhsa_uses_dynamic_stack 0
		.amdhsa_enable_private_segment 0
		.amdhsa_system_sgpr_workgroup_id_x 1
		.amdhsa_system_sgpr_workgroup_id_y 0
		.amdhsa_system_sgpr_workgroup_id_z 0
		.amdhsa_system_sgpr_workgroup_info 0
		.amdhsa_system_vgpr_workitem_id 0
		.amdhsa_next_free_vgpr 18
		.amdhsa_next_free_sgpr 20
		.amdhsa_reserve_vcc 1
		.amdhsa_float_round_mode_32 0
		.amdhsa_float_round_mode_16_64 0
		.amdhsa_float_denorm_mode_32 3
		.amdhsa_float_denorm_mode_16_64 3
		.amdhsa_dx10_clamp 1
		.amdhsa_ieee_mode 1
		.amdhsa_fp16_overflow 0
		.amdhsa_workgroup_processor_mode 1
		.amdhsa_memory_ordered 1
		.amdhsa_forward_progress 0
		.amdhsa_shared_vgpr_count 0
		.amdhsa_exception_fp_ieee_invalid_op 0
		.amdhsa_exception_fp_denorm_src 0
		.amdhsa_exception_fp_ieee_div_zero 0
		.amdhsa_exception_fp_ieee_overflow 0
		.amdhsa_exception_fp_ieee_underflow 0
		.amdhsa_exception_fp_ieee_inexact 0
		.amdhsa_exception_int_div_zero 0
	.end_amdhsa_kernel
	.section	.text._ZN9rocsparseL20bsrxmvn_17_32_kernelILj25EdlifddEEvT2_20rocsparse_direction_NS_24const_host_device_scalarIT0_EES1_PKS1_PKT1_SA_S7_PKT3_PKT4_S5_PT5_21rocsparse_index_base_b,"axG",@progbits,_ZN9rocsparseL20bsrxmvn_17_32_kernelILj25EdlifddEEvT2_20rocsparse_direction_NS_24const_host_device_scalarIT0_EES1_PKS1_PKT1_SA_S7_PKT3_PKT4_S5_PT5_21rocsparse_index_base_b,comdat
.Lfunc_end504:
	.size	_ZN9rocsparseL20bsrxmvn_17_32_kernelILj25EdlifddEEvT2_20rocsparse_direction_NS_24const_host_device_scalarIT0_EES1_PKS1_PKT1_SA_S7_PKT3_PKT4_S5_PT5_21rocsparse_index_base_b, .Lfunc_end504-_ZN9rocsparseL20bsrxmvn_17_32_kernelILj25EdlifddEEvT2_20rocsparse_direction_NS_24const_host_device_scalarIT0_EES1_PKS1_PKT1_SA_S7_PKT3_PKT4_S5_PT5_21rocsparse_index_base_b
                                        ; -- End function
	.section	.AMDGPU.csdata,"",@progbits
; Kernel info:
; codeLenInByte = 1720
; NumSgprs: 22
; NumVgprs: 18
; ScratchSize: 0
; MemoryBound: 0
; FloatMode: 240
; IeeeMode: 1
; LDSByteSize: 5000 bytes/workgroup (compile time only)
; SGPRBlocks: 2
; VGPRBlocks: 2
; NumSGPRsForWavesPerEU: 22
; NumVGPRsForWavesPerEU: 18
; Occupancy: 15
; WaveLimiterHint : 1
; COMPUTE_PGM_RSRC2:SCRATCH_EN: 0
; COMPUTE_PGM_RSRC2:USER_SGPR: 15
; COMPUTE_PGM_RSRC2:TRAP_HANDLER: 0
; COMPUTE_PGM_RSRC2:TGID_X_EN: 1
; COMPUTE_PGM_RSRC2:TGID_Y_EN: 0
; COMPUTE_PGM_RSRC2:TGID_Z_EN: 0
; COMPUTE_PGM_RSRC2:TIDIG_COMP_CNT: 0
	.section	.text._ZN9rocsparseL20bsrxmvn_17_32_kernelILj26EdlifddEEvT2_20rocsparse_direction_NS_24const_host_device_scalarIT0_EES1_PKS1_PKT1_SA_S7_PKT3_PKT4_S5_PT5_21rocsparse_index_base_b,"axG",@progbits,_ZN9rocsparseL20bsrxmvn_17_32_kernelILj26EdlifddEEvT2_20rocsparse_direction_NS_24const_host_device_scalarIT0_EES1_PKS1_PKT1_SA_S7_PKT3_PKT4_S5_PT5_21rocsparse_index_base_b,comdat
	.globl	_ZN9rocsparseL20bsrxmvn_17_32_kernelILj26EdlifddEEvT2_20rocsparse_direction_NS_24const_host_device_scalarIT0_EES1_PKS1_PKT1_SA_S7_PKT3_PKT4_S5_PT5_21rocsparse_index_base_b ; -- Begin function _ZN9rocsparseL20bsrxmvn_17_32_kernelILj26EdlifddEEvT2_20rocsparse_direction_NS_24const_host_device_scalarIT0_EES1_PKS1_PKT1_SA_S7_PKT3_PKT4_S5_PT5_21rocsparse_index_base_b
	.p2align	8
	.type	_ZN9rocsparseL20bsrxmvn_17_32_kernelILj26EdlifddEEvT2_20rocsparse_direction_NS_24const_host_device_scalarIT0_EES1_PKS1_PKT1_SA_S7_PKT3_PKT4_S5_PT5_21rocsparse_index_base_b,@function
_ZN9rocsparseL20bsrxmvn_17_32_kernelILj26EdlifddEEvT2_20rocsparse_direction_NS_24const_host_device_scalarIT0_EES1_PKS1_PKT1_SA_S7_PKT3_PKT4_S5_PT5_21rocsparse_index_base_b: ; @_ZN9rocsparseL20bsrxmvn_17_32_kernelILj26EdlifddEEvT2_20rocsparse_direction_NS_24const_host_device_scalarIT0_EES1_PKS1_PKT1_SA_S7_PKT3_PKT4_S5_PT5_21rocsparse_index_base_b
; %bb.0:
	s_clause 0x2
	s_load_b64 s[12:13], s[0:1], 0x58
	s_load_b64 s[4:5], s[0:1], 0x8
	;; [unrolled: 1-line block ×3, first 2 shown]
	s_mov_b32 s8, s15
	s_waitcnt lgkmcnt(0)
	s_bitcmp1_b32 s13, 0
	v_dual_mov_b32 v3, s4 :: v_dual_mov_b32 v4, s5
	s_cselect_b32 s6, -1, 0
	s_delay_alu instid0(SALU_CYCLE_1)
	s_and_b32 vcc_lo, exec_lo, s6
	s_xor_b32 s6, s6, -1
	s_cbranch_vccnz .LBB505_2
; %bb.1:
	v_dual_mov_b32 v1, s4 :: v_dual_mov_b32 v2, s5
	flat_load_b64 v[3:4], v[1:2]
.LBB505_2:
	v_dual_mov_b32 v1, s2 :: v_dual_mov_b32 v2, s3
	s_and_not1_b32 vcc_lo, exec_lo, s6
	s_cbranch_vccnz .LBB505_4
; %bb.3:
	v_dual_mov_b32 v1, s2 :: v_dual_mov_b32 v2, s3
	flat_load_b64 v[1:2], v[1:2]
.LBB505_4:
	s_waitcnt vmcnt(0) lgkmcnt(0)
	v_cmp_neq_f64_e32 vcc_lo, 0, v[3:4]
	v_cmp_neq_f64_e64 s2, 1.0, v[1:2]
	s_delay_alu instid0(VALU_DEP_1) | instskip(NEXT) | instid1(SALU_CYCLE_1)
	s_or_b32 s2, vcc_lo, s2
	s_and_saveexec_b32 s3, s2
	s_cbranch_execz .LBB505_38
; %bb.5:
	s_clause 0x1
	s_load_b128 s[4:7], s[0:1], 0x18
	s_load_b64 s[10:11], s[0:1], 0x28
	s_waitcnt lgkmcnt(0)
	s_cmp_eq_u64 s[4:5], 0
	s_cbranch_scc1 .LBB505_7
; %bb.6:
	s_ashr_i32 s9, s8, 31
	s_delay_alu instid0(SALU_CYCLE_1) | instskip(NEXT) | instid1(SALU_CYCLE_1)
	s_lshl_b64 s[2:3], s[8:9], 2
	s_add_u32 s2, s4, s2
	s_addc_u32 s3, s5, s3
	s_load_b32 s2, s[2:3], 0x0
	s_waitcnt lgkmcnt(0)
	s_sub_i32 s8, s2, s12
.LBB505_7:
	s_load_b32 s3, s[0:1], 0x4
	v_mul_u32_u24_e32 v5, 0x9d9, v0
	s_delay_alu instid0(VALU_DEP_1) | instskip(NEXT) | instid1(VALU_DEP_1)
	v_lshrrev_b32_e32 v7, 16, v5
	v_mul_lo_u16 v5, v7, 26
	s_delay_alu instid0(VALU_DEP_1)
	v_sub_nc_u16 v12, v0, v5
	v_mov_b32_e32 v5, 0
	v_mov_b32_e32 v6, 0
	s_waitcnt lgkmcnt(0)
	s_cmp_eq_u32 s3, 1
	s_cselect_b32 s2, -1, 0
	s_cmp_lg_u32 s3, 1
	s_cselect_b32 s3, -1, 0
	s_ashr_i32 s9, s8, 31
	s_delay_alu instid0(SALU_CYCLE_1) | instskip(NEXT) | instid1(SALU_CYCLE_1)
	s_lshl_b64 s[4:5], s[8:9], 3
	s_add_u32 s6, s6, s4
	s_addc_u32 s7, s7, s5
	s_add_u32 s9, s6, 8
	s_addc_u32 s13, s7, 0
	s_add_u32 s4, s10, s4
	s_addc_u32 s5, s11, s5
	s_cmp_eq_u64 s[10:11], 0
	s_load_b64 s[10:11], s[0:1], 0x50
	s_cselect_b32 s5, s13, s5
	s_cselect_b32 s4, s9, s4
	s_load_b64 s[18:19], s[6:7], 0x0
	s_load_b64 s[14:15], s[4:5], 0x0
	s_waitcnt lgkmcnt(0)
	v_cmp_ge_i64_e64 s4, s[18:19], s[14:15]
	s_delay_alu instid0(VALU_DEP_1)
	s_and_b32 vcc_lo, exec_lo, s4
	s_cbranch_vccnz .LBB505_12
; %bb.8:
	v_and_b32_e32 v5, 0xffff, v7
	v_cmp_lt_u32_e32 vcc_lo, 0x2a3, v0
	s_clause 0x1
	s_load_b128 s[4:7], s[0:1], 0x30
	s_load_b64 s[0:1], s[0:1], 0x40
	s_sub_u32 s14, s14, s12
	s_subb_u32 s15, s15, 0
	v_subrev_nc_u32_e32 v7, 26, v5
	v_cndmask_b32_e64 v13, 0, 1, vcc_lo
	v_cmp_gt_u32_e32 vcc_lo, 0x2a4, v0
	v_and_b32_e32 v6, 0xffff, v12
	s_sub_u32 s16, s18, s12
	s_subb_u32 s17, s19, 0
	s_mul_hi_u32 s9, s16, 0xa90
	v_cndmask_b32_e32 v5, v7, v5, vcc_lo
	s_mul_i32 s13, s17, 0xa90
	v_lshlrev_b32_e32 v8, 2, v0
	s_add_i32 s9, s9, s13
	s_delay_alu instid0(VALU_DEP_2) | instskip(SKIP_1) | instid1(VALU_DEP_1)
	v_cndmask_b32_e64 v7, v6, v5, s2
	v_add_co_u32 v5, s2, s18, v13
	v_add_co_ci_u32_e64 v6, null, s19, 0, s2
	s_mul_i32 s2, s16, 0xa90
	s_delay_alu instid0(VALU_DEP_2) | instskip(NEXT) | instid1(VALU_DEP_2)
	v_sub_co_u32 v5, vcc_lo, v5, s12
	v_subrev_co_ci_u32_e32 v6, vcc_lo, 0, v6, vcc_lo
	s_waitcnt lgkmcnt(0)
	s_add_u32 s2, s6, s2
	s_addc_u32 s6, s7, s9
	s_delay_alu instid0(VALU_DEP_1) | instskip(SKIP_2) | instid1(VALU_DEP_1)
	v_lshlrev_b64 v[10:11], 2, v[5:6]
	v_mov_b32_e32 v5, 0
	v_add_co_u32 v8, s2, s2, v8
	v_add_co_ci_u32_e64 v9, null, s6, 0, s2
	s_delay_alu instid0(VALU_DEP_4)
	v_add_co_u32 v10, vcc_lo, s4, v10
	v_mov_b32_e32 v6, 0
	v_add_co_ci_u32_e32 v11, vcc_lo, s5, v11, vcc_lo
	s_set_inst_prefetch_distance 0x1
	s_branch .LBB505_10
	.p2align	6
.LBB505_9:                              ;   in Loop: Header=BB505_10 Depth=1
	s_or_b32 exec_lo, exec_lo, s2
	s_add_u32 s16, s16, 1
	s_addc_u32 s17, s17, 0
	v_add_co_u32 v10, vcc_lo, v10, 4
	v_cmp_lt_i64_e64 s2, s[16:17], s[14:15]
	v_add_co_ci_u32_e32 v11, vcc_lo, 0, v11, vcc_lo
	s_delay_alu instid0(VALU_DEP_2)
	s_and_b32 vcc_lo, exec_lo, s2
	s_cbranch_vccz .LBB505_12
.LBB505_10:                             ; =>This Inner Loop Header: Depth=1
	v_add_co_u32 v14, s2, v13, s16
	s_delay_alu instid0(VALU_DEP_1) | instskip(SKIP_1) | instid1(VALU_DEP_1)
	v_add_co_ci_u32_e64 v15, null, 0, s17, s2
	s_mov_b32 s2, exec_lo
	v_cmpx_gt_i64_e64 s[14:15], v[14:15]
	s_cbranch_execz .LBB505_9
; %bb.11:                               ;   in Loop: Header=BB505_10 Depth=1
	global_load_b32 v14, v[10:11], off
	global_load_b32 v16, v[8:9], off
	s_waitcnt vmcnt(1)
	v_subrev_nc_u32_e32 v17, s12, v14
	s_delay_alu instid0(VALU_DEP_1) | instskip(SKIP_2) | instid1(VALU_DEP_2)
	v_mad_u64_u32 v[14:15], null, v17, 26, v[7:8]
	s_waitcnt vmcnt(0)
	v_cvt_f64_f32_e32 v[16:17], v16
	v_ashrrev_i32_e32 v15, 31, v14
	s_delay_alu instid0(VALU_DEP_1) | instskip(NEXT) | instid1(VALU_DEP_1)
	v_lshlrev_b64 v[14:15], 3, v[14:15]
	v_add_co_u32 v14, vcc_lo, s0, v14
	s_delay_alu instid0(VALU_DEP_2)
	v_add_co_ci_u32_e32 v15, vcc_lo, s1, v15, vcc_lo
	v_add_co_u32 v8, vcc_lo, 0xa90, v8
	v_add_co_ci_u32_e32 v9, vcc_lo, 0, v9, vcc_lo
	global_load_b64 v[14:15], v[14:15], off
	s_waitcnt vmcnt(0)
	v_fma_f64 v[5:6], v[16:17], v[14:15], v[5:6]
	s_branch .LBB505_9
.LBB505_12:
	s_set_inst_prefetch_distance 0x2
	v_lshlrev_b32_e32 v7, 3, v0
	s_and_b32 vcc_lo, exec_lo, s3
	ds_store_b64 v7, v[5:6]
	s_waitcnt lgkmcnt(0)
	s_barrier
	buffer_gl0_inv
	s_cbranch_vccz .LBB505_24
; %bb.13:
	s_mov_b32 s0, exec_lo
	v_cmpx_gt_u16_e32 10, v12
	s_cbranch_execz .LBB505_15
; %bb.14:
	ds_load_2addr_b64 v[8:11], v7 offset1:16
	s_waitcnt lgkmcnt(0)
	v_add_f64 v[8:9], v[10:11], v[8:9]
	ds_store_b64 v7, v[8:9]
.LBB505_15:
	s_or_b32 exec_lo, exec_lo, s0
	s_delay_alu instid0(SALU_CYCLE_1)
	s_mov_b32 s0, exec_lo
	s_waitcnt lgkmcnt(0)
	s_barrier
	buffer_gl0_inv
	v_cmpx_gt_u16_e32 8, v12
	s_cbranch_execz .LBB505_17
; %bb.16:
	ds_load_2addr_b64 v[8:11], v7 offset1:8
	s_waitcnt lgkmcnt(0)
	v_add_f64 v[8:9], v[10:11], v[8:9]
	ds_store_b64 v7, v[8:9]
.LBB505_17:
	s_or_b32 exec_lo, exec_lo, s0
	s_delay_alu instid0(SALU_CYCLE_1)
	s_mov_b32 s0, exec_lo
	s_waitcnt lgkmcnt(0)
	s_barrier
	buffer_gl0_inv
	;; [unrolled: 14-line block ×3, first 2 shown]
	v_cmpx_gt_u16_e32 2, v12
	s_cbranch_execz .LBB505_21
; %bb.20:
	ds_load_2addr_b64 v[8:11], v7 offset1:2
	s_waitcnt lgkmcnt(0)
	v_add_f64 v[8:9], v[10:11], v[8:9]
	ds_store_b64 v7, v[8:9]
.LBB505_21:
	s_or_b32 exec_lo, exec_lo, s0
	s_mov_b32 s1, 0
	s_mov_b32 s0, 0
	s_mov_b32 s2, exec_lo
	s_waitcnt lgkmcnt(0)
	s_barrier
	buffer_gl0_inv
                                        ; implicit-def: $vgpr8
                                        ; implicit-def: $vgpr9
	v_cmpx_gt_u32_e32 26, v0
	s_xor_b32 s2, exec_lo, s2
; %bb.22:
	v_mul_u32_u24_e32 v8, 26, v0
	v_mad_u32_u24 v9, 0xc8, v0, v7
	s_mov_b32 s0, exec_lo
	s_delay_alu instid0(VALU_DEP_2)
	v_or_b32_e32 v8, 1, v8
; %bb.23:
	s_or_b32 exec_lo, exec_lo, s2
	s_delay_alu instid0(SALU_CYCLE_1)
	s_and_b32 vcc_lo, exec_lo, s1
	s_cbranch_vccnz .LBB505_25
	s_branch .LBB505_36
.LBB505_24:
	s_mov_b32 s0, 0
                                        ; implicit-def: $vgpr8
                                        ; implicit-def: $vgpr9
	s_cbranch_execz .LBB505_36
.LBB505_25:
	s_mov_b32 s1, exec_lo
	v_cmpx_gt_u32_e32 0x104, v0
	s_cbranch_execz .LBB505_27
; %bb.26:
	ds_load_b64 v[8:9], v7 offset:3328
	ds_load_b64 v[10:11], v7
	s_waitcnt lgkmcnt(0)
	v_add_f64 v[8:9], v[8:9], v[10:11]
	ds_store_b64 v7, v[8:9]
.LBB505_27:
	s_or_b32 exec_lo, exec_lo, s1
	s_delay_alu instid0(SALU_CYCLE_1)
	s_mov_b32 s1, exec_lo
	s_waitcnt lgkmcnt(0)
	s_barrier
	buffer_gl0_inv
	v_cmpx_gt_u32_e32 0xd0, v0
	s_cbranch_execz .LBB505_29
; %bb.28:
	ds_load_2addr_b64 v[8:11], v7 offset1:208
	s_waitcnt lgkmcnt(0)
	v_add_f64 v[8:9], v[10:11], v[8:9]
	ds_store_b64 v7, v[8:9]
.LBB505_29:
	s_or_b32 exec_lo, exec_lo, s1
	s_delay_alu instid0(SALU_CYCLE_1)
	s_mov_b32 s1, exec_lo
	s_waitcnt lgkmcnt(0)
	s_barrier
	buffer_gl0_inv
	v_cmpx_gt_u32_e32 0x68, v0
	s_cbranch_execz .LBB505_31
; %bb.30:
	ds_load_2addr_b64 v[8:11], v7 offset1:104
	s_waitcnt lgkmcnt(0)
	v_add_f64 v[8:9], v[10:11], v[8:9]
	ds_store_b64 v7, v[8:9]
.LBB505_31:
	s_or_b32 exec_lo, exec_lo, s1
	s_delay_alu instid0(SALU_CYCLE_1)
	s_mov_b32 s1, exec_lo
	s_waitcnt lgkmcnt(0)
	s_barrier
	buffer_gl0_inv
	v_cmpx_gt_u32_e32 52, v0
	s_cbranch_execz .LBB505_33
; %bb.32:
	ds_load_2addr_b64 v[8:11], v7 offset1:52
	s_waitcnt lgkmcnt(0)
	v_add_f64 v[8:9], v[10:11], v[8:9]
	ds_store_b64 v7, v[8:9]
.LBB505_33:
	s_or_b32 exec_lo, exec_lo, s1
	s_delay_alu instid0(SALU_CYCLE_1)
	s_mov_b32 s1, exec_lo
	s_waitcnt lgkmcnt(0)
	buffer_gl0_inv
                                        ; implicit-def: $vgpr8
	v_cmpx_gt_u32_e32 26, v0
; %bb.34:
	v_add_nc_u32_e32 v8, 26, v0
	s_or_b32 s0, s0, exec_lo
                                        ; implicit-def: $vgpr5_vgpr6
; %bb.35:
	s_or_b32 exec_lo, exec_lo, s1
	v_mov_b32_e32 v9, v7
.LBB505_36:
	s_and_saveexec_b32 s1, s0
	s_cbranch_execnz .LBB505_39
; %bb.37:
	s_or_b32 exec_lo, exec_lo, s1
	v_cmp_gt_u32_e32 vcc_lo, 26, v0
	s_and_b32 exec_lo, exec_lo, vcc_lo
	s_cbranch_execnz .LBB505_40
.LBB505_38:
	s_nop 0
	s_sendmsg sendmsg(MSG_DEALLOC_VGPRS)
	s_endpgm
.LBB505_39:
	v_lshlrev_b32_e32 v7, 3, v8
	ds_load_b64 v[5:6], v9
	ds_load_b64 v[7:8], v7
	s_waitcnt lgkmcnt(0)
	v_add_f64 v[5:6], v[5:6], v[7:8]
	s_or_b32 exec_lo, exec_lo, s1
	v_cmp_gt_u32_e32 vcc_lo, 26, v0
	s_and_b32 exec_lo, exec_lo, vcc_lo
	s_cbranch_execz .LBB505_38
.LBB505_40:
	s_delay_alu instid0(VALU_DEP_2)
	v_mul_f64 v[3:4], v[3:4], v[5:6]
	s_mov_b32 s0, exec_lo
	v_cmpx_eq_f64_e32 0, v[1:2]
	s_xor_b32 s0, exec_lo, s0
	s_cbranch_execz .LBB505_42
; %bb.41:
	v_mad_u64_u32 v[1:2], null, s8, 26, v[0:1]
	v_mov_b32_e32 v2, 0
	s_delay_alu instid0(VALU_DEP_1) | instskip(NEXT) | instid1(VALU_DEP_1)
	v_lshlrev_b64 v[0:1], 3, v[1:2]
	v_add_co_u32 v0, vcc_lo, s10, v0
	s_delay_alu instid0(VALU_DEP_2)
	v_add_co_ci_u32_e32 v1, vcc_lo, s11, v1, vcc_lo
	global_store_b64 v[0:1], v[3:4], off
                                        ; implicit-def: $vgpr0
                                        ; implicit-def: $vgpr1_vgpr2
                                        ; implicit-def: $vgpr3_vgpr4
.LBB505_42:
	s_and_not1_saveexec_b32 s0, s0
	s_cbranch_execz .LBB505_38
; %bb.43:
	v_mad_u64_u32 v[5:6], null, s8, 26, v[0:1]
	v_mov_b32_e32 v6, 0
	s_delay_alu instid0(VALU_DEP_1) | instskip(NEXT) | instid1(VALU_DEP_1)
	v_lshlrev_b64 v[5:6], 3, v[5:6]
	v_add_co_u32 v5, vcc_lo, s10, v5
	s_delay_alu instid0(VALU_DEP_2)
	v_add_co_ci_u32_e32 v6, vcc_lo, s11, v6, vcc_lo
	global_load_b64 v[7:8], v[5:6], off
	s_waitcnt vmcnt(0)
	v_fma_f64 v[0:1], v[1:2], v[7:8], v[3:4]
	global_store_b64 v[5:6], v[0:1], off
	s_nop 0
	s_sendmsg sendmsg(MSG_DEALLOC_VGPRS)
	s_endpgm
	.section	.rodata,"a",@progbits
	.p2align	6, 0x0
	.amdhsa_kernel _ZN9rocsparseL20bsrxmvn_17_32_kernelILj26EdlifddEEvT2_20rocsparse_direction_NS_24const_host_device_scalarIT0_EES1_PKS1_PKT1_SA_S7_PKT3_PKT4_S5_PT5_21rocsparse_index_base_b
		.amdhsa_group_segment_fixed_size 5408
		.amdhsa_private_segment_fixed_size 0
		.amdhsa_kernarg_size 96
		.amdhsa_user_sgpr_count 15
		.amdhsa_user_sgpr_dispatch_ptr 0
		.amdhsa_user_sgpr_queue_ptr 0
		.amdhsa_user_sgpr_kernarg_segment_ptr 1
		.amdhsa_user_sgpr_dispatch_id 0
		.amdhsa_user_sgpr_private_segment_size 0
		.amdhsa_wavefront_size32 1
		.amdhsa_uses_dynamic_stack 0
		.amdhsa_enable_private_segment 0
		.amdhsa_system_sgpr_workgroup_id_x 1
		.amdhsa_system_sgpr_workgroup_id_y 0
		.amdhsa_system_sgpr_workgroup_id_z 0
		.amdhsa_system_sgpr_workgroup_info 0
		.amdhsa_system_vgpr_workitem_id 0
		.amdhsa_next_free_vgpr 18
		.amdhsa_next_free_sgpr 20
		.amdhsa_reserve_vcc 1
		.amdhsa_float_round_mode_32 0
		.amdhsa_float_round_mode_16_64 0
		.amdhsa_float_denorm_mode_32 3
		.amdhsa_float_denorm_mode_16_64 3
		.amdhsa_dx10_clamp 1
		.amdhsa_ieee_mode 1
		.amdhsa_fp16_overflow 0
		.amdhsa_workgroup_processor_mode 1
		.amdhsa_memory_ordered 1
		.amdhsa_forward_progress 0
		.amdhsa_shared_vgpr_count 0
		.amdhsa_exception_fp_ieee_invalid_op 0
		.amdhsa_exception_fp_denorm_src 0
		.amdhsa_exception_fp_ieee_div_zero 0
		.amdhsa_exception_fp_ieee_overflow 0
		.amdhsa_exception_fp_ieee_underflow 0
		.amdhsa_exception_fp_ieee_inexact 0
		.amdhsa_exception_int_div_zero 0
	.end_amdhsa_kernel
	.section	.text._ZN9rocsparseL20bsrxmvn_17_32_kernelILj26EdlifddEEvT2_20rocsparse_direction_NS_24const_host_device_scalarIT0_EES1_PKS1_PKT1_SA_S7_PKT3_PKT4_S5_PT5_21rocsparse_index_base_b,"axG",@progbits,_ZN9rocsparseL20bsrxmvn_17_32_kernelILj26EdlifddEEvT2_20rocsparse_direction_NS_24const_host_device_scalarIT0_EES1_PKS1_PKT1_SA_S7_PKT3_PKT4_S5_PT5_21rocsparse_index_base_b,comdat
.Lfunc_end505:
	.size	_ZN9rocsparseL20bsrxmvn_17_32_kernelILj26EdlifddEEvT2_20rocsparse_direction_NS_24const_host_device_scalarIT0_EES1_PKS1_PKT1_SA_S7_PKT3_PKT4_S5_PT5_21rocsparse_index_base_b, .Lfunc_end505-_ZN9rocsparseL20bsrxmvn_17_32_kernelILj26EdlifddEEvT2_20rocsparse_direction_NS_24const_host_device_scalarIT0_EES1_PKS1_PKT1_SA_S7_PKT3_PKT4_S5_PT5_21rocsparse_index_base_b
                                        ; -- End function
	.section	.AMDGPU.csdata,"",@progbits
; Kernel info:
; codeLenInByte = 1724
; NumSgprs: 22
; NumVgprs: 18
; ScratchSize: 0
; MemoryBound: 0
; FloatMode: 240
; IeeeMode: 1
; LDSByteSize: 5408 bytes/workgroup (compile time only)
; SGPRBlocks: 2
; VGPRBlocks: 2
; NumSGPRsForWavesPerEU: 22
; NumVGPRsForWavesPerEU: 18
; Occupancy: 11
; WaveLimiterHint : 1
; COMPUTE_PGM_RSRC2:SCRATCH_EN: 0
; COMPUTE_PGM_RSRC2:USER_SGPR: 15
; COMPUTE_PGM_RSRC2:TRAP_HANDLER: 0
; COMPUTE_PGM_RSRC2:TGID_X_EN: 1
; COMPUTE_PGM_RSRC2:TGID_Y_EN: 0
; COMPUTE_PGM_RSRC2:TGID_Z_EN: 0
; COMPUTE_PGM_RSRC2:TIDIG_COMP_CNT: 0
	.section	.text._ZN9rocsparseL20bsrxmvn_17_32_kernelILj27EdlifddEEvT2_20rocsparse_direction_NS_24const_host_device_scalarIT0_EES1_PKS1_PKT1_SA_S7_PKT3_PKT4_S5_PT5_21rocsparse_index_base_b,"axG",@progbits,_ZN9rocsparseL20bsrxmvn_17_32_kernelILj27EdlifddEEvT2_20rocsparse_direction_NS_24const_host_device_scalarIT0_EES1_PKS1_PKT1_SA_S7_PKT3_PKT4_S5_PT5_21rocsparse_index_base_b,comdat
	.globl	_ZN9rocsparseL20bsrxmvn_17_32_kernelILj27EdlifddEEvT2_20rocsparse_direction_NS_24const_host_device_scalarIT0_EES1_PKS1_PKT1_SA_S7_PKT3_PKT4_S5_PT5_21rocsparse_index_base_b ; -- Begin function _ZN9rocsparseL20bsrxmvn_17_32_kernelILj27EdlifddEEvT2_20rocsparse_direction_NS_24const_host_device_scalarIT0_EES1_PKS1_PKT1_SA_S7_PKT3_PKT4_S5_PT5_21rocsparse_index_base_b
	.p2align	8
	.type	_ZN9rocsparseL20bsrxmvn_17_32_kernelILj27EdlifddEEvT2_20rocsparse_direction_NS_24const_host_device_scalarIT0_EES1_PKS1_PKT1_SA_S7_PKT3_PKT4_S5_PT5_21rocsparse_index_base_b,@function
_ZN9rocsparseL20bsrxmvn_17_32_kernelILj27EdlifddEEvT2_20rocsparse_direction_NS_24const_host_device_scalarIT0_EES1_PKS1_PKT1_SA_S7_PKT3_PKT4_S5_PT5_21rocsparse_index_base_b: ; @_ZN9rocsparseL20bsrxmvn_17_32_kernelILj27EdlifddEEvT2_20rocsparse_direction_NS_24const_host_device_scalarIT0_EES1_PKS1_PKT1_SA_S7_PKT3_PKT4_S5_PT5_21rocsparse_index_base_b
; %bb.0:
	s_clause 0x2
	s_load_b64 s[12:13], s[0:1], 0x58
	s_load_b64 s[4:5], s[0:1], 0x8
	;; [unrolled: 1-line block ×3, first 2 shown]
	s_mov_b32 s8, s15
	s_waitcnt lgkmcnt(0)
	s_bitcmp1_b32 s13, 0
	v_dual_mov_b32 v3, s4 :: v_dual_mov_b32 v4, s5
	s_cselect_b32 s6, -1, 0
	s_delay_alu instid0(SALU_CYCLE_1)
	s_and_b32 vcc_lo, exec_lo, s6
	s_xor_b32 s6, s6, -1
	s_cbranch_vccnz .LBB506_2
; %bb.1:
	v_dual_mov_b32 v1, s4 :: v_dual_mov_b32 v2, s5
	flat_load_b64 v[3:4], v[1:2]
.LBB506_2:
	v_dual_mov_b32 v1, s2 :: v_dual_mov_b32 v2, s3
	s_and_not1_b32 vcc_lo, exec_lo, s6
	s_cbranch_vccnz .LBB506_4
; %bb.3:
	v_dual_mov_b32 v1, s2 :: v_dual_mov_b32 v2, s3
	flat_load_b64 v[1:2], v[1:2]
.LBB506_4:
	s_waitcnt vmcnt(0) lgkmcnt(0)
	v_cmp_neq_f64_e32 vcc_lo, 0, v[3:4]
	v_cmp_neq_f64_e64 s2, 1.0, v[1:2]
	s_delay_alu instid0(VALU_DEP_1) | instskip(NEXT) | instid1(SALU_CYCLE_1)
	s_or_b32 s2, vcc_lo, s2
	s_and_saveexec_b32 s3, s2
	s_cbranch_execz .LBB506_38
; %bb.5:
	s_clause 0x1
	s_load_b128 s[4:7], s[0:1], 0x18
	s_load_b64 s[10:11], s[0:1], 0x28
	s_waitcnt lgkmcnt(0)
	s_cmp_eq_u64 s[4:5], 0
	s_cbranch_scc1 .LBB506_7
; %bb.6:
	s_ashr_i32 s9, s8, 31
	s_delay_alu instid0(SALU_CYCLE_1) | instskip(NEXT) | instid1(SALU_CYCLE_1)
	s_lshl_b64 s[2:3], s[8:9], 2
	s_add_u32 s2, s4, s2
	s_addc_u32 s3, s5, s3
	s_load_b32 s2, s[2:3], 0x0
	s_waitcnt lgkmcnt(0)
	s_sub_i32 s8, s2, s12
.LBB506_7:
	s_load_b32 s3, s[0:1], 0x4
	v_mul_u32_u24_e32 v5, 0x97c, v0
	s_delay_alu instid0(VALU_DEP_1) | instskip(NEXT) | instid1(VALU_DEP_1)
	v_lshrrev_b32_e32 v7, 16, v5
	v_mul_lo_u16 v5, v7, 27
	s_delay_alu instid0(VALU_DEP_1)
	v_sub_nc_u16 v12, v0, v5
	v_mov_b32_e32 v5, 0
	v_mov_b32_e32 v6, 0
	s_waitcnt lgkmcnt(0)
	s_cmp_eq_u32 s3, 1
	s_cselect_b32 s2, -1, 0
	s_cmp_lg_u32 s3, 1
	s_cselect_b32 s3, -1, 0
	s_ashr_i32 s9, s8, 31
	s_delay_alu instid0(SALU_CYCLE_1) | instskip(NEXT) | instid1(SALU_CYCLE_1)
	s_lshl_b64 s[4:5], s[8:9], 3
	s_add_u32 s6, s6, s4
	s_addc_u32 s7, s7, s5
	s_add_u32 s9, s6, 8
	s_addc_u32 s13, s7, 0
	;; [unrolled: 2-line block ×3, first 2 shown]
	s_cmp_eq_u64 s[10:11], 0
	s_load_b64 s[10:11], s[0:1], 0x50
	s_cselect_b32 s5, s13, s5
	s_cselect_b32 s4, s9, s4
	s_load_b64 s[18:19], s[6:7], 0x0
	s_load_b64 s[14:15], s[4:5], 0x0
	s_waitcnt lgkmcnt(0)
	v_cmp_ge_i64_e64 s4, s[18:19], s[14:15]
	s_delay_alu instid0(VALU_DEP_1)
	s_and_b32 vcc_lo, exec_lo, s4
	s_cbranch_vccnz .LBB506_12
; %bb.8:
	v_and_b32_e32 v5, 0xffff, v7
	v_cmp_lt_u32_e32 vcc_lo, 0x2d8, v0
	s_clause 0x1
	s_load_b128 s[4:7], s[0:1], 0x30
	s_load_b64 s[0:1], s[0:1], 0x40
	s_sub_u32 s14, s14, s12
	s_subb_u32 s15, s15, 0
	v_subrev_nc_u32_e32 v7, 27, v5
	v_cndmask_b32_e64 v13, 0, 1, vcc_lo
	v_cmp_gt_u32_e32 vcc_lo, 0x2d9, v0
	v_and_b32_e32 v6, 0xffff, v12
	s_sub_u32 s16, s18, s12
	s_subb_u32 s17, s19, 0
	s_mul_hi_u32 s9, s16, 0xb64
	v_cndmask_b32_e32 v5, v7, v5, vcc_lo
	s_mul_i32 s13, s17, 0xb64
	v_lshlrev_b32_e32 v8, 2, v0
	s_add_i32 s9, s9, s13
	s_delay_alu instid0(VALU_DEP_2) | instskip(SKIP_1) | instid1(VALU_DEP_1)
	v_cndmask_b32_e64 v7, v6, v5, s2
	v_add_co_u32 v5, s2, s18, v13
	v_add_co_ci_u32_e64 v6, null, s19, 0, s2
	s_mul_i32 s2, s16, 0xb64
	s_delay_alu instid0(VALU_DEP_2) | instskip(NEXT) | instid1(VALU_DEP_2)
	v_sub_co_u32 v5, vcc_lo, v5, s12
	v_subrev_co_ci_u32_e32 v6, vcc_lo, 0, v6, vcc_lo
	s_waitcnt lgkmcnt(0)
	s_add_u32 s2, s6, s2
	s_addc_u32 s6, s7, s9
	s_delay_alu instid0(VALU_DEP_1) | instskip(SKIP_2) | instid1(VALU_DEP_1)
	v_lshlrev_b64 v[10:11], 2, v[5:6]
	v_mov_b32_e32 v5, 0
	v_add_co_u32 v8, s2, s2, v8
	v_add_co_ci_u32_e64 v9, null, s6, 0, s2
	s_delay_alu instid0(VALU_DEP_4)
	v_add_co_u32 v10, vcc_lo, s4, v10
	v_mov_b32_e32 v6, 0
	v_add_co_ci_u32_e32 v11, vcc_lo, s5, v11, vcc_lo
	s_set_inst_prefetch_distance 0x1
	s_branch .LBB506_10
	.p2align	6
.LBB506_9:                              ;   in Loop: Header=BB506_10 Depth=1
	s_or_b32 exec_lo, exec_lo, s2
	s_add_u32 s16, s16, 1
	s_addc_u32 s17, s17, 0
	v_add_co_u32 v10, vcc_lo, v10, 4
	v_cmp_lt_i64_e64 s2, s[16:17], s[14:15]
	v_add_co_ci_u32_e32 v11, vcc_lo, 0, v11, vcc_lo
	s_delay_alu instid0(VALU_DEP_2)
	s_and_b32 vcc_lo, exec_lo, s2
	s_cbranch_vccz .LBB506_12
.LBB506_10:                             ; =>This Inner Loop Header: Depth=1
	v_add_co_u32 v14, s2, v13, s16
	s_delay_alu instid0(VALU_DEP_1) | instskip(SKIP_1) | instid1(VALU_DEP_1)
	v_add_co_ci_u32_e64 v15, null, 0, s17, s2
	s_mov_b32 s2, exec_lo
	v_cmpx_gt_i64_e64 s[14:15], v[14:15]
	s_cbranch_execz .LBB506_9
; %bb.11:                               ;   in Loop: Header=BB506_10 Depth=1
	global_load_b32 v14, v[10:11], off
	global_load_b32 v16, v[8:9], off
	s_waitcnt vmcnt(1)
	v_subrev_nc_u32_e32 v17, s12, v14
	s_delay_alu instid0(VALU_DEP_1) | instskip(SKIP_2) | instid1(VALU_DEP_2)
	v_mad_u64_u32 v[14:15], null, v17, 27, v[7:8]
	s_waitcnt vmcnt(0)
	v_cvt_f64_f32_e32 v[16:17], v16
	v_ashrrev_i32_e32 v15, 31, v14
	s_delay_alu instid0(VALU_DEP_1) | instskip(NEXT) | instid1(VALU_DEP_1)
	v_lshlrev_b64 v[14:15], 3, v[14:15]
	v_add_co_u32 v14, vcc_lo, s0, v14
	s_delay_alu instid0(VALU_DEP_2)
	v_add_co_ci_u32_e32 v15, vcc_lo, s1, v15, vcc_lo
	v_add_co_u32 v8, vcc_lo, 0xb64, v8
	v_add_co_ci_u32_e32 v9, vcc_lo, 0, v9, vcc_lo
	global_load_b64 v[14:15], v[14:15], off
	s_waitcnt vmcnt(0)
	v_fma_f64 v[5:6], v[16:17], v[14:15], v[5:6]
	s_branch .LBB506_9
.LBB506_12:
	s_set_inst_prefetch_distance 0x2
	v_lshlrev_b32_e32 v7, 3, v0
	s_and_b32 vcc_lo, exec_lo, s3
	ds_store_b64 v7, v[5:6]
	s_waitcnt lgkmcnt(0)
	s_barrier
	buffer_gl0_inv
	s_cbranch_vccz .LBB506_24
; %bb.13:
	s_mov_b32 s0, exec_lo
	v_cmpx_gt_u16_e32 11, v12
	s_cbranch_execz .LBB506_15
; %bb.14:
	ds_load_2addr_b64 v[8:11], v7 offset1:16
	s_waitcnt lgkmcnt(0)
	v_add_f64 v[8:9], v[10:11], v[8:9]
	ds_store_b64 v7, v[8:9]
.LBB506_15:
	s_or_b32 exec_lo, exec_lo, s0
	s_delay_alu instid0(SALU_CYCLE_1)
	s_mov_b32 s0, exec_lo
	s_waitcnt lgkmcnt(0)
	s_barrier
	buffer_gl0_inv
	v_cmpx_gt_u16_e32 8, v12
	s_cbranch_execz .LBB506_17
; %bb.16:
	ds_load_2addr_b64 v[8:11], v7 offset1:8
	s_waitcnt lgkmcnt(0)
	v_add_f64 v[8:9], v[10:11], v[8:9]
	ds_store_b64 v7, v[8:9]
.LBB506_17:
	s_or_b32 exec_lo, exec_lo, s0
	s_delay_alu instid0(SALU_CYCLE_1)
	s_mov_b32 s0, exec_lo
	s_waitcnt lgkmcnt(0)
	s_barrier
	buffer_gl0_inv
	;; [unrolled: 14-line block ×3, first 2 shown]
	v_cmpx_gt_u16_e32 2, v12
	s_cbranch_execz .LBB506_21
; %bb.20:
	ds_load_2addr_b64 v[8:11], v7 offset1:2
	s_waitcnt lgkmcnt(0)
	v_add_f64 v[8:9], v[10:11], v[8:9]
	ds_store_b64 v7, v[8:9]
.LBB506_21:
	s_or_b32 exec_lo, exec_lo, s0
	s_mov_b32 s1, 0
	s_mov_b32 s0, 0
	s_mov_b32 s2, exec_lo
	s_waitcnt lgkmcnt(0)
	s_barrier
	buffer_gl0_inv
                                        ; implicit-def: $vgpr8
                                        ; implicit-def: $vgpr9
	v_cmpx_gt_u32_e32 27, v0
	s_xor_b32 s2, exec_lo, s2
; %bb.22:
	v_mad_u32_u24 v8, v0, 27, 1
	v_mad_u32_u24 v9, 0xd0, v0, v7
	s_mov_b32 s0, exec_lo
; %bb.23:
	s_or_b32 exec_lo, exec_lo, s2
	s_delay_alu instid0(SALU_CYCLE_1)
	s_and_b32 vcc_lo, exec_lo, s1
	s_cbranch_vccnz .LBB506_25
	s_branch .LBB506_36
.LBB506_24:
	s_mov_b32 s0, 0
                                        ; implicit-def: $vgpr8
                                        ; implicit-def: $vgpr9
	s_cbranch_execz .LBB506_36
.LBB506_25:
	s_mov_b32 s1, exec_lo
	v_cmpx_gt_u32_e32 0x129, v0
	s_cbranch_execz .LBB506_27
; %bb.26:
	ds_load_b64 v[8:9], v7 offset:3456
	ds_load_b64 v[10:11], v7
	s_waitcnt lgkmcnt(0)
	v_add_f64 v[8:9], v[8:9], v[10:11]
	ds_store_b64 v7, v[8:9]
.LBB506_27:
	s_or_b32 exec_lo, exec_lo, s1
	s_delay_alu instid0(SALU_CYCLE_1)
	s_mov_b32 s1, exec_lo
	s_waitcnt lgkmcnt(0)
	s_barrier
	buffer_gl0_inv
	v_cmpx_gt_u32_e32 0xd8, v0
	s_cbranch_execz .LBB506_29
; %bb.28:
	ds_load_2addr_b64 v[8:11], v7 offset1:216
	s_waitcnt lgkmcnt(0)
	v_add_f64 v[8:9], v[10:11], v[8:9]
	ds_store_b64 v7, v[8:9]
.LBB506_29:
	s_or_b32 exec_lo, exec_lo, s1
	s_delay_alu instid0(SALU_CYCLE_1)
	s_mov_b32 s1, exec_lo
	s_waitcnt lgkmcnt(0)
	s_barrier
	buffer_gl0_inv
	v_cmpx_gt_u32_e32 0x6c, v0
	s_cbranch_execz .LBB506_31
; %bb.30:
	ds_load_2addr_b64 v[8:11], v7 offset1:108
	s_waitcnt lgkmcnt(0)
	v_add_f64 v[8:9], v[10:11], v[8:9]
	ds_store_b64 v7, v[8:9]
.LBB506_31:
	;; [unrolled: 14-line block ×3, first 2 shown]
	s_or_b32 exec_lo, exec_lo, s1
	s_delay_alu instid0(SALU_CYCLE_1)
	s_mov_b32 s1, exec_lo
	s_waitcnt lgkmcnt(0)
	buffer_gl0_inv
                                        ; implicit-def: $vgpr8
	v_cmpx_gt_u32_e32 27, v0
; %bb.34:
	v_add_nc_u32_e32 v8, 27, v0
	s_or_b32 s0, s0, exec_lo
                                        ; implicit-def: $vgpr5_vgpr6
; %bb.35:
	s_or_b32 exec_lo, exec_lo, s1
	v_mov_b32_e32 v9, v7
.LBB506_36:
	s_and_saveexec_b32 s1, s0
	s_cbranch_execnz .LBB506_39
; %bb.37:
	s_or_b32 exec_lo, exec_lo, s1
	v_cmp_gt_u32_e32 vcc_lo, 27, v0
	s_and_b32 exec_lo, exec_lo, vcc_lo
	s_cbranch_execnz .LBB506_40
.LBB506_38:
	s_nop 0
	s_sendmsg sendmsg(MSG_DEALLOC_VGPRS)
	s_endpgm
.LBB506_39:
	v_lshlrev_b32_e32 v7, 3, v8
	ds_load_b64 v[5:6], v9
	ds_load_b64 v[7:8], v7
	s_waitcnt lgkmcnt(0)
	v_add_f64 v[5:6], v[5:6], v[7:8]
	s_or_b32 exec_lo, exec_lo, s1
	v_cmp_gt_u32_e32 vcc_lo, 27, v0
	s_and_b32 exec_lo, exec_lo, vcc_lo
	s_cbranch_execz .LBB506_38
.LBB506_40:
	s_delay_alu instid0(VALU_DEP_2)
	v_mul_f64 v[3:4], v[3:4], v[5:6]
	s_mov_b32 s0, exec_lo
	v_cmpx_eq_f64_e32 0, v[1:2]
	s_xor_b32 s0, exec_lo, s0
	s_cbranch_execz .LBB506_42
; %bb.41:
	v_mad_u64_u32 v[1:2], null, s8, 27, v[0:1]
	v_mov_b32_e32 v2, 0
	s_delay_alu instid0(VALU_DEP_1) | instskip(NEXT) | instid1(VALU_DEP_1)
	v_lshlrev_b64 v[0:1], 3, v[1:2]
	v_add_co_u32 v0, vcc_lo, s10, v0
	s_delay_alu instid0(VALU_DEP_2)
	v_add_co_ci_u32_e32 v1, vcc_lo, s11, v1, vcc_lo
	global_store_b64 v[0:1], v[3:4], off
                                        ; implicit-def: $vgpr0
                                        ; implicit-def: $vgpr1_vgpr2
                                        ; implicit-def: $vgpr3_vgpr4
.LBB506_42:
	s_and_not1_saveexec_b32 s0, s0
	s_cbranch_execz .LBB506_38
; %bb.43:
	v_mad_u64_u32 v[5:6], null, s8, 27, v[0:1]
	v_mov_b32_e32 v6, 0
	s_delay_alu instid0(VALU_DEP_1) | instskip(NEXT) | instid1(VALU_DEP_1)
	v_lshlrev_b64 v[5:6], 3, v[5:6]
	v_add_co_u32 v5, vcc_lo, s10, v5
	s_delay_alu instid0(VALU_DEP_2)
	v_add_co_ci_u32_e32 v6, vcc_lo, s11, v6, vcc_lo
	global_load_b64 v[7:8], v[5:6], off
	s_waitcnt vmcnt(0)
	v_fma_f64 v[0:1], v[1:2], v[7:8], v[3:4]
	global_store_b64 v[5:6], v[0:1], off
	s_nop 0
	s_sendmsg sendmsg(MSG_DEALLOC_VGPRS)
	s_endpgm
	.section	.rodata,"a",@progbits
	.p2align	6, 0x0
	.amdhsa_kernel _ZN9rocsparseL20bsrxmvn_17_32_kernelILj27EdlifddEEvT2_20rocsparse_direction_NS_24const_host_device_scalarIT0_EES1_PKS1_PKT1_SA_S7_PKT3_PKT4_S5_PT5_21rocsparse_index_base_b
		.amdhsa_group_segment_fixed_size 5832
		.amdhsa_private_segment_fixed_size 0
		.amdhsa_kernarg_size 96
		.amdhsa_user_sgpr_count 15
		.amdhsa_user_sgpr_dispatch_ptr 0
		.amdhsa_user_sgpr_queue_ptr 0
		.amdhsa_user_sgpr_kernarg_segment_ptr 1
		.amdhsa_user_sgpr_dispatch_id 0
		.amdhsa_user_sgpr_private_segment_size 0
		.amdhsa_wavefront_size32 1
		.amdhsa_uses_dynamic_stack 0
		.amdhsa_enable_private_segment 0
		.amdhsa_system_sgpr_workgroup_id_x 1
		.amdhsa_system_sgpr_workgroup_id_y 0
		.amdhsa_system_sgpr_workgroup_id_z 0
		.amdhsa_system_sgpr_workgroup_info 0
		.amdhsa_system_vgpr_workitem_id 0
		.amdhsa_next_free_vgpr 18
		.amdhsa_next_free_sgpr 20
		.amdhsa_reserve_vcc 1
		.amdhsa_float_round_mode_32 0
		.amdhsa_float_round_mode_16_64 0
		.amdhsa_float_denorm_mode_32 3
		.amdhsa_float_denorm_mode_16_64 3
		.amdhsa_dx10_clamp 1
		.amdhsa_ieee_mode 1
		.amdhsa_fp16_overflow 0
		.amdhsa_workgroup_processor_mode 1
		.amdhsa_memory_ordered 1
		.amdhsa_forward_progress 0
		.amdhsa_shared_vgpr_count 0
		.amdhsa_exception_fp_ieee_invalid_op 0
		.amdhsa_exception_fp_denorm_src 0
		.amdhsa_exception_fp_ieee_div_zero 0
		.amdhsa_exception_fp_ieee_overflow 0
		.amdhsa_exception_fp_ieee_underflow 0
		.amdhsa_exception_fp_ieee_inexact 0
		.amdhsa_exception_int_div_zero 0
	.end_amdhsa_kernel
	.section	.text._ZN9rocsparseL20bsrxmvn_17_32_kernelILj27EdlifddEEvT2_20rocsparse_direction_NS_24const_host_device_scalarIT0_EES1_PKS1_PKT1_SA_S7_PKT3_PKT4_S5_PT5_21rocsparse_index_base_b,"axG",@progbits,_ZN9rocsparseL20bsrxmvn_17_32_kernelILj27EdlifddEEvT2_20rocsparse_direction_NS_24const_host_device_scalarIT0_EES1_PKS1_PKT1_SA_S7_PKT3_PKT4_S5_PT5_21rocsparse_index_base_b,comdat
.Lfunc_end506:
	.size	_ZN9rocsparseL20bsrxmvn_17_32_kernelILj27EdlifddEEvT2_20rocsparse_direction_NS_24const_host_device_scalarIT0_EES1_PKS1_PKT1_SA_S7_PKT3_PKT4_S5_PT5_21rocsparse_index_base_b, .Lfunc_end506-_ZN9rocsparseL20bsrxmvn_17_32_kernelILj27EdlifddEEvT2_20rocsparse_direction_NS_24const_host_device_scalarIT0_EES1_PKS1_PKT1_SA_S7_PKT3_PKT4_S5_PT5_21rocsparse_index_base_b
                                        ; -- End function
	.section	.AMDGPU.csdata,"",@progbits
; Kernel info:
; codeLenInByte = 1720
; NumSgprs: 22
; NumVgprs: 18
; ScratchSize: 0
; MemoryBound: 0
; FloatMode: 240
; IeeeMode: 1
; LDSByteSize: 5832 bytes/workgroup (compile time only)
; SGPRBlocks: 2
; VGPRBlocks: 2
; NumSGPRsForWavesPerEU: 22
; NumVGPRsForWavesPerEU: 18
; Occupancy: 12
; WaveLimiterHint : 1
; COMPUTE_PGM_RSRC2:SCRATCH_EN: 0
; COMPUTE_PGM_RSRC2:USER_SGPR: 15
; COMPUTE_PGM_RSRC2:TRAP_HANDLER: 0
; COMPUTE_PGM_RSRC2:TGID_X_EN: 1
; COMPUTE_PGM_RSRC2:TGID_Y_EN: 0
; COMPUTE_PGM_RSRC2:TGID_Z_EN: 0
; COMPUTE_PGM_RSRC2:TIDIG_COMP_CNT: 0
	.section	.text._ZN9rocsparseL20bsrxmvn_17_32_kernelILj28EdlifddEEvT2_20rocsparse_direction_NS_24const_host_device_scalarIT0_EES1_PKS1_PKT1_SA_S7_PKT3_PKT4_S5_PT5_21rocsparse_index_base_b,"axG",@progbits,_ZN9rocsparseL20bsrxmvn_17_32_kernelILj28EdlifddEEvT2_20rocsparse_direction_NS_24const_host_device_scalarIT0_EES1_PKS1_PKT1_SA_S7_PKT3_PKT4_S5_PT5_21rocsparse_index_base_b,comdat
	.globl	_ZN9rocsparseL20bsrxmvn_17_32_kernelILj28EdlifddEEvT2_20rocsparse_direction_NS_24const_host_device_scalarIT0_EES1_PKS1_PKT1_SA_S7_PKT3_PKT4_S5_PT5_21rocsparse_index_base_b ; -- Begin function _ZN9rocsparseL20bsrxmvn_17_32_kernelILj28EdlifddEEvT2_20rocsparse_direction_NS_24const_host_device_scalarIT0_EES1_PKS1_PKT1_SA_S7_PKT3_PKT4_S5_PT5_21rocsparse_index_base_b
	.p2align	8
	.type	_ZN9rocsparseL20bsrxmvn_17_32_kernelILj28EdlifddEEvT2_20rocsparse_direction_NS_24const_host_device_scalarIT0_EES1_PKS1_PKT1_SA_S7_PKT3_PKT4_S5_PT5_21rocsparse_index_base_b,@function
_ZN9rocsparseL20bsrxmvn_17_32_kernelILj28EdlifddEEvT2_20rocsparse_direction_NS_24const_host_device_scalarIT0_EES1_PKS1_PKT1_SA_S7_PKT3_PKT4_S5_PT5_21rocsparse_index_base_b: ; @_ZN9rocsparseL20bsrxmvn_17_32_kernelILj28EdlifddEEvT2_20rocsparse_direction_NS_24const_host_device_scalarIT0_EES1_PKS1_PKT1_SA_S7_PKT3_PKT4_S5_PT5_21rocsparse_index_base_b
; %bb.0:
	s_clause 0x2
	s_load_b64 s[12:13], s[0:1], 0x58
	s_load_b64 s[4:5], s[0:1], 0x8
	;; [unrolled: 1-line block ×3, first 2 shown]
	s_mov_b32 s8, s15
	s_waitcnt lgkmcnt(0)
	s_bitcmp1_b32 s13, 0
	v_dual_mov_b32 v3, s4 :: v_dual_mov_b32 v4, s5
	s_cselect_b32 s6, -1, 0
	s_delay_alu instid0(SALU_CYCLE_1)
	s_and_b32 vcc_lo, exec_lo, s6
	s_xor_b32 s6, s6, -1
	s_cbranch_vccnz .LBB507_2
; %bb.1:
	v_dual_mov_b32 v1, s4 :: v_dual_mov_b32 v2, s5
	flat_load_b64 v[3:4], v[1:2]
.LBB507_2:
	v_dual_mov_b32 v1, s2 :: v_dual_mov_b32 v2, s3
	s_and_not1_b32 vcc_lo, exec_lo, s6
	s_cbranch_vccnz .LBB507_4
; %bb.3:
	v_dual_mov_b32 v1, s2 :: v_dual_mov_b32 v2, s3
	flat_load_b64 v[1:2], v[1:2]
.LBB507_4:
	s_waitcnt vmcnt(0) lgkmcnt(0)
	v_cmp_neq_f64_e32 vcc_lo, 0, v[3:4]
	v_cmp_neq_f64_e64 s2, 1.0, v[1:2]
	s_delay_alu instid0(VALU_DEP_1) | instskip(NEXT) | instid1(SALU_CYCLE_1)
	s_or_b32 s2, vcc_lo, s2
	s_and_saveexec_b32 s3, s2
	s_cbranch_execz .LBB507_38
; %bb.5:
	s_clause 0x1
	s_load_b128 s[4:7], s[0:1], 0x18
	s_load_b64 s[10:11], s[0:1], 0x28
	s_waitcnt lgkmcnt(0)
	s_cmp_eq_u64 s[4:5], 0
	s_cbranch_scc1 .LBB507_7
; %bb.6:
	s_ashr_i32 s9, s8, 31
	s_delay_alu instid0(SALU_CYCLE_1) | instskip(NEXT) | instid1(SALU_CYCLE_1)
	s_lshl_b64 s[2:3], s[8:9], 2
	s_add_u32 s2, s4, s2
	s_addc_u32 s3, s5, s3
	s_load_b32 s2, s[2:3], 0x0
	s_waitcnt lgkmcnt(0)
	s_sub_i32 s8, s2, s12
.LBB507_7:
	s_load_b32 s3, s[0:1], 0x4
	v_mul_u32_u24_e32 v5, 0x925, v0
	s_delay_alu instid0(VALU_DEP_1) | instskip(NEXT) | instid1(VALU_DEP_1)
	v_lshrrev_b32_e32 v7, 16, v5
	v_mul_lo_u16 v5, v7, 28
	s_delay_alu instid0(VALU_DEP_1)
	v_sub_nc_u16 v12, v0, v5
	v_mov_b32_e32 v5, 0
	v_mov_b32_e32 v6, 0
	s_waitcnt lgkmcnt(0)
	s_cmp_eq_u32 s3, 1
	s_cselect_b32 s2, -1, 0
	s_cmp_lg_u32 s3, 1
	s_cselect_b32 s3, -1, 0
	s_ashr_i32 s9, s8, 31
	s_delay_alu instid0(SALU_CYCLE_1) | instskip(NEXT) | instid1(SALU_CYCLE_1)
	s_lshl_b64 s[4:5], s[8:9], 3
	s_add_u32 s6, s6, s4
	s_addc_u32 s7, s7, s5
	s_add_u32 s9, s6, 8
	s_addc_u32 s13, s7, 0
	;; [unrolled: 2-line block ×3, first 2 shown]
	s_cmp_eq_u64 s[10:11], 0
	s_load_b64 s[10:11], s[0:1], 0x50
	s_cselect_b32 s5, s13, s5
	s_cselect_b32 s4, s9, s4
	s_load_b64 s[18:19], s[6:7], 0x0
	s_load_b64 s[14:15], s[4:5], 0x0
	s_waitcnt lgkmcnt(0)
	v_cmp_ge_i64_e64 s4, s[18:19], s[14:15]
	s_delay_alu instid0(VALU_DEP_1)
	s_and_b32 vcc_lo, exec_lo, s4
	s_cbranch_vccnz .LBB507_12
; %bb.8:
	v_and_b32_e32 v5, 0xffff, v7
	v_cmp_lt_u32_e32 vcc_lo, 0x30f, v0
	s_clause 0x1
	s_load_b128 s[4:7], s[0:1], 0x30
	s_load_b64 s[0:1], s[0:1], 0x40
	s_sub_u32 s14, s14, s12
	s_subb_u32 s15, s15, 0
	v_subrev_nc_u32_e32 v7, 28, v5
	v_cndmask_b32_e64 v13, 0, 1, vcc_lo
	v_cmp_gt_u32_e32 vcc_lo, 0x310, v0
	v_and_b32_e32 v6, 0xffff, v12
	s_sub_u32 s16, s18, s12
	s_subb_u32 s17, s19, 0
	s_mul_hi_u32 s9, s16, 0xc40
	v_cndmask_b32_e32 v5, v7, v5, vcc_lo
	s_mul_i32 s13, s17, 0xc40
	v_lshlrev_b32_e32 v8, 2, v0
	s_add_i32 s9, s9, s13
	s_delay_alu instid0(VALU_DEP_2) | instskip(SKIP_1) | instid1(VALU_DEP_1)
	v_cndmask_b32_e64 v7, v6, v5, s2
	v_add_co_u32 v5, s2, s18, v13
	v_add_co_ci_u32_e64 v6, null, s19, 0, s2
	s_mul_i32 s2, s16, 0xc40
	s_delay_alu instid0(VALU_DEP_2) | instskip(NEXT) | instid1(VALU_DEP_2)
	v_sub_co_u32 v5, vcc_lo, v5, s12
	v_subrev_co_ci_u32_e32 v6, vcc_lo, 0, v6, vcc_lo
	s_waitcnt lgkmcnt(0)
	s_add_u32 s2, s6, s2
	s_addc_u32 s6, s7, s9
	s_delay_alu instid0(VALU_DEP_1) | instskip(SKIP_2) | instid1(VALU_DEP_1)
	v_lshlrev_b64 v[10:11], 2, v[5:6]
	v_mov_b32_e32 v5, 0
	v_add_co_u32 v8, s2, s2, v8
	v_add_co_ci_u32_e64 v9, null, s6, 0, s2
	s_delay_alu instid0(VALU_DEP_4)
	v_add_co_u32 v10, vcc_lo, s4, v10
	v_mov_b32_e32 v6, 0
	v_add_co_ci_u32_e32 v11, vcc_lo, s5, v11, vcc_lo
	s_set_inst_prefetch_distance 0x1
	s_branch .LBB507_10
	.p2align	6
.LBB507_9:                              ;   in Loop: Header=BB507_10 Depth=1
	s_or_b32 exec_lo, exec_lo, s2
	s_add_u32 s16, s16, 1
	s_addc_u32 s17, s17, 0
	v_add_co_u32 v10, vcc_lo, v10, 4
	v_cmp_lt_i64_e64 s2, s[16:17], s[14:15]
	v_add_co_ci_u32_e32 v11, vcc_lo, 0, v11, vcc_lo
	s_delay_alu instid0(VALU_DEP_2)
	s_and_b32 vcc_lo, exec_lo, s2
	s_cbranch_vccz .LBB507_12
.LBB507_10:                             ; =>This Inner Loop Header: Depth=1
	v_add_co_u32 v14, s2, v13, s16
	s_delay_alu instid0(VALU_DEP_1) | instskip(SKIP_1) | instid1(VALU_DEP_1)
	v_add_co_ci_u32_e64 v15, null, 0, s17, s2
	s_mov_b32 s2, exec_lo
	v_cmpx_gt_i64_e64 s[14:15], v[14:15]
	s_cbranch_execz .LBB507_9
; %bb.11:                               ;   in Loop: Header=BB507_10 Depth=1
	global_load_b32 v14, v[10:11], off
	global_load_b32 v16, v[8:9], off
	s_waitcnt vmcnt(1)
	v_subrev_nc_u32_e32 v17, s12, v14
	s_delay_alu instid0(VALU_DEP_1) | instskip(SKIP_2) | instid1(VALU_DEP_2)
	v_mad_u64_u32 v[14:15], null, v17, 28, v[7:8]
	s_waitcnt vmcnt(0)
	v_cvt_f64_f32_e32 v[16:17], v16
	v_ashrrev_i32_e32 v15, 31, v14
	s_delay_alu instid0(VALU_DEP_1) | instskip(NEXT) | instid1(VALU_DEP_1)
	v_lshlrev_b64 v[14:15], 3, v[14:15]
	v_add_co_u32 v14, vcc_lo, s0, v14
	s_delay_alu instid0(VALU_DEP_2)
	v_add_co_ci_u32_e32 v15, vcc_lo, s1, v15, vcc_lo
	v_add_co_u32 v8, vcc_lo, 0xc40, v8
	v_add_co_ci_u32_e32 v9, vcc_lo, 0, v9, vcc_lo
	global_load_b64 v[14:15], v[14:15], off
	s_waitcnt vmcnt(0)
	v_fma_f64 v[5:6], v[16:17], v[14:15], v[5:6]
	s_branch .LBB507_9
.LBB507_12:
	s_set_inst_prefetch_distance 0x2
	v_lshlrev_b32_e32 v7, 3, v0
	s_and_b32 vcc_lo, exec_lo, s3
	ds_store_b64 v7, v[5:6]
	s_waitcnt lgkmcnt(0)
	s_barrier
	buffer_gl0_inv
	s_cbranch_vccz .LBB507_24
; %bb.13:
	s_mov_b32 s0, exec_lo
	v_cmpx_gt_u16_e32 12, v12
	s_cbranch_execz .LBB507_15
; %bb.14:
	ds_load_2addr_b64 v[8:11], v7 offset1:16
	s_waitcnt lgkmcnt(0)
	v_add_f64 v[8:9], v[10:11], v[8:9]
	ds_store_b64 v7, v[8:9]
.LBB507_15:
	s_or_b32 exec_lo, exec_lo, s0
	s_delay_alu instid0(SALU_CYCLE_1)
	s_mov_b32 s0, exec_lo
	s_waitcnt lgkmcnt(0)
	s_barrier
	buffer_gl0_inv
	v_cmpx_gt_u16_e32 8, v12
	s_cbranch_execz .LBB507_17
; %bb.16:
	ds_load_2addr_b64 v[8:11], v7 offset1:8
	s_waitcnt lgkmcnt(0)
	v_add_f64 v[8:9], v[10:11], v[8:9]
	ds_store_b64 v7, v[8:9]
.LBB507_17:
	s_or_b32 exec_lo, exec_lo, s0
	s_delay_alu instid0(SALU_CYCLE_1)
	s_mov_b32 s0, exec_lo
	s_waitcnt lgkmcnt(0)
	s_barrier
	buffer_gl0_inv
	;; [unrolled: 14-line block ×3, first 2 shown]
	v_cmpx_gt_u16_e32 2, v12
	s_cbranch_execz .LBB507_21
; %bb.20:
	ds_load_2addr_b64 v[8:11], v7 offset1:2
	s_waitcnt lgkmcnt(0)
	v_add_f64 v[8:9], v[10:11], v[8:9]
	ds_store_b64 v7, v[8:9]
.LBB507_21:
	s_or_b32 exec_lo, exec_lo, s0
	s_mov_b32 s1, 0
	s_mov_b32 s0, 0
	s_mov_b32 s2, exec_lo
	s_waitcnt lgkmcnt(0)
	s_barrier
	buffer_gl0_inv
                                        ; implicit-def: $vgpr8
                                        ; implicit-def: $vgpr9
	v_cmpx_gt_u32_e32 28, v0
	s_xor_b32 s2, exec_lo, s2
; %bb.22:
	v_mul_u32_u24_e32 v8, 28, v0
	v_mad_u32_u24 v9, 0xd8, v0, v7
	s_mov_b32 s0, exec_lo
	s_delay_alu instid0(VALU_DEP_2)
	v_or_b32_e32 v8, 1, v8
; %bb.23:
	s_or_b32 exec_lo, exec_lo, s2
	s_delay_alu instid0(SALU_CYCLE_1)
	s_and_b32 vcc_lo, exec_lo, s1
	s_cbranch_vccnz .LBB507_25
	s_branch .LBB507_36
.LBB507_24:
	s_mov_b32 s0, 0
                                        ; implicit-def: $vgpr8
                                        ; implicit-def: $vgpr9
	s_cbranch_execz .LBB507_36
.LBB507_25:
	s_mov_b32 s1, exec_lo
	v_cmpx_gt_u32_e32 0x150, v0
	s_cbranch_execz .LBB507_27
; %bb.26:
	ds_load_2addr_stride64_b64 v[8:11], v7 offset1:7
	s_waitcnt lgkmcnt(0)
	v_add_f64 v[8:9], v[10:11], v[8:9]
	ds_store_b64 v7, v[8:9]
.LBB507_27:
	s_or_b32 exec_lo, exec_lo, s1
	s_delay_alu instid0(SALU_CYCLE_1)
	s_mov_b32 s1, exec_lo
	s_waitcnt lgkmcnt(0)
	s_barrier
	buffer_gl0_inv
	v_cmpx_gt_u32_e32 0xe0, v0
	s_cbranch_execz .LBB507_29
; %bb.28:
	ds_load_2addr_b64 v[8:11], v7 offset1:224
	s_waitcnt lgkmcnt(0)
	v_add_f64 v[8:9], v[10:11], v[8:9]
	ds_store_b64 v7, v[8:9]
.LBB507_29:
	s_or_b32 exec_lo, exec_lo, s1
	s_delay_alu instid0(SALU_CYCLE_1)
	s_mov_b32 s1, exec_lo
	s_waitcnt lgkmcnt(0)
	s_barrier
	buffer_gl0_inv
	v_cmpx_gt_u32_e32 0x70, v0
	s_cbranch_execz .LBB507_31
; %bb.30:
	ds_load_2addr_b64 v[8:11], v7 offset1:112
	s_waitcnt lgkmcnt(0)
	v_add_f64 v[8:9], v[10:11], v[8:9]
	ds_store_b64 v7, v[8:9]
.LBB507_31:
	;; [unrolled: 14-line block ×3, first 2 shown]
	s_or_b32 exec_lo, exec_lo, s1
	s_delay_alu instid0(SALU_CYCLE_1)
	s_mov_b32 s1, exec_lo
	s_waitcnt lgkmcnt(0)
	buffer_gl0_inv
                                        ; implicit-def: $vgpr8
	v_cmpx_gt_u32_e32 28, v0
; %bb.34:
	v_add_nc_u32_e32 v8, 28, v0
	s_or_b32 s0, s0, exec_lo
                                        ; implicit-def: $vgpr5_vgpr6
; %bb.35:
	s_or_b32 exec_lo, exec_lo, s1
	v_mov_b32_e32 v9, v7
.LBB507_36:
	s_and_saveexec_b32 s1, s0
	s_cbranch_execnz .LBB507_39
; %bb.37:
	s_or_b32 exec_lo, exec_lo, s1
	v_cmp_gt_u32_e32 vcc_lo, 28, v0
	s_and_b32 exec_lo, exec_lo, vcc_lo
	s_cbranch_execnz .LBB507_40
.LBB507_38:
	s_nop 0
	s_sendmsg sendmsg(MSG_DEALLOC_VGPRS)
	s_endpgm
.LBB507_39:
	v_lshlrev_b32_e32 v7, 3, v8
	ds_load_b64 v[5:6], v9
	ds_load_b64 v[7:8], v7
	s_waitcnt lgkmcnt(0)
	v_add_f64 v[5:6], v[5:6], v[7:8]
	s_or_b32 exec_lo, exec_lo, s1
	v_cmp_gt_u32_e32 vcc_lo, 28, v0
	s_and_b32 exec_lo, exec_lo, vcc_lo
	s_cbranch_execz .LBB507_38
.LBB507_40:
	s_delay_alu instid0(VALU_DEP_2)
	v_mul_f64 v[3:4], v[3:4], v[5:6]
	s_mov_b32 s0, exec_lo
	v_cmpx_eq_f64_e32 0, v[1:2]
	s_xor_b32 s0, exec_lo, s0
	s_cbranch_execz .LBB507_42
; %bb.41:
	v_mad_u64_u32 v[1:2], null, s8, 28, v[0:1]
	v_mov_b32_e32 v2, 0
	s_delay_alu instid0(VALU_DEP_1) | instskip(NEXT) | instid1(VALU_DEP_1)
	v_lshlrev_b64 v[0:1], 3, v[1:2]
	v_add_co_u32 v0, vcc_lo, s10, v0
	s_delay_alu instid0(VALU_DEP_2)
	v_add_co_ci_u32_e32 v1, vcc_lo, s11, v1, vcc_lo
	global_store_b64 v[0:1], v[3:4], off
                                        ; implicit-def: $vgpr0
                                        ; implicit-def: $vgpr1_vgpr2
                                        ; implicit-def: $vgpr3_vgpr4
.LBB507_42:
	s_and_not1_saveexec_b32 s0, s0
	s_cbranch_execz .LBB507_38
; %bb.43:
	v_mad_u64_u32 v[5:6], null, s8, 28, v[0:1]
	v_mov_b32_e32 v6, 0
	s_delay_alu instid0(VALU_DEP_1) | instskip(NEXT) | instid1(VALU_DEP_1)
	v_lshlrev_b64 v[5:6], 3, v[5:6]
	v_add_co_u32 v5, vcc_lo, s10, v5
	s_delay_alu instid0(VALU_DEP_2)
	v_add_co_ci_u32_e32 v6, vcc_lo, s11, v6, vcc_lo
	global_load_b64 v[7:8], v[5:6], off
	s_waitcnt vmcnt(0)
	v_fma_f64 v[0:1], v[1:2], v[7:8], v[3:4]
	global_store_b64 v[5:6], v[0:1], off
	s_nop 0
	s_sendmsg sendmsg(MSG_DEALLOC_VGPRS)
	s_endpgm
	.section	.rodata,"a",@progbits
	.p2align	6, 0x0
	.amdhsa_kernel _ZN9rocsparseL20bsrxmvn_17_32_kernelILj28EdlifddEEvT2_20rocsparse_direction_NS_24const_host_device_scalarIT0_EES1_PKS1_PKT1_SA_S7_PKT3_PKT4_S5_PT5_21rocsparse_index_base_b
		.amdhsa_group_segment_fixed_size 6272
		.amdhsa_private_segment_fixed_size 0
		.amdhsa_kernarg_size 96
		.amdhsa_user_sgpr_count 15
		.amdhsa_user_sgpr_dispatch_ptr 0
		.amdhsa_user_sgpr_queue_ptr 0
		.amdhsa_user_sgpr_kernarg_segment_ptr 1
		.amdhsa_user_sgpr_dispatch_id 0
		.amdhsa_user_sgpr_private_segment_size 0
		.amdhsa_wavefront_size32 1
		.amdhsa_uses_dynamic_stack 0
		.amdhsa_enable_private_segment 0
		.amdhsa_system_sgpr_workgroup_id_x 1
		.amdhsa_system_sgpr_workgroup_id_y 0
		.amdhsa_system_sgpr_workgroup_id_z 0
		.amdhsa_system_sgpr_workgroup_info 0
		.amdhsa_system_vgpr_workitem_id 0
		.amdhsa_next_free_vgpr 18
		.amdhsa_next_free_sgpr 20
		.amdhsa_reserve_vcc 1
		.amdhsa_float_round_mode_32 0
		.amdhsa_float_round_mode_16_64 0
		.amdhsa_float_denorm_mode_32 3
		.amdhsa_float_denorm_mode_16_64 3
		.amdhsa_dx10_clamp 1
		.amdhsa_ieee_mode 1
		.amdhsa_fp16_overflow 0
		.amdhsa_workgroup_processor_mode 1
		.amdhsa_memory_ordered 1
		.amdhsa_forward_progress 0
		.amdhsa_shared_vgpr_count 0
		.amdhsa_exception_fp_ieee_invalid_op 0
		.amdhsa_exception_fp_denorm_src 0
		.amdhsa_exception_fp_ieee_div_zero 0
		.amdhsa_exception_fp_ieee_overflow 0
		.amdhsa_exception_fp_ieee_underflow 0
		.amdhsa_exception_fp_ieee_inexact 0
		.amdhsa_exception_int_div_zero 0
	.end_amdhsa_kernel
	.section	.text._ZN9rocsparseL20bsrxmvn_17_32_kernelILj28EdlifddEEvT2_20rocsparse_direction_NS_24const_host_device_scalarIT0_EES1_PKS1_PKT1_SA_S7_PKT3_PKT4_S5_PT5_21rocsparse_index_base_b,"axG",@progbits,_ZN9rocsparseL20bsrxmvn_17_32_kernelILj28EdlifddEEvT2_20rocsparse_direction_NS_24const_host_device_scalarIT0_EES1_PKS1_PKT1_SA_S7_PKT3_PKT4_S5_PT5_21rocsparse_index_base_b,comdat
.Lfunc_end507:
	.size	_ZN9rocsparseL20bsrxmvn_17_32_kernelILj28EdlifddEEvT2_20rocsparse_direction_NS_24const_host_device_scalarIT0_EES1_PKS1_PKT1_SA_S7_PKT3_PKT4_S5_PT5_21rocsparse_index_base_b, .Lfunc_end507-_ZN9rocsparseL20bsrxmvn_17_32_kernelILj28EdlifddEEvT2_20rocsparse_direction_NS_24const_host_device_scalarIT0_EES1_PKS1_PKT1_SA_S7_PKT3_PKT4_S5_PT5_21rocsparse_index_base_b
                                        ; -- End function
	.section	.AMDGPU.csdata,"",@progbits
; Kernel info:
; codeLenInByte = 1716
; NumSgprs: 22
; NumVgprs: 18
; ScratchSize: 0
; MemoryBound: 0
; FloatMode: 240
; IeeeMode: 1
; LDSByteSize: 6272 bytes/workgroup (compile time only)
; SGPRBlocks: 2
; VGPRBlocks: 2
; NumSGPRsForWavesPerEU: 22
; NumVGPRsForWavesPerEU: 18
; Occupancy: 13
; WaveLimiterHint : 1
; COMPUTE_PGM_RSRC2:SCRATCH_EN: 0
; COMPUTE_PGM_RSRC2:USER_SGPR: 15
; COMPUTE_PGM_RSRC2:TRAP_HANDLER: 0
; COMPUTE_PGM_RSRC2:TGID_X_EN: 1
; COMPUTE_PGM_RSRC2:TGID_Y_EN: 0
; COMPUTE_PGM_RSRC2:TGID_Z_EN: 0
; COMPUTE_PGM_RSRC2:TIDIG_COMP_CNT: 0
	.section	.text._ZN9rocsparseL20bsrxmvn_17_32_kernelILj29EdlifddEEvT2_20rocsparse_direction_NS_24const_host_device_scalarIT0_EES1_PKS1_PKT1_SA_S7_PKT3_PKT4_S5_PT5_21rocsparse_index_base_b,"axG",@progbits,_ZN9rocsparseL20bsrxmvn_17_32_kernelILj29EdlifddEEvT2_20rocsparse_direction_NS_24const_host_device_scalarIT0_EES1_PKS1_PKT1_SA_S7_PKT3_PKT4_S5_PT5_21rocsparse_index_base_b,comdat
	.globl	_ZN9rocsparseL20bsrxmvn_17_32_kernelILj29EdlifddEEvT2_20rocsparse_direction_NS_24const_host_device_scalarIT0_EES1_PKS1_PKT1_SA_S7_PKT3_PKT4_S5_PT5_21rocsparse_index_base_b ; -- Begin function _ZN9rocsparseL20bsrxmvn_17_32_kernelILj29EdlifddEEvT2_20rocsparse_direction_NS_24const_host_device_scalarIT0_EES1_PKS1_PKT1_SA_S7_PKT3_PKT4_S5_PT5_21rocsparse_index_base_b
	.p2align	8
	.type	_ZN9rocsparseL20bsrxmvn_17_32_kernelILj29EdlifddEEvT2_20rocsparse_direction_NS_24const_host_device_scalarIT0_EES1_PKS1_PKT1_SA_S7_PKT3_PKT4_S5_PT5_21rocsparse_index_base_b,@function
_ZN9rocsparseL20bsrxmvn_17_32_kernelILj29EdlifddEEvT2_20rocsparse_direction_NS_24const_host_device_scalarIT0_EES1_PKS1_PKT1_SA_S7_PKT3_PKT4_S5_PT5_21rocsparse_index_base_b: ; @_ZN9rocsparseL20bsrxmvn_17_32_kernelILj29EdlifddEEvT2_20rocsparse_direction_NS_24const_host_device_scalarIT0_EES1_PKS1_PKT1_SA_S7_PKT3_PKT4_S5_PT5_21rocsparse_index_base_b
; %bb.0:
	s_clause 0x2
	s_load_b64 s[12:13], s[0:1], 0x58
	s_load_b64 s[4:5], s[0:1], 0x8
	;; [unrolled: 1-line block ×3, first 2 shown]
	s_mov_b32 s8, s15
	s_waitcnt lgkmcnt(0)
	s_bitcmp1_b32 s13, 0
	v_dual_mov_b32 v3, s4 :: v_dual_mov_b32 v4, s5
	s_cselect_b32 s6, -1, 0
	s_delay_alu instid0(SALU_CYCLE_1)
	s_and_b32 vcc_lo, exec_lo, s6
	s_xor_b32 s6, s6, -1
	s_cbranch_vccnz .LBB508_2
; %bb.1:
	v_dual_mov_b32 v1, s4 :: v_dual_mov_b32 v2, s5
	flat_load_b64 v[3:4], v[1:2]
.LBB508_2:
	v_dual_mov_b32 v1, s2 :: v_dual_mov_b32 v2, s3
	s_and_not1_b32 vcc_lo, exec_lo, s6
	s_cbranch_vccnz .LBB508_4
; %bb.3:
	v_dual_mov_b32 v1, s2 :: v_dual_mov_b32 v2, s3
	flat_load_b64 v[1:2], v[1:2]
.LBB508_4:
	s_waitcnt vmcnt(0) lgkmcnt(0)
	v_cmp_neq_f64_e32 vcc_lo, 0, v[3:4]
	v_cmp_neq_f64_e64 s2, 1.0, v[1:2]
	s_delay_alu instid0(VALU_DEP_1) | instskip(NEXT) | instid1(SALU_CYCLE_1)
	s_or_b32 s2, vcc_lo, s2
	s_and_saveexec_b32 s3, s2
	s_cbranch_execz .LBB508_38
; %bb.5:
	s_clause 0x1
	s_load_b128 s[4:7], s[0:1], 0x18
	s_load_b64 s[10:11], s[0:1], 0x28
	s_waitcnt lgkmcnt(0)
	s_cmp_eq_u64 s[4:5], 0
	s_cbranch_scc1 .LBB508_7
; %bb.6:
	s_ashr_i32 s9, s8, 31
	s_delay_alu instid0(SALU_CYCLE_1) | instskip(NEXT) | instid1(SALU_CYCLE_1)
	s_lshl_b64 s[2:3], s[8:9], 2
	s_add_u32 s2, s4, s2
	s_addc_u32 s3, s5, s3
	s_load_b32 s2, s[2:3], 0x0
	s_waitcnt lgkmcnt(0)
	s_sub_i32 s8, s2, s12
.LBB508_7:
	s_load_b32 s3, s[0:1], 0x4
	v_mul_u32_u24_e32 v5, 0x8d4, v0
	s_delay_alu instid0(VALU_DEP_1) | instskip(NEXT) | instid1(VALU_DEP_1)
	v_lshrrev_b32_e32 v7, 16, v5
	v_mul_lo_u16 v5, v7, 29
	s_delay_alu instid0(VALU_DEP_1)
	v_sub_nc_u16 v12, v0, v5
	v_mov_b32_e32 v5, 0
	v_mov_b32_e32 v6, 0
	s_waitcnt lgkmcnt(0)
	s_cmp_eq_u32 s3, 1
	s_cselect_b32 s2, -1, 0
	s_cmp_lg_u32 s3, 1
	s_cselect_b32 s3, -1, 0
	s_ashr_i32 s9, s8, 31
	s_delay_alu instid0(SALU_CYCLE_1) | instskip(NEXT) | instid1(SALU_CYCLE_1)
	s_lshl_b64 s[4:5], s[8:9], 3
	s_add_u32 s6, s6, s4
	s_addc_u32 s7, s7, s5
	s_add_u32 s9, s6, 8
	s_addc_u32 s13, s7, 0
	;; [unrolled: 2-line block ×3, first 2 shown]
	s_cmp_eq_u64 s[10:11], 0
	s_load_b64 s[10:11], s[0:1], 0x50
	s_cselect_b32 s5, s13, s5
	s_cselect_b32 s4, s9, s4
	s_load_b64 s[18:19], s[6:7], 0x0
	s_load_b64 s[14:15], s[4:5], 0x0
	s_waitcnt lgkmcnt(0)
	v_cmp_ge_i64_e64 s4, s[18:19], s[14:15]
	s_delay_alu instid0(VALU_DEP_1)
	s_and_b32 vcc_lo, exec_lo, s4
	s_cbranch_vccnz .LBB508_12
; %bb.8:
	v_and_b32_e32 v5, 0xffff, v7
	v_cmp_lt_u32_e32 vcc_lo, 0x348, v0
	s_clause 0x1
	s_load_b128 s[4:7], s[0:1], 0x30
	s_load_b64 s[0:1], s[0:1], 0x40
	s_sub_u32 s14, s14, s12
	s_subb_u32 s15, s15, 0
	v_subrev_nc_u32_e32 v7, 29, v5
	v_cndmask_b32_e64 v13, 0, 1, vcc_lo
	v_cmp_gt_u32_e32 vcc_lo, 0x349, v0
	v_and_b32_e32 v6, 0xffff, v12
	s_sub_u32 s16, s18, s12
	s_subb_u32 s17, s19, 0
	s_mul_hi_u32 s9, s16, 0xd24
	v_cndmask_b32_e32 v5, v7, v5, vcc_lo
	s_mul_i32 s13, s17, 0xd24
	v_lshlrev_b32_e32 v8, 2, v0
	s_add_i32 s9, s9, s13
	s_delay_alu instid0(VALU_DEP_2) | instskip(SKIP_1) | instid1(VALU_DEP_1)
	v_cndmask_b32_e64 v7, v6, v5, s2
	v_add_co_u32 v5, s2, s18, v13
	v_add_co_ci_u32_e64 v6, null, s19, 0, s2
	s_mul_i32 s2, s16, 0xd24
	s_delay_alu instid0(VALU_DEP_2) | instskip(NEXT) | instid1(VALU_DEP_2)
	v_sub_co_u32 v5, vcc_lo, v5, s12
	v_subrev_co_ci_u32_e32 v6, vcc_lo, 0, v6, vcc_lo
	s_waitcnt lgkmcnt(0)
	s_add_u32 s2, s6, s2
	s_addc_u32 s6, s7, s9
	s_delay_alu instid0(VALU_DEP_1) | instskip(SKIP_2) | instid1(VALU_DEP_1)
	v_lshlrev_b64 v[10:11], 2, v[5:6]
	v_mov_b32_e32 v5, 0
	v_add_co_u32 v8, s2, s2, v8
	v_add_co_ci_u32_e64 v9, null, s6, 0, s2
	s_delay_alu instid0(VALU_DEP_4)
	v_add_co_u32 v10, vcc_lo, s4, v10
	v_mov_b32_e32 v6, 0
	v_add_co_ci_u32_e32 v11, vcc_lo, s5, v11, vcc_lo
	s_set_inst_prefetch_distance 0x1
	s_branch .LBB508_10
	.p2align	6
.LBB508_9:                              ;   in Loop: Header=BB508_10 Depth=1
	s_or_b32 exec_lo, exec_lo, s2
	s_add_u32 s16, s16, 1
	s_addc_u32 s17, s17, 0
	v_add_co_u32 v10, vcc_lo, v10, 4
	v_cmp_lt_i64_e64 s2, s[16:17], s[14:15]
	v_add_co_ci_u32_e32 v11, vcc_lo, 0, v11, vcc_lo
	s_delay_alu instid0(VALU_DEP_2)
	s_and_b32 vcc_lo, exec_lo, s2
	s_cbranch_vccz .LBB508_12
.LBB508_10:                             ; =>This Inner Loop Header: Depth=1
	v_add_co_u32 v14, s2, v13, s16
	s_delay_alu instid0(VALU_DEP_1) | instskip(SKIP_1) | instid1(VALU_DEP_1)
	v_add_co_ci_u32_e64 v15, null, 0, s17, s2
	s_mov_b32 s2, exec_lo
	v_cmpx_gt_i64_e64 s[14:15], v[14:15]
	s_cbranch_execz .LBB508_9
; %bb.11:                               ;   in Loop: Header=BB508_10 Depth=1
	global_load_b32 v14, v[10:11], off
	global_load_b32 v16, v[8:9], off
	s_waitcnt vmcnt(1)
	v_subrev_nc_u32_e32 v17, s12, v14
	s_delay_alu instid0(VALU_DEP_1) | instskip(SKIP_2) | instid1(VALU_DEP_2)
	v_mad_u64_u32 v[14:15], null, v17, 29, v[7:8]
	s_waitcnt vmcnt(0)
	v_cvt_f64_f32_e32 v[16:17], v16
	v_ashrrev_i32_e32 v15, 31, v14
	s_delay_alu instid0(VALU_DEP_1) | instskip(NEXT) | instid1(VALU_DEP_1)
	v_lshlrev_b64 v[14:15], 3, v[14:15]
	v_add_co_u32 v14, vcc_lo, s0, v14
	s_delay_alu instid0(VALU_DEP_2)
	v_add_co_ci_u32_e32 v15, vcc_lo, s1, v15, vcc_lo
	v_add_co_u32 v8, vcc_lo, 0xd24, v8
	v_add_co_ci_u32_e32 v9, vcc_lo, 0, v9, vcc_lo
	global_load_b64 v[14:15], v[14:15], off
	s_waitcnt vmcnt(0)
	v_fma_f64 v[5:6], v[16:17], v[14:15], v[5:6]
	s_branch .LBB508_9
.LBB508_12:
	s_set_inst_prefetch_distance 0x2
	v_lshlrev_b32_e32 v7, 3, v0
	s_and_b32 vcc_lo, exec_lo, s3
	ds_store_b64 v7, v[5:6]
	s_waitcnt lgkmcnt(0)
	s_barrier
	buffer_gl0_inv
	s_cbranch_vccz .LBB508_24
; %bb.13:
	s_mov_b32 s0, exec_lo
	v_cmpx_gt_u16_e32 13, v12
	s_cbranch_execz .LBB508_15
; %bb.14:
	ds_load_2addr_b64 v[8:11], v7 offset1:16
	s_waitcnt lgkmcnt(0)
	v_add_f64 v[8:9], v[10:11], v[8:9]
	ds_store_b64 v7, v[8:9]
.LBB508_15:
	s_or_b32 exec_lo, exec_lo, s0
	s_delay_alu instid0(SALU_CYCLE_1)
	s_mov_b32 s0, exec_lo
	s_waitcnt lgkmcnt(0)
	s_barrier
	buffer_gl0_inv
	v_cmpx_gt_u16_e32 8, v12
	s_cbranch_execz .LBB508_17
; %bb.16:
	ds_load_2addr_b64 v[8:11], v7 offset1:8
	s_waitcnt lgkmcnt(0)
	v_add_f64 v[8:9], v[10:11], v[8:9]
	ds_store_b64 v7, v[8:9]
.LBB508_17:
	s_or_b32 exec_lo, exec_lo, s0
	s_delay_alu instid0(SALU_CYCLE_1)
	s_mov_b32 s0, exec_lo
	s_waitcnt lgkmcnt(0)
	s_barrier
	buffer_gl0_inv
	;; [unrolled: 14-line block ×3, first 2 shown]
	v_cmpx_gt_u16_e32 2, v12
	s_cbranch_execz .LBB508_21
; %bb.20:
	ds_load_2addr_b64 v[8:11], v7 offset1:2
	s_waitcnt lgkmcnt(0)
	v_add_f64 v[8:9], v[10:11], v[8:9]
	ds_store_b64 v7, v[8:9]
.LBB508_21:
	s_or_b32 exec_lo, exec_lo, s0
	s_mov_b32 s1, 0
	s_mov_b32 s0, 0
	s_mov_b32 s2, exec_lo
	s_waitcnt lgkmcnt(0)
	s_barrier
	buffer_gl0_inv
                                        ; implicit-def: $vgpr8
                                        ; implicit-def: $vgpr9
	v_cmpx_gt_u32_e32 29, v0
	s_xor_b32 s2, exec_lo, s2
; %bb.22:
	v_mad_u32_u24 v8, v0, 29, 1
	v_mad_u32_u24 v9, 0xe0, v0, v7
	s_mov_b32 s0, exec_lo
; %bb.23:
	s_or_b32 exec_lo, exec_lo, s2
	s_delay_alu instid0(SALU_CYCLE_1)
	s_and_b32 vcc_lo, exec_lo, s1
	s_cbranch_vccnz .LBB508_25
	s_branch .LBB508_36
.LBB508_24:
	s_mov_b32 s0, 0
                                        ; implicit-def: $vgpr8
                                        ; implicit-def: $vgpr9
	s_cbranch_execz .LBB508_36
.LBB508_25:
	s_mov_b32 s1, exec_lo
	v_cmpx_gt_u32_e32 0x179, v0
	s_cbranch_execz .LBB508_27
; %bb.26:
	ds_load_b64 v[8:9], v7 offset:3712
	ds_load_b64 v[10:11], v7
	s_waitcnt lgkmcnt(0)
	v_add_f64 v[8:9], v[8:9], v[10:11]
	ds_store_b64 v7, v[8:9]
.LBB508_27:
	s_or_b32 exec_lo, exec_lo, s1
	s_delay_alu instid0(SALU_CYCLE_1)
	s_mov_b32 s1, exec_lo
	s_waitcnt lgkmcnt(0)
	s_barrier
	buffer_gl0_inv
	v_cmpx_gt_u32_e32 0xe8, v0
	s_cbranch_execz .LBB508_29
; %bb.28:
	ds_load_2addr_b64 v[8:11], v7 offset1:232
	s_waitcnt lgkmcnt(0)
	v_add_f64 v[8:9], v[10:11], v[8:9]
	ds_store_b64 v7, v[8:9]
.LBB508_29:
	s_or_b32 exec_lo, exec_lo, s1
	s_delay_alu instid0(SALU_CYCLE_1)
	s_mov_b32 s1, exec_lo
	s_waitcnt lgkmcnt(0)
	s_barrier
	buffer_gl0_inv
	v_cmpx_gt_u32_e32 0x74, v0
	s_cbranch_execz .LBB508_31
; %bb.30:
	ds_load_2addr_b64 v[8:11], v7 offset1:116
	s_waitcnt lgkmcnt(0)
	v_add_f64 v[8:9], v[10:11], v[8:9]
	ds_store_b64 v7, v[8:9]
.LBB508_31:
	;; [unrolled: 14-line block ×3, first 2 shown]
	s_or_b32 exec_lo, exec_lo, s1
	s_delay_alu instid0(SALU_CYCLE_1)
	s_mov_b32 s1, exec_lo
	s_waitcnt lgkmcnt(0)
	buffer_gl0_inv
                                        ; implicit-def: $vgpr8
	v_cmpx_gt_u32_e32 29, v0
; %bb.34:
	v_add_nc_u32_e32 v8, 29, v0
	s_or_b32 s0, s0, exec_lo
                                        ; implicit-def: $vgpr5_vgpr6
; %bb.35:
	s_or_b32 exec_lo, exec_lo, s1
	v_mov_b32_e32 v9, v7
.LBB508_36:
	s_and_saveexec_b32 s1, s0
	s_cbranch_execnz .LBB508_39
; %bb.37:
	s_or_b32 exec_lo, exec_lo, s1
	v_cmp_gt_u32_e32 vcc_lo, 29, v0
	s_and_b32 exec_lo, exec_lo, vcc_lo
	s_cbranch_execnz .LBB508_40
.LBB508_38:
	s_nop 0
	s_sendmsg sendmsg(MSG_DEALLOC_VGPRS)
	s_endpgm
.LBB508_39:
	v_lshlrev_b32_e32 v7, 3, v8
	ds_load_b64 v[5:6], v9
	ds_load_b64 v[7:8], v7
	s_waitcnt lgkmcnt(0)
	v_add_f64 v[5:6], v[5:6], v[7:8]
	s_or_b32 exec_lo, exec_lo, s1
	v_cmp_gt_u32_e32 vcc_lo, 29, v0
	s_and_b32 exec_lo, exec_lo, vcc_lo
	s_cbranch_execz .LBB508_38
.LBB508_40:
	s_delay_alu instid0(VALU_DEP_2)
	v_mul_f64 v[3:4], v[3:4], v[5:6]
	s_mov_b32 s0, exec_lo
	v_cmpx_eq_f64_e32 0, v[1:2]
	s_xor_b32 s0, exec_lo, s0
	s_cbranch_execz .LBB508_42
; %bb.41:
	v_mad_u64_u32 v[1:2], null, s8, 29, v[0:1]
	v_mov_b32_e32 v2, 0
	s_delay_alu instid0(VALU_DEP_1) | instskip(NEXT) | instid1(VALU_DEP_1)
	v_lshlrev_b64 v[0:1], 3, v[1:2]
	v_add_co_u32 v0, vcc_lo, s10, v0
	s_delay_alu instid0(VALU_DEP_2)
	v_add_co_ci_u32_e32 v1, vcc_lo, s11, v1, vcc_lo
	global_store_b64 v[0:1], v[3:4], off
                                        ; implicit-def: $vgpr0
                                        ; implicit-def: $vgpr1_vgpr2
                                        ; implicit-def: $vgpr3_vgpr4
.LBB508_42:
	s_and_not1_saveexec_b32 s0, s0
	s_cbranch_execz .LBB508_38
; %bb.43:
	v_mad_u64_u32 v[5:6], null, s8, 29, v[0:1]
	v_mov_b32_e32 v6, 0
	s_delay_alu instid0(VALU_DEP_1) | instskip(NEXT) | instid1(VALU_DEP_1)
	v_lshlrev_b64 v[5:6], 3, v[5:6]
	v_add_co_u32 v5, vcc_lo, s10, v5
	s_delay_alu instid0(VALU_DEP_2)
	v_add_co_ci_u32_e32 v6, vcc_lo, s11, v6, vcc_lo
	global_load_b64 v[7:8], v[5:6], off
	s_waitcnt vmcnt(0)
	v_fma_f64 v[0:1], v[1:2], v[7:8], v[3:4]
	global_store_b64 v[5:6], v[0:1], off
	s_nop 0
	s_sendmsg sendmsg(MSG_DEALLOC_VGPRS)
	s_endpgm
	.section	.rodata,"a",@progbits
	.p2align	6, 0x0
	.amdhsa_kernel _ZN9rocsparseL20bsrxmvn_17_32_kernelILj29EdlifddEEvT2_20rocsparse_direction_NS_24const_host_device_scalarIT0_EES1_PKS1_PKT1_SA_S7_PKT3_PKT4_S5_PT5_21rocsparse_index_base_b
		.amdhsa_group_segment_fixed_size 6728
		.amdhsa_private_segment_fixed_size 0
		.amdhsa_kernarg_size 96
		.amdhsa_user_sgpr_count 15
		.amdhsa_user_sgpr_dispatch_ptr 0
		.amdhsa_user_sgpr_queue_ptr 0
		.amdhsa_user_sgpr_kernarg_segment_ptr 1
		.amdhsa_user_sgpr_dispatch_id 0
		.amdhsa_user_sgpr_private_segment_size 0
		.amdhsa_wavefront_size32 1
		.amdhsa_uses_dynamic_stack 0
		.amdhsa_enable_private_segment 0
		.amdhsa_system_sgpr_workgroup_id_x 1
		.amdhsa_system_sgpr_workgroup_id_y 0
		.amdhsa_system_sgpr_workgroup_id_z 0
		.amdhsa_system_sgpr_workgroup_info 0
		.amdhsa_system_vgpr_workitem_id 0
		.amdhsa_next_free_vgpr 18
		.amdhsa_next_free_sgpr 20
		.amdhsa_reserve_vcc 1
		.amdhsa_float_round_mode_32 0
		.amdhsa_float_round_mode_16_64 0
		.amdhsa_float_denorm_mode_32 3
		.amdhsa_float_denorm_mode_16_64 3
		.amdhsa_dx10_clamp 1
		.amdhsa_ieee_mode 1
		.amdhsa_fp16_overflow 0
		.amdhsa_workgroup_processor_mode 1
		.amdhsa_memory_ordered 1
		.amdhsa_forward_progress 0
		.amdhsa_shared_vgpr_count 0
		.amdhsa_exception_fp_ieee_invalid_op 0
		.amdhsa_exception_fp_denorm_src 0
		.amdhsa_exception_fp_ieee_div_zero 0
		.amdhsa_exception_fp_ieee_overflow 0
		.amdhsa_exception_fp_ieee_underflow 0
		.amdhsa_exception_fp_ieee_inexact 0
		.amdhsa_exception_int_div_zero 0
	.end_amdhsa_kernel
	.section	.text._ZN9rocsparseL20bsrxmvn_17_32_kernelILj29EdlifddEEvT2_20rocsparse_direction_NS_24const_host_device_scalarIT0_EES1_PKS1_PKT1_SA_S7_PKT3_PKT4_S5_PT5_21rocsparse_index_base_b,"axG",@progbits,_ZN9rocsparseL20bsrxmvn_17_32_kernelILj29EdlifddEEvT2_20rocsparse_direction_NS_24const_host_device_scalarIT0_EES1_PKS1_PKT1_SA_S7_PKT3_PKT4_S5_PT5_21rocsparse_index_base_b,comdat
.Lfunc_end508:
	.size	_ZN9rocsparseL20bsrxmvn_17_32_kernelILj29EdlifddEEvT2_20rocsparse_direction_NS_24const_host_device_scalarIT0_EES1_PKS1_PKT1_SA_S7_PKT3_PKT4_S5_PT5_21rocsparse_index_base_b, .Lfunc_end508-_ZN9rocsparseL20bsrxmvn_17_32_kernelILj29EdlifddEEvT2_20rocsparse_direction_NS_24const_host_device_scalarIT0_EES1_PKS1_PKT1_SA_S7_PKT3_PKT4_S5_PT5_21rocsparse_index_base_b
                                        ; -- End function
	.section	.AMDGPU.csdata,"",@progbits
; Kernel info:
; codeLenInByte = 1720
; NumSgprs: 22
; NumVgprs: 18
; ScratchSize: 0
; MemoryBound: 0
; FloatMode: 240
; IeeeMode: 1
; LDSByteSize: 6728 bytes/workgroup (compile time only)
; SGPRBlocks: 2
; VGPRBlocks: 2
; NumSGPRsForWavesPerEU: 22
; NumVGPRsForWavesPerEU: 18
; Occupancy: 14
; WaveLimiterHint : 1
; COMPUTE_PGM_RSRC2:SCRATCH_EN: 0
; COMPUTE_PGM_RSRC2:USER_SGPR: 15
; COMPUTE_PGM_RSRC2:TRAP_HANDLER: 0
; COMPUTE_PGM_RSRC2:TGID_X_EN: 1
; COMPUTE_PGM_RSRC2:TGID_Y_EN: 0
; COMPUTE_PGM_RSRC2:TGID_Z_EN: 0
; COMPUTE_PGM_RSRC2:TIDIG_COMP_CNT: 0
	.section	.text._ZN9rocsparseL20bsrxmvn_17_32_kernelILj30EdlifddEEvT2_20rocsparse_direction_NS_24const_host_device_scalarIT0_EES1_PKS1_PKT1_SA_S7_PKT3_PKT4_S5_PT5_21rocsparse_index_base_b,"axG",@progbits,_ZN9rocsparseL20bsrxmvn_17_32_kernelILj30EdlifddEEvT2_20rocsparse_direction_NS_24const_host_device_scalarIT0_EES1_PKS1_PKT1_SA_S7_PKT3_PKT4_S5_PT5_21rocsparse_index_base_b,comdat
	.globl	_ZN9rocsparseL20bsrxmvn_17_32_kernelILj30EdlifddEEvT2_20rocsparse_direction_NS_24const_host_device_scalarIT0_EES1_PKS1_PKT1_SA_S7_PKT3_PKT4_S5_PT5_21rocsparse_index_base_b ; -- Begin function _ZN9rocsparseL20bsrxmvn_17_32_kernelILj30EdlifddEEvT2_20rocsparse_direction_NS_24const_host_device_scalarIT0_EES1_PKS1_PKT1_SA_S7_PKT3_PKT4_S5_PT5_21rocsparse_index_base_b
	.p2align	8
	.type	_ZN9rocsparseL20bsrxmvn_17_32_kernelILj30EdlifddEEvT2_20rocsparse_direction_NS_24const_host_device_scalarIT0_EES1_PKS1_PKT1_SA_S7_PKT3_PKT4_S5_PT5_21rocsparse_index_base_b,@function
_ZN9rocsparseL20bsrxmvn_17_32_kernelILj30EdlifddEEvT2_20rocsparse_direction_NS_24const_host_device_scalarIT0_EES1_PKS1_PKT1_SA_S7_PKT3_PKT4_S5_PT5_21rocsparse_index_base_b: ; @_ZN9rocsparseL20bsrxmvn_17_32_kernelILj30EdlifddEEvT2_20rocsparse_direction_NS_24const_host_device_scalarIT0_EES1_PKS1_PKT1_SA_S7_PKT3_PKT4_S5_PT5_21rocsparse_index_base_b
; %bb.0:
	s_clause 0x2
	s_load_b64 s[12:13], s[0:1], 0x58
	s_load_b64 s[4:5], s[0:1], 0x8
	;; [unrolled: 1-line block ×3, first 2 shown]
	s_mov_b32 s8, s15
	s_waitcnt lgkmcnt(0)
	s_bitcmp1_b32 s13, 0
	v_dual_mov_b32 v3, s4 :: v_dual_mov_b32 v4, s5
	s_cselect_b32 s6, -1, 0
	s_delay_alu instid0(SALU_CYCLE_1)
	s_and_b32 vcc_lo, exec_lo, s6
	s_xor_b32 s6, s6, -1
	s_cbranch_vccnz .LBB509_2
; %bb.1:
	v_dual_mov_b32 v1, s4 :: v_dual_mov_b32 v2, s5
	flat_load_b64 v[3:4], v[1:2]
.LBB509_2:
	v_dual_mov_b32 v1, s2 :: v_dual_mov_b32 v2, s3
	s_and_not1_b32 vcc_lo, exec_lo, s6
	s_cbranch_vccnz .LBB509_4
; %bb.3:
	v_dual_mov_b32 v1, s2 :: v_dual_mov_b32 v2, s3
	flat_load_b64 v[1:2], v[1:2]
.LBB509_4:
	s_waitcnt vmcnt(0) lgkmcnt(0)
	v_cmp_neq_f64_e32 vcc_lo, 0, v[3:4]
	v_cmp_neq_f64_e64 s2, 1.0, v[1:2]
	s_delay_alu instid0(VALU_DEP_1) | instskip(NEXT) | instid1(SALU_CYCLE_1)
	s_or_b32 s2, vcc_lo, s2
	s_and_saveexec_b32 s3, s2
	s_cbranch_execz .LBB509_38
; %bb.5:
	s_clause 0x1
	s_load_b128 s[4:7], s[0:1], 0x18
	s_load_b64 s[10:11], s[0:1], 0x28
	s_waitcnt lgkmcnt(0)
	s_cmp_eq_u64 s[4:5], 0
	s_cbranch_scc1 .LBB509_7
; %bb.6:
	s_ashr_i32 s9, s8, 31
	s_delay_alu instid0(SALU_CYCLE_1) | instskip(NEXT) | instid1(SALU_CYCLE_1)
	s_lshl_b64 s[2:3], s[8:9], 2
	s_add_u32 s2, s4, s2
	s_addc_u32 s3, s5, s3
	s_load_b32 s2, s[2:3], 0x0
	s_waitcnt lgkmcnt(0)
	s_sub_i32 s8, s2, s12
.LBB509_7:
	s_load_b32 s3, s[0:1], 0x4
	v_mul_u32_u24_e32 v5, 0x889, v0
	s_delay_alu instid0(VALU_DEP_1) | instskip(NEXT) | instid1(VALU_DEP_1)
	v_lshrrev_b32_e32 v7, 16, v5
	v_mul_lo_u16 v5, v7, 30
	s_delay_alu instid0(VALU_DEP_1)
	v_sub_nc_u16 v12, v0, v5
	v_mov_b32_e32 v5, 0
	v_mov_b32_e32 v6, 0
	s_waitcnt lgkmcnt(0)
	s_cmp_eq_u32 s3, 1
	s_cselect_b32 s2, -1, 0
	s_cmp_lg_u32 s3, 1
	s_cselect_b32 s3, -1, 0
	s_ashr_i32 s9, s8, 31
	s_delay_alu instid0(SALU_CYCLE_1) | instskip(NEXT) | instid1(SALU_CYCLE_1)
	s_lshl_b64 s[4:5], s[8:9], 3
	s_add_u32 s6, s6, s4
	s_addc_u32 s7, s7, s5
	s_add_u32 s9, s6, 8
	s_addc_u32 s13, s7, 0
	;; [unrolled: 2-line block ×3, first 2 shown]
	s_cmp_eq_u64 s[10:11], 0
	s_load_b64 s[10:11], s[0:1], 0x50
	s_cselect_b32 s5, s13, s5
	s_cselect_b32 s4, s9, s4
	s_load_b64 s[18:19], s[6:7], 0x0
	s_load_b64 s[14:15], s[4:5], 0x0
	s_waitcnt lgkmcnt(0)
	v_cmp_ge_i64_e64 s4, s[18:19], s[14:15]
	s_delay_alu instid0(VALU_DEP_1)
	s_and_b32 vcc_lo, exec_lo, s4
	s_cbranch_vccnz .LBB509_12
; %bb.8:
	v_and_b32_e32 v5, 0xffff, v7
	v_cmp_lt_u32_e32 vcc_lo, 0x383, v0
	s_clause 0x1
	s_load_b128 s[4:7], s[0:1], 0x30
	s_load_b64 s[0:1], s[0:1], 0x40
	s_sub_u32 s14, s14, s12
	s_subb_u32 s15, s15, 0
	v_subrev_nc_u32_e32 v7, 30, v5
	v_cndmask_b32_e64 v13, 0, 1, vcc_lo
	v_cmp_gt_u32_e32 vcc_lo, 0x384, v0
	v_and_b32_e32 v6, 0xffff, v12
	s_sub_u32 s16, s18, s12
	s_subb_u32 s17, s19, 0
	s_mul_hi_u32 s9, s16, 0xe10
	v_cndmask_b32_e32 v5, v7, v5, vcc_lo
	s_mul_i32 s13, s17, 0xe10
	v_lshlrev_b32_e32 v8, 2, v0
	s_add_i32 s9, s9, s13
	s_delay_alu instid0(VALU_DEP_2) | instskip(SKIP_1) | instid1(VALU_DEP_1)
	v_cndmask_b32_e64 v7, v6, v5, s2
	v_add_co_u32 v5, s2, s18, v13
	v_add_co_ci_u32_e64 v6, null, s19, 0, s2
	s_mul_i32 s2, s16, 0xe10
	s_delay_alu instid0(VALU_DEP_2) | instskip(NEXT) | instid1(VALU_DEP_2)
	v_sub_co_u32 v5, vcc_lo, v5, s12
	v_subrev_co_ci_u32_e32 v6, vcc_lo, 0, v6, vcc_lo
	s_waitcnt lgkmcnt(0)
	s_add_u32 s2, s6, s2
	s_addc_u32 s6, s7, s9
	s_delay_alu instid0(VALU_DEP_1) | instskip(SKIP_2) | instid1(VALU_DEP_1)
	v_lshlrev_b64 v[10:11], 2, v[5:6]
	v_mov_b32_e32 v5, 0
	v_add_co_u32 v8, s2, s2, v8
	v_add_co_ci_u32_e64 v9, null, s6, 0, s2
	s_delay_alu instid0(VALU_DEP_4)
	v_add_co_u32 v10, vcc_lo, s4, v10
	v_mov_b32_e32 v6, 0
	v_add_co_ci_u32_e32 v11, vcc_lo, s5, v11, vcc_lo
	s_set_inst_prefetch_distance 0x1
	s_branch .LBB509_10
	.p2align	6
.LBB509_9:                              ;   in Loop: Header=BB509_10 Depth=1
	s_or_b32 exec_lo, exec_lo, s2
	s_add_u32 s16, s16, 1
	s_addc_u32 s17, s17, 0
	v_add_co_u32 v10, vcc_lo, v10, 4
	v_cmp_lt_i64_e64 s2, s[16:17], s[14:15]
	v_add_co_ci_u32_e32 v11, vcc_lo, 0, v11, vcc_lo
	s_delay_alu instid0(VALU_DEP_2)
	s_and_b32 vcc_lo, exec_lo, s2
	s_cbranch_vccz .LBB509_12
.LBB509_10:                             ; =>This Inner Loop Header: Depth=1
	v_add_co_u32 v14, s2, v13, s16
	s_delay_alu instid0(VALU_DEP_1) | instskip(SKIP_1) | instid1(VALU_DEP_1)
	v_add_co_ci_u32_e64 v15, null, 0, s17, s2
	s_mov_b32 s2, exec_lo
	v_cmpx_gt_i64_e64 s[14:15], v[14:15]
	s_cbranch_execz .LBB509_9
; %bb.11:                               ;   in Loop: Header=BB509_10 Depth=1
	global_load_b32 v14, v[10:11], off
	global_load_b32 v16, v[8:9], off
	s_waitcnt vmcnt(1)
	v_subrev_nc_u32_e32 v17, s12, v14
	s_delay_alu instid0(VALU_DEP_1) | instskip(SKIP_2) | instid1(VALU_DEP_2)
	v_mad_u64_u32 v[14:15], null, v17, 30, v[7:8]
	s_waitcnt vmcnt(0)
	v_cvt_f64_f32_e32 v[16:17], v16
	v_ashrrev_i32_e32 v15, 31, v14
	s_delay_alu instid0(VALU_DEP_1) | instskip(NEXT) | instid1(VALU_DEP_1)
	v_lshlrev_b64 v[14:15], 3, v[14:15]
	v_add_co_u32 v14, vcc_lo, s0, v14
	s_delay_alu instid0(VALU_DEP_2)
	v_add_co_ci_u32_e32 v15, vcc_lo, s1, v15, vcc_lo
	v_add_co_u32 v8, vcc_lo, 0xe10, v8
	v_add_co_ci_u32_e32 v9, vcc_lo, 0, v9, vcc_lo
	global_load_b64 v[14:15], v[14:15], off
	s_waitcnt vmcnt(0)
	v_fma_f64 v[5:6], v[16:17], v[14:15], v[5:6]
	s_branch .LBB509_9
.LBB509_12:
	s_set_inst_prefetch_distance 0x2
	v_lshlrev_b32_e32 v7, 3, v0
	s_and_b32 vcc_lo, exec_lo, s3
	ds_store_b64 v7, v[5:6]
	s_waitcnt lgkmcnt(0)
	s_barrier
	buffer_gl0_inv
	s_cbranch_vccz .LBB509_24
; %bb.13:
	s_mov_b32 s0, exec_lo
	v_cmpx_gt_u16_e32 14, v12
	s_cbranch_execz .LBB509_15
; %bb.14:
	ds_load_2addr_b64 v[8:11], v7 offset1:16
	s_waitcnt lgkmcnt(0)
	v_add_f64 v[8:9], v[10:11], v[8:9]
	ds_store_b64 v7, v[8:9]
.LBB509_15:
	s_or_b32 exec_lo, exec_lo, s0
	s_delay_alu instid0(SALU_CYCLE_1)
	s_mov_b32 s0, exec_lo
	s_waitcnt lgkmcnt(0)
	s_barrier
	buffer_gl0_inv
	v_cmpx_gt_u16_e32 8, v12
	s_cbranch_execz .LBB509_17
; %bb.16:
	ds_load_2addr_b64 v[8:11], v7 offset1:8
	s_waitcnt lgkmcnt(0)
	v_add_f64 v[8:9], v[10:11], v[8:9]
	ds_store_b64 v7, v[8:9]
.LBB509_17:
	s_or_b32 exec_lo, exec_lo, s0
	s_delay_alu instid0(SALU_CYCLE_1)
	s_mov_b32 s0, exec_lo
	s_waitcnt lgkmcnt(0)
	s_barrier
	buffer_gl0_inv
	v_cmpx_gt_u16_e32 4, v12
	s_cbranch_execz .LBB509_19
; %bb.18:
	ds_load_2addr_b64 v[8:11], v7 offset1:4
	s_waitcnt lgkmcnt(0)
	v_add_f64 v[8:9], v[10:11], v[8:9]
	ds_store_b64 v7, v[8:9]
.LBB509_19:
	s_or_b32 exec_lo, exec_lo, s0
	s_delay_alu instid0(SALU_CYCLE_1)
	s_mov_b32 s0, exec_lo
	s_waitcnt lgkmcnt(0)
	s_barrier
	buffer_gl0_inv
	v_cmpx_gt_u16_e32 2, v12
	s_cbranch_execz .LBB509_21
; %bb.20:
	ds_load_2addr_b64 v[8:11], v7 offset1:2
	s_waitcnt lgkmcnt(0)
	v_add_f64 v[8:9], v[10:11], v[8:9]
	ds_store_b64 v7, v[8:9]
.LBB509_21:
	s_or_b32 exec_lo, exec_lo, s0
	s_mov_b32 s1, 0
	s_mov_b32 s0, 0
	s_mov_b32 s2, exec_lo
	s_waitcnt lgkmcnt(0)
	s_barrier
	buffer_gl0_inv
                                        ; implicit-def: $vgpr8
                                        ; implicit-def: $vgpr9
	v_cmpx_gt_u32_e32 30, v0
	s_xor_b32 s2, exec_lo, s2
; %bb.22:
	v_mul_u32_u24_e32 v8, 30, v0
	v_mad_u32_u24 v9, 0xe8, v0, v7
	s_mov_b32 s0, exec_lo
	s_delay_alu instid0(VALU_DEP_2)
	v_or_b32_e32 v8, 1, v8
; %bb.23:
	s_or_b32 exec_lo, exec_lo, s2
	s_delay_alu instid0(SALU_CYCLE_1)
	s_and_b32 vcc_lo, exec_lo, s1
	s_cbranch_vccnz .LBB509_25
	s_branch .LBB509_36
.LBB509_24:
	s_mov_b32 s0, 0
                                        ; implicit-def: $vgpr8
                                        ; implicit-def: $vgpr9
	s_cbranch_execz .LBB509_36
.LBB509_25:
	s_mov_b32 s1, exec_lo
	v_cmpx_gt_u32_e32 0x1a4, v0
	s_cbranch_execz .LBB509_27
; %bb.26:
	ds_load_b64 v[8:9], v7 offset:3840
	ds_load_b64 v[10:11], v7
	s_waitcnt lgkmcnt(0)
	v_add_f64 v[8:9], v[8:9], v[10:11]
	ds_store_b64 v7, v[8:9]
.LBB509_27:
	s_or_b32 exec_lo, exec_lo, s1
	s_delay_alu instid0(SALU_CYCLE_1)
	s_mov_b32 s1, exec_lo
	s_waitcnt lgkmcnt(0)
	s_barrier
	buffer_gl0_inv
	v_cmpx_gt_u32_e32 0xf0, v0
	s_cbranch_execz .LBB509_29
; %bb.28:
	ds_load_2addr_b64 v[8:11], v7 offset1:240
	s_waitcnt lgkmcnt(0)
	v_add_f64 v[8:9], v[10:11], v[8:9]
	ds_store_b64 v7, v[8:9]
.LBB509_29:
	s_or_b32 exec_lo, exec_lo, s1
	s_delay_alu instid0(SALU_CYCLE_1)
	s_mov_b32 s1, exec_lo
	s_waitcnt lgkmcnt(0)
	s_barrier
	buffer_gl0_inv
	v_cmpx_gt_u32_e32 0x78, v0
	s_cbranch_execz .LBB509_31
; %bb.30:
	ds_load_2addr_b64 v[8:11], v7 offset1:120
	s_waitcnt lgkmcnt(0)
	v_add_f64 v[8:9], v[10:11], v[8:9]
	ds_store_b64 v7, v[8:9]
.LBB509_31:
	;; [unrolled: 14-line block ×3, first 2 shown]
	s_or_b32 exec_lo, exec_lo, s1
	s_delay_alu instid0(SALU_CYCLE_1)
	s_mov_b32 s1, exec_lo
	s_waitcnt lgkmcnt(0)
	buffer_gl0_inv
                                        ; implicit-def: $vgpr8
	v_cmpx_gt_u32_e32 30, v0
; %bb.34:
	v_add_nc_u32_e32 v8, 30, v0
	s_or_b32 s0, s0, exec_lo
                                        ; implicit-def: $vgpr5_vgpr6
; %bb.35:
	s_or_b32 exec_lo, exec_lo, s1
	v_mov_b32_e32 v9, v7
.LBB509_36:
	s_and_saveexec_b32 s1, s0
	s_cbranch_execnz .LBB509_39
; %bb.37:
	s_or_b32 exec_lo, exec_lo, s1
	v_cmp_gt_u32_e32 vcc_lo, 30, v0
	s_and_b32 exec_lo, exec_lo, vcc_lo
	s_cbranch_execnz .LBB509_40
.LBB509_38:
	s_nop 0
	s_sendmsg sendmsg(MSG_DEALLOC_VGPRS)
	s_endpgm
.LBB509_39:
	v_lshlrev_b32_e32 v7, 3, v8
	ds_load_b64 v[5:6], v9
	ds_load_b64 v[7:8], v7
	s_waitcnt lgkmcnt(0)
	v_add_f64 v[5:6], v[5:6], v[7:8]
	s_or_b32 exec_lo, exec_lo, s1
	v_cmp_gt_u32_e32 vcc_lo, 30, v0
	s_and_b32 exec_lo, exec_lo, vcc_lo
	s_cbranch_execz .LBB509_38
.LBB509_40:
	s_delay_alu instid0(VALU_DEP_2)
	v_mul_f64 v[3:4], v[3:4], v[5:6]
	s_mov_b32 s0, exec_lo
	v_cmpx_eq_f64_e32 0, v[1:2]
	s_xor_b32 s0, exec_lo, s0
	s_cbranch_execz .LBB509_42
; %bb.41:
	v_mad_u64_u32 v[1:2], null, s8, 30, v[0:1]
	v_mov_b32_e32 v2, 0
	s_delay_alu instid0(VALU_DEP_1) | instskip(NEXT) | instid1(VALU_DEP_1)
	v_lshlrev_b64 v[0:1], 3, v[1:2]
	v_add_co_u32 v0, vcc_lo, s10, v0
	s_delay_alu instid0(VALU_DEP_2)
	v_add_co_ci_u32_e32 v1, vcc_lo, s11, v1, vcc_lo
	global_store_b64 v[0:1], v[3:4], off
                                        ; implicit-def: $vgpr0
                                        ; implicit-def: $vgpr1_vgpr2
                                        ; implicit-def: $vgpr3_vgpr4
.LBB509_42:
	s_and_not1_saveexec_b32 s0, s0
	s_cbranch_execz .LBB509_38
; %bb.43:
	v_mad_u64_u32 v[5:6], null, s8, 30, v[0:1]
	v_mov_b32_e32 v6, 0
	s_delay_alu instid0(VALU_DEP_1) | instskip(NEXT) | instid1(VALU_DEP_1)
	v_lshlrev_b64 v[5:6], 3, v[5:6]
	v_add_co_u32 v5, vcc_lo, s10, v5
	s_delay_alu instid0(VALU_DEP_2)
	v_add_co_ci_u32_e32 v6, vcc_lo, s11, v6, vcc_lo
	global_load_b64 v[7:8], v[5:6], off
	s_waitcnt vmcnt(0)
	v_fma_f64 v[0:1], v[1:2], v[7:8], v[3:4]
	global_store_b64 v[5:6], v[0:1], off
	s_nop 0
	s_sendmsg sendmsg(MSG_DEALLOC_VGPRS)
	s_endpgm
	.section	.rodata,"a",@progbits
	.p2align	6, 0x0
	.amdhsa_kernel _ZN9rocsparseL20bsrxmvn_17_32_kernelILj30EdlifddEEvT2_20rocsparse_direction_NS_24const_host_device_scalarIT0_EES1_PKS1_PKT1_SA_S7_PKT3_PKT4_S5_PT5_21rocsparse_index_base_b
		.amdhsa_group_segment_fixed_size 7200
		.amdhsa_private_segment_fixed_size 0
		.amdhsa_kernarg_size 96
		.amdhsa_user_sgpr_count 15
		.amdhsa_user_sgpr_dispatch_ptr 0
		.amdhsa_user_sgpr_queue_ptr 0
		.amdhsa_user_sgpr_kernarg_segment_ptr 1
		.amdhsa_user_sgpr_dispatch_id 0
		.amdhsa_user_sgpr_private_segment_size 0
		.amdhsa_wavefront_size32 1
		.amdhsa_uses_dynamic_stack 0
		.amdhsa_enable_private_segment 0
		.amdhsa_system_sgpr_workgroup_id_x 1
		.amdhsa_system_sgpr_workgroup_id_y 0
		.amdhsa_system_sgpr_workgroup_id_z 0
		.amdhsa_system_sgpr_workgroup_info 0
		.amdhsa_system_vgpr_workitem_id 0
		.amdhsa_next_free_vgpr 18
		.amdhsa_next_free_sgpr 20
		.amdhsa_reserve_vcc 1
		.amdhsa_float_round_mode_32 0
		.amdhsa_float_round_mode_16_64 0
		.amdhsa_float_denorm_mode_32 3
		.amdhsa_float_denorm_mode_16_64 3
		.amdhsa_dx10_clamp 1
		.amdhsa_ieee_mode 1
		.amdhsa_fp16_overflow 0
		.amdhsa_workgroup_processor_mode 1
		.amdhsa_memory_ordered 1
		.amdhsa_forward_progress 0
		.amdhsa_shared_vgpr_count 0
		.amdhsa_exception_fp_ieee_invalid_op 0
		.amdhsa_exception_fp_denorm_src 0
		.amdhsa_exception_fp_ieee_div_zero 0
		.amdhsa_exception_fp_ieee_overflow 0
		.amdhsa_exception_fp_ieee_underflow 0
		.amdhsa_exception_fp_ieee_inexact 0
		.amdhsa_exception_int_div_zero 0
	.end_amdhsa_kernel
	.section	.text._ZN9rocsparseL20bsrxmvn_17_32_kernelILj30EdlifddEEvT2_20rocsparse_direction_NS_24const_host_device_scalarIT0_EES1_PKS1_PKT1_SA_S7_PKT3_PKT4_S5_PT5_21rocsparse_index_base_b,"axG",@progbits,_ZN9rocsparseL20bsrxmvn_17_32_kernelILj30EdlifddEEvT2_20rocsparse_direction_NS_24const_host_device_scalarIT0_EES1_PKS1_PKT1_SA_S7_PKT3_PKT4_S5_PT5_21rocsparse_index_base_b,comdat
.Lfunc_end509:
	.size	_ZN9rocsparseL20bsrxmvn_17_32_kernelILj30EdlifddEEvT2_20rocsparse_direction_NS_24const_host_device_scalarIT0_EES1_PKS1_PKT1_SA_S7_PKT3_PKT4_S5_PT5_21rocsparse_index_base_b, .Lfunc_end509-_ZN9rocsparseL20bsrxmvn_17_32_kernelILj30EdlifddEEvT2_20rocsparse_direction_NS_24const_host_device_scalarIT0_EES1_PKS1_PKT1_SA_S7_PKT3_PKT4_S5_PT5_21rocsparse_index_base_b
                                        ; -- End function
	.section	.AMDGPU.csdata,"",@progbits
; Kernel info:
; codeLenInByte = 1724
; NumSgprs: 22
; NumVgprs: 18
; ScratchSize: 0
; MemoryBound: 0
; FloatMode: 240
; IeeeMode: 1
; LDSByteSize: 7200 bytes/workgroup (compile time only)
; SGPRBlocks: 2
; VGPRBlocks: 2
; NumSGPRsForWavesPerEU: 22
; NumVGPRsForWavesPerEU: 18
; Occupancy: 15
; WaveLimiterHint : 1
; COMPUTE_PGM_RSRC2:SCRATCH_EN: 0
; COMPUTE_PGM_RSRC2:USER_SGPR: 15
; COMPUTE_PGM_RSRC2:TRAP_HANDLER: 0
; COMPUTE_PGM_RSRC2:TGID_X_EN: 1
; COMPUTE_PGM_RSRC2:TGID_Y_EN: 0
; COMPUTE_PGM_RSRC2:TGID_Z_EN: 0
; COMPUTE_PGM_RSRC2:TIDIG_COMP_CNT: 0
	.section	.text._ZN9rocsparseL20bsrxmvn_17_32_kernelILj31EdlifddEEvT2_20rocsparse_direction_NS_24const_host_device_scalarIT0_EES1_PKS1_PKT1_SA_S7_PKT3_PKT4_S5_PT5_21rocsparse_index_base_b,"axG",@progbits,_ZN9rocsparseL20bsrxmvn_17_32_kernelILj31EdlifddEEvT2_20rocsparse_direction_NS_24const_host_device_scalarIT0_EES1_PKS1_PKT1_SA_S7_PKT3_PKT4_S5_PT5_21rocsparse_index_base_b,comdat
	.globl	_ZN9rocsparseL20bsrxmvn_17_32_kernelILj31EdlifddEEvT2_20rocsparse_direction_NS_24const_host_device_scalarIT0_EES1_PKS1_PKT1_SA_S7_PKT3_PKT4_S5_PT5_21rocsparse_index_base_b ; -- Begin function _ZN9rocsparseL20bsrxmvn_17_32_kernelILj31EdlifddEEvT2_20rocsparse_direction_NS_24const_host_device_scalarIT0_EES1_PKS1_PKT1_SA_S7_PKT3_PKT4_S5_PT5_21rocsparse_index_base_b
	.p2align	8
	.type	_ZN9rocsparseL20bsrxmvn_17_32_kernelILj31EdlifddEEvT2_20rocsparse_direction_NS_24const_host_device_scalarIT0_EES1_PKS1_PKT1_SA_S7_PKT3_PKT4_S5_PT5_21rocsparse_index_base_b,@function
_ZN9rocsparseL20bsrxmvn_17_32_kernelILj31EdlifddEEvT2_20rocsparse_direction_NS_24const_host_device_scalarIT0_EES1_PKS1_PKT1_SA_S7_PKT3_PKT4_S5_PT5_21rocsparse_index_base_b: ; @_ZN9rocsparseL20bsrxmvn_17_32_kernelILj31EdlifddEEvT2_20rocsparse_direction_NS_24const_host_device_scalarIT0_EES1_PKS1_PKT1_SA_S7_PKT3_PKT4_S5_PT5_21rocsparse_index_base_b
; %bb.0:
	s_clause 0x2
	s_load_b64 s[12:13], s[0:1], 0x58
	s_load_b64 s[4:5], s[0:1], 0x8
	;; [unrolled: 1-line block ×3, first 2 shown]
	s_mov_b32 s8, s15
	s_waitcnt lgkmcnt(0)
	s_bitcmp1_b32 s13, 0
	v_dual_mov_b32 v3, s4 :: v_dual_mov_b32 v4, s5
	s_cselect_b32 s6, -1, 0
	s_delay_alu instid0(SALU_CYCLE_1)
	s_and_b32 vcc_lo, exec_lo, s6
	s_xor_b32 s6, s6, -1
	s_cbranch_vccnz .LBB510_2
; %bb.1:
	v_dual_mov_b32 v1, s4 :: v_dual_mov_b32 v2, s5
	flat_load_b64 v[3:4], v[1:2]
.LBB510_2:
	v_dual_mov_b32 v1, s2 :: v_dual_mov_b32 v2, s3
	s_and_not1_b32 vcc_lo, exec_lo, s6
	s_cbranch_vccnz .LBB510_4
; %bb.3:
	v_dual_mov_b32 v1, s2 :: v_dual_mov_b32 v2, s3
	flat_load_b64 v[1:2], v[1:2]
.LBB510_4:
	s_waitcnt vmcnt(0) lgkmcnt(0)
	v_cmp_neq_f64_e32 vcc_lo, 0, v[3:4]
	v_cmp_neq_f64_e64 s2, 1.0, v[1:2]
	s_delay_alu instid0(VALU_DEP_1) | instskip(NEXT) | instid1(SALU_CYCLE_1)
	s_or_b32 s2, vcc_lo, s2
	s_and_saveexec_b32 s3, s2
	s_cbranch_execz .LBB510_38
; %bb.5:
	s_clause 0x1
	s_load_b128 s[4:7], s[0:1], 0x18
	s_load_b64 s[10:11], s[0:1], 0x28
	s_waitcnt lgkmcnt(0)
	s_cmp_eq_u64 s[4:5], 0
	s_cbranch_scc1 .LBB510_7
; %bb.6:
	s_ashr_i32 s9, s8, 31
	s_delay_alu instid0(SALU_CYCLE_1) | instskip(NEXT) | instid1(SALU_CYCLE_1)
	s_lshl_b64 s[2:3], s[8:9], 2
	s_add_u32 s2, s4, s2
	s_addc_u32 s3, s5, s3
	s_load_b32 s2, s[2:3], 0x0
	s_waitcnt lgkmcnt(0)
	s_sub_i32 s8, s2, s12
.LBB510_7:
	s_load_b32 s3, s[0:1], 0x4
	v_mul_u32_u24_e32 v5, 0x843, v0
	s_delay_alu instid0(VALU_DEP_1) | instskip(NEXT) | instid1(VALU_DEP_1)
	v_lshrrev_b32_e32 v7, 16, v5
	v_mul_lo_u16 v5, v7, 31
	s_delay_alu instid0(VALU_DEP_1)
	v_sub_nc_u16 v12, v0, v5
	v_mov_b32_e32 v5, 0
	v_mov_b32_e32 v6, 0
	s_waitcnt lgkmcnt(0)
	s_cmp_eq_u32 s3, 1
	s_cselect_b32 s2, -1, 0
	s_cmp_lg_u32 s3, 1
	s_cselect_b32 s3, -1, 0
	s_ashr_i32 s9, s8, 31
	s_delay_alu instid0(SALU_CYCLE_1) | instskip(NEXT) | instid1(SALU_CYCLE_1)
	s_lshl_b64 s[4:5], s[8:9], 3
	s_add_u32 s6, s6, s4
	s_addc_u32 s7, s7, s5
	s_add_u32 s9, s6, 8
	s_addc_u32 s13, s7, 0
	;; [unrolled: 2-line block ×3, first 2 shown]
	s_cmp_eq_u64 s[10:11], 0
	s_load_b64 s[10:11], s[0:1], 0x50
	s_cselect_b32 s5, s13, s5
	s_cselect_b32 s4, s9, s4
	s_load_b64 s[18:19], s[6:7], 0x0
	s_load_b64 s[14:15], s[4:5], 0x0
	s_waitcnt lgkmcnt(0)
	v_cmp_ge_i64_e64 s4, s[18:19], s[14:15]
	s_delay_alu instid0(VALU_DEP_1)
	s_and_b32 vcc_lo, exec_lo, s4
	s_cbranch_vccnz .LBB510_12
; %bb.8:
	v_and_b32_e32 v5, 0xffff, v7
	v_cmp_lt_u32_e32 vcc_lo, 0x3c0, v0
	s_clause 0x1
	s_load_b128 s[4:7], s[0:1], 0x30
	s_load_b64 s[0:1], s[0:1], 0x40
	s_sub_u32 s14, s14, s12
	s_subb_u32 s15, s15, 0
	v_subrev_nc_u32_e32 v7, 31, v5
	v_cndmask_b32_e64 v13, 0, 1, vcc_lo
	v_cmp_gt_u32_e32 vcc_lo, 0x3c1, v0
	v_and_b32_e32 v6, 0xffff, v12
	s_sub_u32 s16, s18, s12
	s_subb_u32 s17, s19, 0
	s_mul_hi_u32 s9, s16, 0xf04
	v_cndmask_b32_e32 v5, v7, v5, vcc_lo
	s_mul_i32 s13, s17, 0xf04
	v_lshlrev_b32_e32 v8, 2, v0
	s_add_i32 s9, s9, s13
	s_delay_alu instid0(VALU_DEP_2) | instskip(SKIP_1) | instid1(VALU_DEP_1)
	v_cndmask_b32_e64 v7, v6, v5, s2
	v_add_co_u32 v5, s2, s18, v13
	v_add_co_ci_u32_e64 v6, null, s19, 0, s2
	s_mul_i32 s2, s16, 0xf04
	s_delay_alu instid0(VALU_DEP_2) | instskip(NEXT) | instid1(VALU_DEP_2)
	v_sub_co_u32 v5, vcc_lo, v5, s12
	v_subrev_co_ci_u32_e32 v6, vcc_lo, 0, v6, vcc_lo
	s_waitcnt lgkmcnt(0)
	s_add_u32 s2, s6, s2
	s_addc_u32 s6, s7, s9
	s_delay_alu instid0(VALU_DEP_1) | instskip(SKIP_2) | instid1(VALU_DEP_1)
	v_lshlrev_b64 v[10:11], 2, v[5:6]
	v_mov_b32_e32 v5, 0
	v_add_co_u32 v8, s2, s2, v8
	v_add_co_ci_u32_e64 v9, null, s6, 0, s2
	s_delay_alu instid0(VALU_DEP_4)
	v_add_co_u32 v10, vcc_lo, s4, v10
	v_mov_b32_e32 v6, 0
	v_add_co_ci_u32_e32 v11, vcc_lo, s5, v11, vcc_lo
	s_set_inst_prefetch_distance 0x1
	s_branch .LBB510_10
	.p2align	6
.LBB510_9:                              ;   in Loop: Header=BB510_10 Depth=1
	s_or_b32 exec_lo, exec_lo, s2
	s_add_u32 s16, s16, 1
	s_addc_u32 s17, s17, 0
	v_add_co_u32 v10, vcc_lo, v10, 4
	v_cmp_lt_i64_e64 s2, s[16:17], s[14:15]
	v_add_co_ci_u32_e32 v11, vcc_lo, 0, v11, vcc_lo
	s_delay_alu instid0(VALU_DEP_2)
	s_and_b32 vcc_lo, exec_lo, s2
	s_cbranch_vccz .LBB510_12
.LBB510_10:                             ; =>This Inner Loop Header: Depth=1
	v_add_co_u32 v14, s2, v13, s16
	s_delay_alu instid0(VALU_DEP_1) | instskip(SKIP_1) | instid1(VALU_DEP_1)
	v_add_co_ci_u32_e64 v15, null, 0, s17, s2
	s_mov_b32 s2, exec_lo
	v_cmpx_gt_i64_e64 s[14:15], v[14:15]
	s_cbranch_execz .LBB510_9
; %bb.11:                               ;   in Loop: Header=BB510_10 Depth=1
	global_load_b32 v14, v[10:11], off
	global_load_b32 v16, v[8:9], off
	s_waitcnt vmcnt(1)
	v_subrev_nc_u32_e32 v17, s12, v14
	s_delay_alu instid0(VALU_DEP_1) | instskip(SKIP_2) | instid1(VALU_DEP_2)
	v_mad_u64_u32 v[14:15], null, v17, 31, v[7:8]
	s_waitcnt vmcnt(0)
	v_cvt_f64_f32_e32 v[16:17], v16
	v_ashrrev_i32_e32 v15, 31, v14
	s_delay_alu instid0(VALU_DEP_1) | instskip(NEXT) | instid1(VALU_DEP_1)
	v_lshlrev_b64 v[14:15], 3, v[14:15]
	v_add_co_u32 v14, vcc_lo, s0, v14
	s_delay_alu instid0(VALU_DEP_2)
	v_add_co_ci_u32_e32 v15, vcc_lo, s1, v15, vcc_lo
	v_add_co_u32 v8, vcc_lo, 0xf04, v8
	v_add_co_ci_u32_e32 v9, vcc_lo, 0, v9, vcc_lo
	global_load_b64 v[14:15], v[14:15], off
	s_waitcnt vmcnt(0)
	v_fma_f64 v[5:6], v[16:17], v[14:15], v[5:6]
	s_branch .LBB510_9
.LBB510_12:
	s_set_inst_prefetch_distance 0x2
	v_lshlrev_b32_e32 v7, 3, v0
	s_and_b32 vcc_lo, exec_lo, s3
	ds_store_b64 v7, v[5:6]
	s_waitcnt lgkmcnt(0)
	s_barrier
	buffer_gl0_inv
	s_cbranch_vccz .LBB510_24
; %bb.13:
	s_mov_b32 s0, exec_lo
	v_cmpx_gt_u16_e32 15, v12
	s_cbranch_execz .LBB510_15
; %bb.14:
	ds_load_2addr_b64 v[8:11], v7 offset1:16
	s_waitcnt lgkmcnt(0)
	v_add_f64 v[8:9], v[10:11], v[8:9]
	ds_store_b64 v7, v[8:9]
.LBB510_15:
	s_or_b32 exec_lo, exec_lo, s0
	s_delay_alu instid0(SALU_CYCLE_1)
	s_mov_b32 s0, exec_lo
	s_waitcnt lgkmcnt(0)
	s_barrier
	buffer_gl0_inv
	v_cmpx_gt_u16_e32 8, v12
	s_cbranch_execz .LBB510_17
; %bb.16:
	ds_load_2addr_b64 v[8:11], v7 offset1:8
	s_waitcnt lgkmcnt(0)
	v_add_f64 v[8:9], v[10:11], v[8:9]
	ds_store_b64 v7, v[8:9]
.LBB510_17:
	s_or_b32 exec_lo, exec_lo, s0
	s_delay_alu instid0(SALU_CYCLE_1)
	s_mov_b32 s0, exec_lo
	s_waitcnt lgkmcnt(0)
	s_barrier
	buffer_gl0_inv
	;; [unrolled: 14-line block ×3, first 2 shown]
	v_cmpx_gt_u16_e32 2, v12
	s_cbranch_execz .LBB510_21
; %bb.20:
	ds_load_2addr_b64 v[8:11], v7 offset1:2
	s_waitcnt lgkmcnt(0)
	v_add_f64 v[8:9], v[10:11], v[8:9]
	ds_store_b64 v7, v[8:9]
.LBB510_21:
	s_or_b32 exec_lo, exec_lo, s0
	s_mov_b32 s1, 0
	s_mov_b32 s0, 0
	s_mov_b32 s2, exec_lo
	s_waitcnt lgkmcnt(0)
	s_barrier
	buffer_gl0_inv
                                        ; implicit-def: $vgpr8
                                        ; implicit-def: $vgpr9
	v_cmpx_gt_u32_e32 31, v0
	s_xor_b32 s2, exec_lo, s2
; %bb.22:
	v_mad_u32_u24 v8, v0, 31, 1
	v_mad_u32_u24 v9, 0xf0, v0, v7
	s_mov_b32 s0, exec_lo
; %bb.23:
	s_or_b32 exec_lo, exec_lo, s2
	s_delay_alu instid0(SALU_CYCLE_1)
	s_and_b32 vcc_lo, exec_lo, s1
	s_cbranch_vccnz .LBB510_25
	s_branch .LBB510_36
.LBB510_24:
	s_mov_b32 s0, 0
                                        ; implicit-def: $vgpr8
                                        ; implicit-def: $vgpr9
	s_cbranch_execz .LBB510_36
.LBB510_25:
	s_mov_b32 s1, exec_lo
	v_cmpx_gt_u32_e32 0x1d1, v0
	s_cbranch_execz .LBB510_27
; %bb.26:
	ds_load_b64 v[8:9], v7 offset:3968
	ds_load_b64 v[10:11], v7
	s_waitcnt lgkmcnt(0)
	v_add_f64 v[8:9], v[8:9], v[10:11]
	ds_store_b64 v7, v[8:9]
.LBB510_27:
	s_or_b32 exec_lo, exec_lo, s1
	s_delay_alu instid0(SALU_CYCLE_1)
	s_mov_b32 s1, exec_lo
	s_waitcnt lgkmcnt(0)
	s_barrier
	buffer_gl0_inv
	v_cmpx_gt_u32_e32 0xf8, v0
	s_cbranch_execz .LBB510_29
; %bb.28:
	ds_load_2addr_b64 v[8:11], v7 offset1:248
	s_waitcnt lgkmcnt(0)
	v_add_f64 v[8:9], v[10:11], v[8:9]
	ds_store_b64 v7, v[8:9]
.LBB510_29:
	s_or_b32 exec_lo, exec_lo, s1
	s_delay_alu instid0(SALU_CYCLE_1)
	s_mov_b32 s1, exec_lo
	s_waitcnt lgkmcnt(0)
	s_barrier
	buffer_gl0_inv
	v_cmpx_gt_u32_e32 0x7c, v0
	s_cbranch_execz .LBB510_31
; %bb.30:
	ds_load_2addr_b64 v[8:11], v7 offset1:124
	s_waitcnt lgkmcnt(0)
	v_add_f64 v[8:9], v[10:11], v[8:9]
	ds_store_b64 v7, v[8:9]
.LBB510_31:
	;; [unrolled: 14-line block ×3, first 2 shown]
	s_or_b32 exec_lo, exec_lo, s1
	s_delay_alu instid0(SALU_CYCLE_1)
	s_mov_b32 s1, exec_lo
	s_waitcnt lgkmcnt(0)
	buffer_gl0_inv
                                        ; implicit-def: $vgpr8
	v_cmpx_gt_u32_e32 31, v0
; %bb.34:
	v_add_nc_u32_e32 v8, 31, v0
	s_or_b32 s0, s0, exec_lo
                                        ; implicit-def: $vgpr5_vgpr6
; %bb.35:
	s_or_b32 exec_lo, exec_lo, s1
	v_mov_b32_e32 v9, v7
.LBB510_36:
	s_and_saveexec_b32 s1, s0
	s_cbranch_execnz .LBB510_39
; %bb.37:
	s_or_b32 exec_lo, exec_lo, s1
	v_cmp_gt_u32_e32 vcc_lo, 31, v0
	s_and_b32 exec_lo, exec_lo, vcc_lo
	s_cbranch_execnz .LBB510_40
.LBB510_38:
	s_nop 0
	s_sendmsg sendmsg(MSG_DEALLOC_VGPRS)
	s_endpgm
.LBB510_39:
	v_lshlrev_b32_e32 v7, 3, v8
	ds_load_b64 v[5:6], v9
	ds_load_b64 v[7:8], v7
	s_waitcnt lgkmcnt(0)
	v_add_f64 v[5:6], v[5:6], v[7:8]
	s_or_b32 exec_lo, exec_lo, s1
	v_cmp_gt_u32_e32 vcc_lo, 31, v0
	s_and_b32 exec_lo, exec_lo, vcc_lo
	s_cbranch_execz .LBB510_38
.LBB510_40:
	s_delay_alu instid0(VALU_DEP_2)
	v_mul_f64 v[3:4], v[3:4], v[5:6]
	s_mov_b32 s0, exec_lo
	v_cmpx_eq_f64_e32 0, v[1:2]
	s_xor_b32 s0, exec_lo, s0
	s_cbranch_execz .LBB510_42
; %bb.41:
	v_mad_u64_u32 v[1:2], null, s8, 31, v[0:1]
	v_mov_b32_e32 v2, 0
	s_delay_alu instid0(VALU_DEP_1) | instskip(NEXT) | instid1(VALU_DEP_1)
	v_lshlrev_b64 v[0:1], 3, v[1:2]
	v_add_co_u32 v0, vcc_lo, s10, v0
	s_delay_alu instid0(VALU_DEP_2)
	v_add_co_ci_u32_e32 v1, vcc_lo, s11, v1, vcc_lo
	global_store_b64 v[0:1], v[3:4], off
                                        ; implicit-def: $vgpr0
                                        ; implicit-def: $vgpr1_vgpr2
                                        ; implicit-def: $vgpr3_vgpr4
.LBB510_42:
	s_and_not1_saveexec_b32 s0, s0
	s_cbranch_execz .LBB510_38
; %bb.43:
	v_mad_u64_u32 v[5:6], null, s8, 31, v[0:1]
	v_mov_b32_e32 v6, 0
	s_delay_alu instid0(VALU_DEP_1) | instskip(NEXT) | instid1(VALU_DEP_1)
	v_lshlrev_b64 v[5:6], 3, v[5:6]
	v_add_co_u32 v5, vcc_lo, s10, v5
	s_delay_alu instid0(VALU_DEP_2)
	v_add_co_ci_u32_e32 v6, vcc_lo, s11, v6, vcc_lo
	global_load_b64 v[7:8], v[5:6], off
	s_waitcnt vmcnt(0)
	v_fma_f64 v[0:1], v[1:2], v[7:8], v[3:4]
	global_store_b64 v[5:6], v[0:1], off
	s_nop 0
	s_sendmsg sendmsg(MSG_DEALLOC_VGPRS)
	s_endpgm
	.section	.rodata,"a",@progbits
	.p2align	6, 0x0
	.amdhsa_kernel _ZN9rocsparseL20bsrxmvn_17_32_kernelILj31EdlifddEEvT2_20rocsparse_direction_NS_24const_host_device_scalarIT0_EES1_PKS1_PKT1_SA_S7_PKT3_PKT4_S5_PT5_21rocsparse_index_base_b
		.amdhsa_group_segment_fixed_size 7688
		.amdhsa_private_segment_fixed_size 0
		.amdhsa_kernarg_size 96
		.amdhsa_user_sgpr_count 15
		.amdhsa_user_sgpr_dispatch_ptr 0
		.amdhsa_user_sgpr_queue_ptr 0
		.amdhsa_user_sgpr_kernarg_segment_ptr 1
		.amdhsa_user_sgpr_dispatch_id 0
		.amdhsa_user_sgpr_private_segment_size 0
		.amdhsa_wavefront_size32 1
		.amdhsa_uses_dynamic_stack 0
		.amdhsa_enable_private_segment 0
		.amdhsa_system_sgpr_workgroup_id_x 1
		.amdhsa_system_sgpr_workgroup_id_y 0
		.amdhsa_system_sgpr_workgroup_id_z 0
		.amdhsa_system_sgpr_workgroup_info 0
		.amdhsa_system_vgpr_workitem_id 0
		.amdhsa_next_free_vgpr 18
		.amdhsa_next_free_sgpr 20
		.amdhsa_reserve_vcc 1
		.amdhsa_float_round_mode_32 0
		.amdhsa_float_round_mode_16_64 0
		.amdhsa_float_denorm_mode_32 3
		.amdhsa_float_denorm_mode_16_64 3
		.amdhsa_dx10_clamp 1
		.amdhsa_ieee_mode 1
		.amdhsa_fp16_overflow 0
		.amdhsa_workgroup_processor_mode 1
		.amdhsa_memory_ordered 1
		.amdhsa_forward_progress 0
		.amdhsa_shared_vgpr_count 0
		.amdhsa_exception_fp_ieee_invalid_op 0
		.amdhsa_exception_fp_denorm_src 0
		.amdhsa_exception_fp_ieee_div_zero 0
		.amdhsa_exception_fp_ieee_overflow 0
		.amdhsa_exception_fp_ieee_underflow 0
		.amdhsa_exception_fp_ieee_inexact 0
		.amdhsa_exception_int_div_zero 0
	.end_amdhsa_kernel
	.section	.text._ZN9rocsparseL20bsrxmvn_17_32_kernelILj31EdlifddEEvT2_20rocsparse_direction_NS_24const_host_device_scalarIT0_EES1_PKS1_PKT1_SA_S7_PKT3_PKT4_S5_PT5_21rocsparse_index_base_b,"axG",@progbits,_ZN9rocsparseL20bsrxmvn_17_32_kernelILj31EdlifddEEvT2_20rocsparse_direction_NS_24const_host_device_scalarIT0_EES1_PKS1_PKT1_SA_S7_PKT3_PKT4_S5_PT5_21rocsparse_index_base_b,comdat
.Lfunc_end510:
	.size	_ZN9rocsparseL20bsrxmvn_17_32_kernelILj31EdlifddEEvT2_20rocsparse_direction_NS_24const_host_device_scalarIT0_EES1_PKS1_PKT1_SA_S7_PKT3_PKT4_S5_PT5_21rocsparse_index_base_b, .Lfunc_end510-_ZN9rocsparseL20bsrxmvn_17_32_kernelILj31EdlifddEEvT2_20rocsparse_direction_NS_24const_host_device_scalarIT0_EES1_PKS1_PKT1_SA_S7_PKT3_PKT4_S5_PT5_21rocsparse_index_base_b
                                        ; -- End function
	.section	.AMDGPU.csdata,"",@progbits
; Kernel info:
; codeLenInByte = 1720
; NumSgprs: 22
; NumVgprs: 18
; ScratchSize: 0
; MemoryBound: 0
; FloatMode: 240
; IeeeMode: 1
; LDSByteSize: 7688 bytes/workgroup (compile time only)
; SGPRBlocks: 2
; VGPRBlocks: 2
; NumSGPRsForWavesPerEU: 22
; NumVGPRsForWavesPerEU: 18
; Occupancy: 16
; WaveLimiterHint : 1
; COMPUTE_PGM_RSRC2:SCRATCH_EN: 0
; COMPUTE_PGM_RSRC2:USER_SGPR: 15
; COMPUTE_PGM_RSRC2:TRAP_HANDLER: 0
; COMPUTE_PGM_RSRC2:TGID_X_EN: 1
; COMPUTE_PGM_RSRC2:TGID_Y_EN: 0
; COMPUTE_PGM_RSRC2:TGID_Z_EN: 0
; COMPUTE_PGM_RSRC2:TIDIG_COMP_CNT: 0
	.section	.text._ZN9rocsparseL20bsrxmvn_17_32_kernelILj32EdlifddEEvT2_20rocsparse_direction_NS_24const_host_device_scalarIT0_EES1_PKS1_PKT1_SA_S7_PKT3_PKT4_S5_PT5_21rocsparse_index_base_b,"axG",@progbits,_ZN9rocsparseL20bsrxmvn_17_32_kernelILj32EdlifddEEvT2_20rocsparse_direction_NS_24const_host_device_scalarIT0_EES1_PKS1_PKT1_SA_S7_PKT3_PKT4_S5_PT5_21rocsparse_index_base_b,comdat
	.globl	_ZN9rocsparseL20bsrxmvn_17_32_kernelILj32EdlifddEEvT2_20rocsparse_direction_NS_24const_host_device_scalarIT0_EES1_PKS1_PKT1_SA_S7_PKT3_PKT4_S5_PT5_21rocsparse_index_base_b ; -- Begin function _ZN9rocsparseL20bsrxmvn_17_32_kernelILj32EdlifddEEvT2_20rocsparse_direction_NS_24const_host_device_scalarIT0_EES1_PKS1_PKT1_SA_S7_PKT3_PKT4_S5_PT5_21rocsparse_index_base_b
	.p2align	8
	.type	_ZN9rocsparseL20bsrxmvn_17_32_kernelILj32EdlifddEEvT2_20rocsparse_direction_NS_24const_host_device_scalarIT0_EES1_PKS1_PKT1_SA_S7_PKT3_PKT4_S5_PT5_21rocsparse_index_base_b,@function
_ZN9rocsparseL20bsrxmvn_17_32_kernelILj32EdlifddEEvT2_20rocsparse_direction_NS_24const_host_device_scalarIT0_EES1_PKS1_PKT1_SA_S7_PKT3_PKT4_S5_PT5_21rocsparse_index_base_b: ; @_ZN9rocsparseL20bsrxmvn_17_32_kernelILj32EdlifddEEvT2_20rocsparse_direction_NS_24const_host_device_scalarIT0_EES1_PKS1_PKT1_SA_S7_PKT3_PKT4_S5_PT5_21rocsparse_index_base_b
; %bb.0:
	s_clause 0x2
	s_load_b64 s[10:11], s[0:1], 0x58
	s_load_b64 s[4:5], s[0:1], 0x8
	;; [unrolled: 1-line block ×3, first 2 shown]
	s_mov_b32 s8, s15
	s_waitcnt lgkmcnt(0)
	s_bitcmp1_b32 s11, 0
	v_dual_mov_b32 v3, s4 :: v_dual_mov_b32 v4, s5
	s_cselect_b32 s6, -1, 0
	s_delay_alu instid0(SALU_CYCLE_1)
	s_and_b32 vcc_lo, exec_lo, s6
	s_xor_b32 s6, s6, -1
	s_cbranch_vccnz .LBB511_2
; %bb.1:
	v_dual_mov_b32 v1, s4 :: v_dual_mov_b32 v2, s5
	flat_load_b64 v[3:4], v[1:2]
.LBB511_2:
	v_dual_mov_b32 v1, s2 :: v_dual_mov_b32 v2, s3
	s_and_not1_b32 vcc_lo, exec_lo, s6
	s_cbranch_vccnz .LBB511_4
; %bb.3:
	v_dual_mov_b32 v1, s2 :: v_dual_mov_b32 v2, s3
	flat_load_b64 v[1:2], v[1:2]
.LBB511_4:
	s_waitcnt vmcnt(0) lgkmcnt(0)
	v_cmp_neq_f64_e32 vcc_lo, 0, v[3:4]
	v_cmp_neq_f64_e64 s2, 1.0, v[1:2]
	s_delay_alu instid0(VALU_DEP_1) | instskip(NEXT) | instid1(SALU_CYCLE_1)
	s_or_b32 s2, vcc_lo, s2
	s_and_saveexec_b32 s3, s2
	s_cbranch_execz .LBB511_36
; %bb.5:
	s_clause 0x1
	s_load_b128 s[4:7], s[0:1], 0x18
	s_load_b64 s[12:13], s[0:1], 0x28
	s_waitcnt lgkmcnt(0)
	s_cmp_eq_u64 s[4:5], 0
	s_cbranch_scc1 .LBB511_7
; %bb.6:
	s_ashr_i32 s9, s8, 31
	s_delay_alu instid0(SALU_CYCLE_1) | instskip(NEXT) | instid1(SALU_CYCLE_1)
	s_lshl_b64 s[2:3], s[8:9], 2
	s_add_u32 s2, s4, s2
	s_addc_u32 s3, s5, s3
	s_load_b32 s2, s[2:3], 0x0
	s_waitcnt lgkmcnt(0)
	s_sub_i32 s8, s2, s10
.LBB511_7:
	s_load_b32 s3, s[0:1], 0x4
	v_mov_b32_e32 v5, 0
	v_dual_mov_b32 v6, 0 :: v_dual_and_b32 v9, 31, v0
	s_waitcnt lgkmcnt(0)
	s_cmp_eq_u32 s3, 1
	s_cselect_b32 s2, -1, 0
	s_cmp_lg_u32 s3, 1
	s_cselect_b32 s16, -1, 0
	s_ashr_i32 s9, s8, 31
	s_delay_alu instid0(SALU_CYCLE_1) | instskip(NEXT) | instid1(SALU_CYCLE_1)
	s_lshl_b64 s[4:5], s[8:9], 3
	s_add_u32 s6, s6, s4
	s_addc_u32 s7, s7, s5
	s_add_u32 s3, s6, 8
	s_addc_u32 s9, s7, 0
	;; [unrolled: 2-line block ×3, first 2 shown]
	s_cmp_eq_u64 s[12:13], 0
	s_cselect_b32 s5, s9, s5
	s_cselect_b32 s4, s3, s4
	s_load_b64 s[14:15], s[6:7], 0x0
	s_load_b64 s[6:7], s[4:5], 0x0
	;; [unrolled: 1-line block ×3, first 2 shown]
	s_waitcnt lgkmcnt(0)
	v_cmp_ge_i64_e64 s3, s[14:15], s[6:7]
	s_delay_alu instid0(VALU_DEP_1)
	s_and_b32 vcc_lo, exec_lo, s3
	s_cbranch_vccnz .LBB511_10
; %bb.8:
	s_clause 0x1
	s_load_b128 s[20:23], s[0:1], 0x30
	s_load_b64 s[0:1], s[0:1], 0x40
	s_sub_u32 s6, s6, s10
	s_subb_u32 s7, s7, 0
	s_sub_u32 s12, s14, s10
	s_subb_u32 s13, s15, 0
	v_lshrrev_b32_e32 v7, 5, v0
	s_lshl_b64 s[18:19], s[12:13], 12
	v_mov_b32_e32 v5, 0
	v_lshl_or_b32 v8, v0, 2, s18
	v_dual_mov_b32 v6, 0 :: v_dual_mov_b32 v11, s19
	s_mov_b32 s11, 0
	s_lshl_b64 s[14:15], s[14:15], 2
	s_lshl_b64 s[24:25], s[10:11], 2
	v_cndmask_b32_e64 v10, v9, v7, s2
	s_sub_u32 s2, s14, s24
	s_subb_u32 s3, s15, s25
	s_waitcnt lgkmcnt(0)
	v_add_co_u32 v7, vcc_lo, s22, v8
	v_add_co_ci_u32_e32 v8, vcc_lo, s23, v11, vcc_lo
	s_add_u32 s2, s20, s2
	s_addc_u32 s3, s21, s3
	.p2align	6
.LBB511_9:                              ; =>This Inner Loop Header: Depth=1
	s_load_b32 s9, s[2:3], 0x0
	global_load_b32 v13, v[7:8], off
	s_waitcnt lgkmcnt(0)
	s_sub_i32 s9, s9, s10
	s_add_u32 s12, s12, 1
	v_lshl_or_b32 v11, s9, 5, v10
	s_addc_u32 s13, s13, 0
	s_add_u32 s2, s2, 4
	v_cmp_lt_i64_e64 s9, s[12:13], s[6:7]
	s_addc_u32 s3, s3, 0
	v_ashrrev_i32_e32 v12, 31, v11
	s_delay_alu instid0(VALU_DEP_1) | instskip(NEXT) | instid1(VALU_DEP_1)
	v_lshlrev_b64 v[11:12], 3, v[11:12]
	v_add_co_u32 v11, vcc_lo, s0, v11
	s_delay_alu instid0(VALU_DEP_2)
	v_add_co_ci_u32_e32 v12, vcc_lo, s1, v12, vcc_lo
	v_add_co_u32 v7, vcc_lo, 0x1000, v7
	v_add_co_ci_u32_e32 v8, vcc_lo, 0, v8, vcc_lo
	global_load_b64 v[11:12], v[11:12], off
	s_and_b32 vcc_lo, exec_lo, s9
	s_waitcnt vmcnt(1)
	v_cvt_f64_f32_e32 v[13:14], v13
	s_waitcnt vmcnt(0)
	s_delay_alu instid0(VALU_DEP_1)
	v_fma_f64 v[5:6], v[13:14], v[11:12], v[5:6]
	s_cbranch_vccnz .LBB511_9
.LBB511_10:
	v_lshlrev_b32_e32 v7, 3, v0
	s_and_b32 vcc_lo, exec_lo, s16
	ds_store_b64 v7, v[5:6]
	s_waitcnt lgkmcnt(0)
	s_barrier
	buffer_gl0_inv
	s_cbranch_vccz .LBB511_22
; %bb.11:
	s_mov_b32 s0, exec_lo
	v_cmpx_gt_u32_e32 16, v9
	s_cbranch_execz .LBB511_13
; %bb.12:
	ds_load_2addr_b64 v[10:13], v7 offset1:16
	s_waitcnt lgkmcnt(0)
	v_add_f64 v[10:11], v[12:13], v[10:11]
	ds_store_b64 v7, v[10:11]
.LBB511_13:
	s_or_b32 exec_lo, exec_lo, s0
	s_delay_alu instid0(SALU_CYCLE_1)
	s_mov_b32 s0, exec_lo
	s_waitcnt lgkmcnt(0)
	s_barrier
	buffer_gl0_inv
	v_cmpx_gt_u32_e32 8, v9
	s_cbranch_execz .LBB511_15
; %bb.14:
	ds_load_2addr_b64 v[10:13], v7 offset1:8
	s_waitcnt lgkmcnt(0)
	v_add_f64 v[10:11], v[12:13], v[10:11]
	ds_store_b64 v7, v[10:11]
.LBB511_15:
	s_or_b32 exec_lo, exec_lo, s0
	s_delay_alu instid0(SALU_CYCLE_1)
	s_mov_b32 s0, exec_lo
	s_waitcnt lgkmcnt(0)
	s_barrier
	buffer_gl0_inv
	;; [unrolled: 14-line block ×3, first 2 shown]
	v_cmpx_gt_u32_e32 2, v9
	s_cbranch_execz .LBB511_19
; %bb.18:
	ds_load_2addr_b64 v[8:11], v7 offset1:2
	s_waitcnt lgkmcnt(0)
	v_add_f64 v[8:9], v[10:11], v[8:9]
	ds_store_b64 v7, v[8:9]
.LBB511_19:
	s_or_b32 exec_lo, exec_lo, s0
	s_mov_b32 s1, 0
	s_mov_b32 s0, 0
	s_mov_b32 s2, exec_lo
	s_waitcnt lgkmcnt(0)
	s_barrier
	buffer_gl0_inv
                                        ; implicit-def: $vgpr8
                                        ; implicit-def: $vgpr9
	v_cmpx_gt_u32_e32 32, v0
	s_xor_b32 s2, exec_lo, s2
; %bb.20:
	v_lshl_or_b32 v8, v0, 5, 1
	v_mad_u32_u24 v9, 0xf8, v0, v7
	s_mov_b32 s0, exec_lo
; %bb.21:
	s_or_b32 exec_lo, exec_lo, s2
	s_delay_alu instid0(SALU_CYCLE_1)
	s_and_b32 vcc_lo, exec_lo, s1
	s_cbranch_vccnz .LBB511_23
	s_branch .LBB511_34
.LBB511_22:
	s_mov_b32 s0, 0
                                        ; implicit-def: $vgpr8
                                        ; implicit-def: $vgpr9
	s_cbranch_execz .LBB511_34
.LBB511_23:
	s_mov_b32 s1, exec_lo
	v_cmpx_gt_u32_e32 0x200, v0
	s_cbranch_execz .LBB511_25
; %bb.24:
	ds_load_2addr_stride64_b64 v[8:11], v7 offset1:8
	s_waitcnt lgkmcnt(0)
	v_add_f64 v[8:9], v[10:11], v[8:9]
	ds_store_b64 v7, v[8:9]
.LBB511_25:
	s_or_b32 exec_lo, exec_lo, s1
	s_delay_alu instid0(SALU_CYCLE_1)
	s_mov_b32 s1, exec_lo
	s_waitcnt lgkmcnt(0)
	s_barrier
	buffer_gl0_inv
	v_cmpx_gt_u32_e32 0x100, v0
	s_cbranch_execz .LBB511_27
; %bb.26:
	ds_load_2addr_stride64_b64 v[8:11], v7 offset1:4
	s_waitcnt lgkmcnt(0)
	v_add_f64 v[8:9], v[10:11], v[8:9]
	ds_store_b64 v7, v[8:9]
.LBB511_27:
	s_or_b32 exec_lo, exec_lo, s1
	s_delay_alu instid0(SALU_CYCLE_1)
	s_mov_b32 s1, exec_lo
	s_waitcnt lgkmcnt(0)
	s_barrier
	buffer_gl0_inv
	;; [unrolled: 14-line block ×3, first 2 shown]
	v_cmpx_gt_u32_e32 64, v0
	s_cbranch_execz .LBB511_31
; %bb.30:
	ds_load_2addr_stride64_b64 v[8:11], v7 offset1:1
	s_waitcnt lgkmcnt(0)
	v_add_f64 v[8:9], v[10:11], v[8:9]
	ds_store_b64 v7, v[8:9]
.LBB511_31:
	s_or_b32 exec_lo, exec_lo, s1
	s_delay_alu instid0(SALU_CYCLE_1)
	s_mov_b32 s1, exec_lo
	s_waitcnt lgkmcnt(0)
	buffer_gl0_inv
                                        ; implicit-def: $vgpr8
	v_cmpx_gt_u32_e32 32, v0
; %bb.32:
	v_or_b32_e32 v8, 32, v0
	s_or_b32 s0, s0, exec_lo
                                        ; implicit-def: $vgpr5_vgpr6
; %bb.33:
	s_or_b32 exec_lo, exec_lo, s1
	v_mov_b32_e32 v9, v7
.LBB511_34:
	s_and_saveexec_b32 s1, s0
	s_cbranch_execnz .LBB511_37
; %bb.35:
	s_or_b32 exec_lo, exec_lo, s1
	v_cmp_gt_u32_e32 vcc_lo, 32, v0
	s_and_b32 exec_lo, exec_lo, vcc_lo
	s_cbranch_execnz .LBB511_38
.LBB511_36:
	s_nop 0
	s_sendmsg sendmsg(MSG_DEALLOC_VGPRS)
	s_endpgm
.LBB511_37:
	v_lshlrev_b32_e32 v7, 3, v8
	ds_load_b64 v[5:6], v9
	ds_load_b64 v[7:8], v7
	s_waitcnt lgkmcnt(0)
	v_add_f64 v[5:6], v[5:6], v[7:8]
	s_or_b32 exec_lo, exec_lo, s1
	v_cmp_gt_u32_e32 vcc_lo, 32, v0
	s_and_b32 exec_lo, exec_lo, vcc_lo
	s_cbranch_execz .LBB511_36
.LBB511_38:
	s_delay_alu instid0(VALU_DEP_2)
	v_mul_f64 v[3:4], v[3:4], v[5:6]
	v_lshl_or_b32 v5, s8, 5, v0
	s_mov_b32 s0, exec_lo
	v_cmpx_eq_f64_e32 0, v[1:2]
	s_xor_b32 s0, exec_lo, s0
	s_cbranch_execz .LBB511_40
; %bb.39:
	v_mov_b32_e32 v6, 0
	s_delay_alu instid0(VALU_DEP_1) | instskip(NEXT) | instid1(VALU_DEP_1)
	v_lshlrev_b64 v[0:1], 3, v[5:6]
                                        ; implicit-def: $vgpr5
	v_add_co_u32 v0, vcc_lo, s4, v0
	s_delay_alu instid0(VALU_DEP_2)
	v_add_co_ci_u32_e32 v1, vcc_lo, s5, v1, vcc_lo
	global_store_b64 v[0:1], v[3:4], off
                                        ; implicit-def: $vgpr1_vgpr2
                                        ; implicit-def: $vgpr3_vgpr4
.LBB511_40:
	s_and_not1_saveexec_b32 s0, s0
	s_cbranch_execz .LBB511_36
; %bb.41:
	v_mov_b32_e32 v6, 0
	s_delay_alu instid0(VALU_DEP_1) | instskip(NEXT) | instid1(VALU_DEP_1)
	v_lshlrev_b64 v[5:6], 3, v[5:6]
	v_add_co_u32 v5, vcc_lo, s4, v5
	s_delay_alu instid0(VALU_DEP_2)
	v_add_co_ci_u32_e32 v6, vcc_lo, s5, v6, vcc_lo
	global_load_b64 v[7:8], v[5:6], off
	s_waitcnt vmcnt(0)
	v_fma_f64 v[0:1], v[1:2], v[7:8], v[3:4]
	global_store_b64 v[5:6], v[0:1], off
	s_nop 0
	s_sendmsg sendmsg(MSG_DEALLOC_VGPRS)
	s_endpgm
	.section	.rodata,"a",@progbits
	.p2align	6, 0x0
	.amdhsa_kernel _ZN9rocsparseL20bsrxmvn_17_32_kernelILj32EdlifddEEvT2_20rocsparse_direction_NS_24const_host_device_scalarIT0_EES1_PKS1_PKT1_SA_S7_PKT3_PKT4_S5_PT5_21rocsparse_index_base_b
		.amdhsa_group_segment_fixed_size 8192
		.amdhsa_private_segment_fixed_size 0
		.amdhsa_kernarg_size 96
		.amdhsa_user_sgpr_count 15
		.amdhsa_user_sgpr_dispatch_ptr 0
		.amdhsa_user_sgpr_queue_ptr 0
		.amdhsa_user_sgpr_kernarg_segment_ptr 1
		.amdhsa_user_sgpr_dispatch_id 0
		.amdhsa_user_sgpr_private_segment_size 0
		.amdhsa_wavefront_size32 1
		.amdhsa_uses_dynamic_stack 0
		.amdhsa_enable_private_segment 0
		.amdhsa_system_sgpr_workgroup_id_x 1
		.amdhsa_system_sgpr_workgroup_id_y 0
		.amdhsa_system_sgpr_workgroup_id_z 0
		.amdhsa_system_sgpr_workgroup_info 0
		.amdhsa_system_vgpr_workitem_id 0
		.amdhsa_next_free_vgpr 15
		.amdhsa_next_free_sgpr 26
		.amdhsa_reserve_vcc 1
		.amdhsa_float_round_mode_32 0
		.amdhsa_float_round_mode_16_64 0
		.amdhsa_float_denorm_mode_32 3
		.amdhsa_float_denorm_mode_16_64 3
		.amdhsa_dx10_clamp 1
		.amdhsa_ieee_mode 1
		.amdhsa_fp16_overflow 0
		.amdhsa_workgroup_processor_mode 1
		.amdhsa_memory_ordered 1
		.amdhsa_forward_progress 0
		.amdhsa_shared_vgpr_count 0
		.amdhsa_exception_fp_ieee_invalid_op 0
		.amdhsa_exception_fp_denorm_src 0
		.amdhsa_exception_fp_ieee_div_zero 0
		.amdhsa_exception_fp_ieee_overflow 0
		.amdhsa_exception_fp_ieee_underflow 0
		.amdhsa_exception_fp_ieee_inexact 0
		.amdhsa_exception_int_div_zero 0
	.end_amdhsa_kernel
	.section	.text._ZN9rocsparseL20bsrxmvn_17_32_kernelILj32EdlifddEEvT2_20rocsparse_direction_NS_24const_host_device_scalarIT0_EES1_PKS1_PKT1_SA_S7_PKT3_PKT4_S5_PT5_21rocsparse_index_base_b,"axG",@progbits,_ZN9rocsparseL20bsrxmvn_17_32_kernelILj32EdlifddEEvT2_20rocsparse_direction_NS_24const_host_device_scalarIT0_EES1_PKS1_PKT1_SA_S7_PKT3_PKT4_S5_PT5_21rocsparse_index_base_b,comdat
.Lfunc_end511:
	.size	_ZN9rocsparseL20bsrxmvn_17_32_kernelILj32EdlifddEEvT2_20rocsparse_direction_NS_24const_host_device_scalarIT0_EES1_PKS1_PKT1_SA_S7_PKT3_PKT4_S5_PT5_21rocsparse_index_base_b, .Lfunc_end511-_ZN9rocsparseL20bsrxmvn_17_32_kernelILj32EdlifddEEvT2_20rocsparse_direction_NS_24const_host_device_scalarIT0_EES1_PKS1_PKT1_SA_S7_PKT3_PKT4_S5_PT5_21rocsparse_index_base_b
                                        ; -- End function
	.section	.AMDGPU.csdata,"",@progbits
; Kernel info:
; codeLenInByte = 1500
; NumSgprs: 28
; NumVgprs: 15
; ScratchSize: 0
; MemoryBound: 0
; FloatMode: 240
; IeeeMode: 1
; LDSByteSize: 8192 bytes/workgroup (compile time only)
; SGPRBlocks: 3
; VGPRBlocks: 1
; NumSGPRsForWavesPerEU: 28
; NumVGPRsForWavesPerEU: 15
; Occupancy: 16
; WaveLimiterHint : 1
; COMPUTE_PGM_RSRC2:SCRATCH_EN: 0
; COMPUTE_PGM_RSRC2:USER_SGPR: 15
; COMPUTE_PGM_RSRC2:TRAP_HANDLER: 0
; COMPUTE_PGM_RSRC2:TGID_X_EN: 1
; COMPUTE_PGM_RSRC2:TGID_Y_EN: 0
; COMPUTE_PGM_RSRC2:TGID_Z_EN: 0
; COMPUTE_PGM_RSRC2:TIDIG_COMP_CNT: 0
	.section	.text._ZN9rocsparseL20bsrxmvn_17_32_kernelILj17EdllfddEEvT2_20rocsparse_direction_NS_24const_host_device_scalarIT0_EES1_PKS1_PKT1_SA_S7_PKT3_PKT4_S5_PT5_21rocsparse_index_base_b,"axG",@progbits,_ZN9rocsparseL20bsrxmvn_17_32_kernelILj17EdllfddEEvT2_20rocsparse_direction_NS_24const_host_device_scalarIT0_EES1_PKS1_PKT1_SA_S7_PKT3_PKT4_S5_PT5_21rocsparse_index_base_b,comdat
	.globl	_ZN9rocsparseL20bsrxmvn_17_32_kernelILj17EdllfddEEvT2_20rocsparse_direction_NS_24const_host_device_scalarIT0_EES1_PKS1_PKT1_SA_S7_PKT3_PKT4_S5_PT5_21rocsparse_index_base_b ; -- Begin function _ZN9rocsparseL20bsrxmvn_17_32_kernelILj17EdllfddEEvT2_20rocsparse_direction_NS_24const_host_device_scalarIT0_EES1_PKS1_PKT1_SA_S7_PKT3_PKT4_S5_PT5_21rocsparse_index_base_b
	.p2align	8
	.type	_ZN9rocsparseL20bsrxmvn_17_32_kernelILj17EdllfddEEvT2_20rocsparse_direction_NS_24const_host_device_scalarIT0_EES1_PKS1_PKT1_SA_S7_PKT3_PKT4_S5_PT5_21rocsparse_index_base_b,@function
_ZN9rocsparseL20bsrxmvn_17_32_kernelILj17EdllfddEEvT2_20rocsparse_direction_NS_24const_host_device_scalarIT0_EES1_PKS1_PKT1_SA_S7_PKT3_PKT4_S5_PT5_21rocsparse_index_base_b: ; @_ZN9rocsparseL20bsrxmvn_17_32_kernelILj17EdllfddEEvT2_20rocsparse_direction_NS_24const_host_device_scalarIT0_EES1_PKS1_PKT1_SA_S7_PKT3_PKT4_S5_PT5_21rocsparse_index_base_b
; %bb.0:
	s_clause 0x2
	s_load_b64 s[12:13], s[0:1], 0x60
	s_load_b64 s[4:5], s[0:1], 0x10
	;; [unrolled: 1-line block ×3, first 2 shown]
	s_mov_b32 s8, s15
	s_waitcnt lgkmcnt(0)
	s_bitcmp1_b32 s13, 0
	v_dual_mov_b32 v3, s4 :: v_dual_mov_b32 v4, s5
	s_cselect_b32 s6, -1, 0
	s_delay_alu instid0(SALU_CYCLE_1)
	s_and_b32 vcc_lo, exec_lo, s6
	s_xor_b32 s6, s6, -1
	s_cbranch_vccnz .LBB512_2
; %bb.1:
	v_dual_mov_b32 v1, s4 :: v_dual_mov_b32 v2, s5
	flat_load_b64 v[3:4], v[1:2]
.LBB512_2:
	v_dual_mov_b32 v1, s2 :: v_dual_mov_b32 v2, s3
	s_and_not1_b32 vcc_lo, exec_lo, s6
	s_cbranch_vccnz .LBB512_4
; %bb.3:
	v_dual_mov_b32 v1, s2 :: v_dual_mov_b32 v2, s3
	flat_load_b64 v[1:2], v[1:2]
.LBB512_4:
	s_waitcnt vmcnt(0) lgkmcnt(0)
	v_cmp_neq_f64_e32 vcc_lo, 0, v[3:4]
	v_cmp_neq_f64_e64 s2, 1.0, v[1:2]
	s_delay_alu instid0(VALU_DEP_1) | instskip(NEXT) | instid1(SALU_CYCLE_1)
	s_or_b32 s2, vcc_lo, s2
	s_and_saveexec_b32 s3, s2
	s_cbranch_execz .LBB512_38
; %bb.5:
	s_clause 0x1
	s_load_b128 s[4:7], s[0:1], 0x20
	s_load_b64 s[10:11], s[0:1], 0x30
	s_mov_b32 s9, 0
	s_waitcnt lgkmcnt(0)
	s_cmp_eq_u64 s[4:5], 0
	s_cbranch_scc1 .LBB512_7
; %bb.6:
	s_lshl_b64 s[2:3], s[8:9], 3
	s_delay_alu instid0(SALU_CYCLE_1)
	s_add_u32 s2, s4, s2
	s_addc_u32 s3, s5, s3
	s_load_b64 s[2:3], s[2:3], 0x0
	s_waitcnt lgkmcnt(0)
	s_sub_u32 s8, s2, s12
	s_subb_u32 s9, s3, 0
.LBB512_7:
	s_load_b32 s3, s[0:1], 0x8
	v_mul_u32_u24_e32 v5, 0xf10, v0
	s_delay_alu instid0(VALU_DEP_1) | instskip(NEXT) | instid1(VALU_DEP_1)
	v_lshrrev_b32_e32 v7, 16, v5
	v_mul_lo_u16 v5, v7, 17
	s_delay_alu instid0(VALU_DEP_1)
	v_sub_nc_u16 v13, v0, v5
	v_mov_b32_e32 v5, 0
	v_mov_b32_e32 v6, 0
	s_waitcnt lgkmcnt(0)
	s_cmp_eq_u32 s3, 1
	s_cselect_b32 s2, -1, 0
	s_cmp_lg_u32 s3, 1
	s_cselect_b32 s3, -1, 0
	s_lshl_b64 s[4:5], s[8:9], 3
	s_delay_alu instid0(SALU_CYCLE_1)
	s_add_u32 s6, s6, s4
	s_addc_u32 s7, s7, s5
	s_add_u32 s13, s6, 8
	s_addc_u32 s14, s7, 0
	;; [unrolled: 2-line block ×3, first 2 shown]
	s_cmp_eq_u64 s[10:11], 0
	s_load_b64 s[10:11], s[0:1], 0x58
	s_cselect_b32 s5, s14, s5
	s_cselect_b32 s4, s13, s4
	s_load_b64 s[16:17], s[6:7], 0x0
	s_load_b64 s[14:15], s[4:5], 0x0
	s_waitcnt lgkmcnt(0)
	v_cmp_ge_i64_e64 s4, s[16:17], s[14:15]
	s_delay_alu instid0(VALU_DEP_1)
	s_and_b32 vcc_lo, exec_lo, s4
	s_cbranch_vccnz .LBB512_12
; %bb.8:
	v_mul_lo_u16 v5, v7, 31
	v_and_b32_e32 v8, 0xffff, v0
	v_and_b32_e32 v6, 0xffff, v13
	s_clause 0x1
	s_load_b128 s[4:7], s[0:1], 0x38
	s_load_b64 s[18:19], s[0:1], 0x48
	s_sub_u32 s0, s14, s12
	v_lshrrev_b16 v5, 9, v5
	s_subb_u32 s1, s15, 0
	s_sub_u32 s14, s16, s12
	s_subb_u32 s15, s17, 0
	v_lshlrev_b32_e32 v9, 2, v0
	v_mul_lo_u16 v5, v5, 17
	s_mul_hi_u32 s13, s14, 0x484
	s_mul_i32 s20, s15, 0x484
	s_mul_i32 s21, s14, 0x484
	s_add_i32 s13, s13, s20
	v_sub_nc_u16 v5, v7, v5
	v_mul_u32_u24_e32 v7, 0xe3, v8
	s_delay_alu instid0(VALU_DEP_2) | instskip(NEXT) | instid1(VALU_DEP_2)
	v_and_b32_e32 v5, 0xff, v5
	v_lshrrev_b32_e32 v14, 16, v7
	s_delay_alu instid0(VALU_DEP_2) | instskip(NEXT) | instid1(VALU_DEP_2)
	v_cndmask_b32_e64 v5, v6, v5, s2
	v_add_co_u32 v6, s2, s16, v14
	s_delay_alu instid0(VALU_DEP_1) | instskip(NEXT) | instid1(VALU_DEP_3)
	v_add_co_ci_u32_e64 v7, null, s17, 0, s2
	v_lshlrev_b32_e32 v8, 3, v5
	s_delay_alu instid0(VALU_DEP_3) | instskip(NEXT) | instid1(VALU_DEP_3)
	v_sub_co_u32 v5, vcc_lo, v6, s12
	v_subrev_co_ci_u32_e32 v6, vcc_lo, 0, v7, vcc_lo
	s_waitcnt lgkmcnt(0)
	s_add_u32 s2, s6, s21
	s_addc_u32 s6, s7, s13
	v_add_co_u32 v7, s7, s18, v8
	v_lshlrev_b64 v[11:12], 3, v[5:6]
	v_mov_b32_e32 v5, 0
	v_mov_b32_e32 v6, 0
	v_add_co_u32 v9, s2, s2, v9
	v_add_co_ci_u32_e64 v8, null, s19, 0, s7
	v_add_co_u32 v11, vcc_lo, s4, v11
	v_add_co_ci_u32_e64 v10, null, s6, 0, s2
	v_add_co_ci_u32_e32 v12, vcc_lo, s5, v12, vcc_lo
	s_set_inst_prefetch_distance 0x1
	s_branch .LBB512_10
	.p2align	6
.LBB512_9:                              ;   in Loop: Header=BB512_10 Depth=1
	s_or_b32 exec_lo, exec_lo, s2
	s_add_u32 s14, s14, 1
	s_addc_u32 s15, s15, 0
	v_add_co_u32 v11, vcc_lo, v11, 8
	v_cmp_lt_i64_e64 s2, s[14:15], s[0:1]
	v_add_co_ci_u32_e32 v12, vcc_lo, 0, v12, vcc_lo
	s_delay_alu instid0(VALU_DEP_2)
	s_and_b32 vcc_lo, exec_lo, s2
	s_cbranch_vccz .LBB512_12
.LBB512_10:                             ; =>This Inner Loop Header: Depth=1
	v_add_co_u32 v15, s2, v14, s14
	s_delay_alu instid0(VALU_DEP_1) | instskip(SKIP_1) | instid1(VALU_DEP_1)
	v_add_co_ci_u32_e64 v16, null, 0, s15, s2
	s_mov_b32 s2, exec_lo
	v_cmpx_gt_i64_e64 s[0:1], v[15:16]
	s_cbranch_execz .LBB512_9
; %bb.11:                               ;   in Loop: Header=BB512_10 Depth=1
	global_load_b64 v[15:16], v[11:12], off
	global_load_b32 v19, v[9:10], off
	s_waitcnt vmcnt(1)
	v_sub_co_u32 v17, vcc_lo, v15, s12
	v_subrev_co_ci_u32_e32 v20, vcc_lo, 0, v16, vcc_lo
	v_add_co_u32 v9, vcc_lo, 0x484, v9
	s_delay_alu instid0(VALU_DEP_3) | instskip(SKIP_1) | instid1(VALU_DEP_2)
	v_mad_u64_u32 v[15:16], null, 0x88, v17, v[7:8]
	v_add_co_ci_u32_e32 v10, vcc_lo, 0, v10, vcc_lo
	v_mad_u64_u32 v[17:18], null, 0x88, v20, v[16:17]
	s_delay_alu instid0(VALU_DEP_1)
	v_mov_b32_e32 v16, v17
	s_waitcnt vmcnt(0)
	v_cvt_f64_f32_e32 v[17:18], v19
	global_load_b64 v[15:16], v[15:16], off
	s_waitcnt vmcnt(0)
	v_fma_f64 v[5:6], v[17:18], v[15:16], v[5:6]
	s_branch .LBB512_9
.LBB512_12:
	s_set_inst_prefetch_distance 0x2
	v_lshlrev_b32_e32 v7, 3, v0
	s_and_b32 vcc_lo, exec_lo, s3
	ds_store_b64 v7, v[5:6]
	s_waitcnt lgkmcnt(0)
	s_barrier
	buffer_gl0_inv
	s_cbranch_vccz .LBB512_24
; %bb.13:
	s_mov_b32 s0, exec_lo
	v_cmpx_eq_u16_e32 0, v13
	s_cbranch_execz .LBB512_15
; %bb.14:
	ds_load_2addr_b64 v[8:11], v7 offset1:16
	s_waitcnt lgkmcnt(0)
	v_add_f64 v[8:9], v[10:11], v[8:9]
	ds_store_b64 v7, v[8:9]
.LBB512_15:
	s_or_b32 exec_lo, exec_lo, s0
	s_delay_alu instid0(SALU_CYCLE_1)
	s_mov_b32 s0, exec_lo
	s_waitcnt lgkmcnt(0)
	s_barrier
	buffer_gl0_inv
	v_cmpx_gt_u16_e32 8, v13
	s_cbranch_execz .LBB512_17
; %bb.16:
	ds_load_2addr_b64 v[8:11], v7 offset1:8
	s_waitcnt lgkmcnt(0)
	v_add_f64 v[8:9], v[10:11], v[8:9]
	ds_store_b64 v7, v[8:9]
.LBB512_17:
	s_or_b32 exec_lo, exec_lo, s0
	s_delay_alu instid0(SALU_CYCLE_1)
	s_mov_b32 s0, exec_lo
	s_waitcnt lgkmcnt(0)
	s_barrier
	buffer_gl0_inv
	v_cmpx_gt_u16_e32 4, v13
	;; [unrolled: 14-line block ×3, first 2 shown]
	s_cbranch_execz .LBB512_21
; %bb.20:
	ds_load_2addr_b64 v[8:11], v7 offset1:2
	s_waitcnt lgkmcnt(0)
	v_add_f64 v[8:9], v[10:11], v[8:9]
	ds_store_b64 v7, v[8:9]
.LBB512_21:
	s_or_b32 exec_lo, exec_lo, s0
	s_mov_b32 s0, 0
	s_mov_b32 s1, 0
	s_mov_b32 s2, exec_lo
	s_waitcnt lgkmcnt(0)
	s_barrier
	buffer_gl0_inv
                                        ; implicit-def: $vgpr8
                                        ; implicit-def: $vgpr9
	v_cmpx_gt_u32_e32 17, v0
	s_xor_b32 s2, exec_lo, s2
; %bb.22:
	v_mad_u32_u24 v8, v0, 17, 1
	v_lshl_add_u32 v9, v0, 7, v7
	s_mov_b32 s1, exec_lo
; %bb.23:
	s_or_b32 exec_lo, exec_lo, s2
	s_delay_alu instid0(SALU_CYCLE_1)
	s_and_b32 vcc_lo, exec_lo, s0
	v_cmp_gt_u32_e64 s0, 17, v0
	s_cbranch_vccnz .LBB512_25
	s_branch .LBB512_36
.LBB512_24:
	s_mov_b32 s1, 0
                                        ; implicit-def: $vgpr8
                                        ; implicit-def: $vgpr9
	v_cmp_gt_u32_e64 s0, 17, v0
	s_cbranch_execz .LBB512_36
.LBB512_25:
	s_delay_alu instid0(VALU_DEP_1)
	s_and_saveexec_b32 s2, s0
	s_cbranch_execz .LBB512_27
; %bb.26:
	ds_load_b64 v[8:9], v7 offset:2176
	ds_load_b64 v[10:11], v7
	s_waitcnt lgkmcnt(0)
	v_add_f64 v[8:9], v[8:9], v[10:11]
	ds_store_b64 v7, v[8:9]
.LBB512_27:
	s_or_b32 exec_lo, exec_lo, s2
	s_delay_alu instid0(SALU_CYCLE_1)
	s_mov_b32 s2, exec_lo
	s_waitcnt lgkmcnt(0)
	s_barrier
	buffer_gl0_inv
	v_cmpx_gt_u32_e32 0x88, v0
	s_cbranch_execz .LBB512_29
; %bb.28:
	ds_load_2addr_b64 v[8:11], v7 offset1:136
	s_waitcnt lgkmcnt(0)
	v_add_f64 v[8:9], v[10:11], v[8:9]
	ds_store_b64 v7, v[8:9]
.LBB512_29:
	s_or_b32 exec_lo, exec_lo, s2
	s_delay_alu instid0(SALU_CYCLE_1)
	s_mov_b32 s2, exec_lo
	s_waitcnt lgkmcnt(0)
	s_barrier
	buffer_gl0_inv
	v_cmpx_gt_u32_e32 0x44, v0
	s_cbranch_execz .LBB512_31
; %bb.30:
	ds_load_2addr_b64 v[8:11], v7 offset1:68
	s_waitcnt lgkmcnt(0)
	v_add_f64 v[8:9], v[10:11], v[8:9]
	ds_store_b64 v7, v[8:9]
.LBB512_31:
	;; [unrolled: 14-line block ×3, first 2 shown]
	s_or_b32 exec_lo, exec_lo, s2
	s_waitcnt lgkmcnt(0)
	buffer_gl0_inv
                                        ; implicit-def: $vgpr8
	s_and_saveexec_b32 s2, s0
; %bb.34:
	v_add_nc_u32_e32 v8, 17, v0
	s_or_b32 s1, s1, exec_lo
                                        ; implicit-def: $vgpr5_vgpr6
; %bb.35:
	s_or_b32 exec_lo, exec_lo, s2
	v_mov_b32_e32 v9, v7
.LBB512_36:
	s_and_saveexec_b32 s0, s1
	s_cbranch_execnz .LBB512_39
; %bb.37:
	s_or_b32 exec_lo, exec_lo, s0
	v_cmp_gt_u32_e32 vcc_lo, 17, v0
	s_and_b32 exec_lo, exec_lo, vcc_lo
	s_cbranch_execnz .LBB512_40
.LBB512_38:
	s_nop 0
	s_sendmsg sendmsg(MSG_DEALLOC_VGPRS)
	s_endpgm
.LBB512_39:
	v_lshlrev_b32_e32 v7, 3, v8
	ds_load_b64 v[5:6], v9
	ds_load_b64 v[7:8], v7
	s_waitcnt lgkmcnt(0)
	v_add_f64 v[5:6], v[5:6], v[7:8]
	s_or_b32 exec_lo, exec_lo, s0
	v_cmp_gt_u32_e32 vcc_lo, 17, v0
	s_and_b32 exec_lo, exec_lo, vcc_lo
	s_cbranch_execz .LBB512_38
.LBB512_40:
	s_delay_alu instid0(VALU_DEP_2)
	v_mul_f64 v[3:4], v[3:4], v[5:6]
	s_mul_i32 s0, s9, 0x88
	s_mul_hi_u32 s1, s8, 0x88
	s_mul_i32 s2, s8, 0x88
	s_mov_b32 s3, exec_lo
	v_cmpx_eq_f64_e32 0, v[1:2]
	s_xor_b32 s3, exec_lo, s3
	s_cbranch_execz .LBB512_42
; %bb.41:
	v_lshlrev_b32_e32 v0, 3, v0
	s_add_i32 s5, s1, s0
	s_add_u32 s4, s10, s2
	s_addc_u32 s5, s11, s5
                                        ; implicit-def: $vgpr1_vgpr2
	global_store_b64 v0, v[3:4], s[4:5]
                                        ; implicit-def: $vgpr0
                                        ; implicit-def: $vgpr3_vgpr4
.LBB512_42:
	s_and_not1_saveexec_b32 s3, s3
	s_cbranch_execz .LBB512_38
; %bb.43:
	v_lshlrev_b32_e32 v7, 3, v0
	s_add_i32 s1, s1, s0
	s_add_u32 s0, s10, s2
	s_addc_u32 s1, s11, s1
	global_load_b64 v[5:6], v7, s[0:1]
	s_waitcnt vmcnt(0)
	v_fma_f64 v[0:1], v[1:2], v[5:6], v[3:4]
	global_store_b64 v7, v[0:1], s[0:1]
	s_nop 0
	s_sendmsg sendmsg(MSG_DEALLOC_VGPRS)
	s_endpgm
	.section	.rodata,"a",@progbits
	.p2align	6, 0x0
	.amdhsa_kernel _ZN9rocsparseL20bsrxmvn_17_32_kernelILj17EdllfddEEvT2_20rocsparse_direction_NS_24const_host_device_scalarIT0_EES1_PKS1_PKT1_SA_S7_PKT3_PKT4_S5_PT5_21rocsparse_index_base_b
		.amdhsa_group_segment_fixed_size 2312
		.amdhsa_private_segment_fixed_size 0
		.amdhsa_kernarg_size 104
		.amdhsa_user_sgpr_count 15
		.amdhsa_user_sgpr_dispatch_ptr 0
		.amdhsa_user_sgpr_queue_ptr 0
		.amdhsa_user_sgpr_kernarg_segment_ptr 1
		.amdhsa_user_sgpr_dispatch_id 0
		.amdhsa_user_sgpr_private_segment_size 0
		.amdhsa_wavefront_size32 1
		.amdhsa_uses_dynamic_stack 0
		.amdhsa_enable_private_segment 0
		.amdhsa_system_sgpr_workgroup_id_x 1
		.amdhsa_system_sgpr_workgroup_id_y 0
		.amdhsa_system_sgpr_workgroup_id_z 0
		.amdhsa_system_sgpr_workgroup_info 0
		.amdhsa_system_vgpr_workitem_id 0
		.amdhsa_next_free_vgpr 21
		.amdhsa_next_free_sgpr 22
		.amdhsa_reserve_vcc 1
		.amdhsa_float_round_mode_32 0
		.amdhsa_float_round_mode_16_64 0
		.amdhsa_float_denorm_mode_32 3
		.amdhsa_float_denorm_mode_16_64 3
		.amdhsa_dx10_clamp 1
		.amdhsa_ieee_mode 1
		.amdhsa_fp16_overflow 0
		.amdhsa_workgroup_processor_mode 1
		.amdhsa_memory_ordered 1
		.amdhsa_forward_progress 0
		.amdhsa_shared_vgpr_count 0
		.amdhsa_exception_fp_ieee_invalid_op 0
		.amdhsa_exception_fp_denorm_src 0
		.amdhsa_exception_fp_ieee_div_zero 0
		.amdhsa_exception_fp_ieee_overflow 0
		.amdhsa_exception_fp_ieee_underflow 0
		.amdhsa_exception_fp_ieee_inexact 0
		.amdhsa_exception_int_div_zero 0
	.end_amdhsa_kernel
	.section	.text._ZN9rocsparseL20bsrxmvn_17_32_kernelILj17EdllfddEEvT2_20rocsparse_direction_NS_24const_host_device_scalarIT0_EES1_PKS1_PKT1_SA_S7_PKT3_PKT4_S5_PT5_21rocsparse_index_base_b,"axG",@progbits,_ZN9rocsparseL20bsrxmvn_17_32_kernelILj17EdllfddEEvT2_20rocsparse_direction_NS_24const_host_device_scalarIT0_EES1_PKS1_PKT1_SA_S7_PKT3_PKT4_S5_PT5_21rocsparse_index_base_b,comdat
.Lfunc_end512:
	.size	_ZN9rocsparseL20bsrxmvn_17_32_kernelILj17EdllfddEEvT2_20rocsparse_direction_NS_24const_host_device_scalarIT0_EES1_PKS1_PKT1_SA_S7_PKT3_PKT4_S5_PT5_21rocsparse_index_base_b, .Lfunc_end512-_ZN9rocsparseL20bsrxmvn_17_32_kernelILj17EdllfddEEvT2_20rocsparse_direction_NS_24const_host_device_scalarIT0_EES1_PKS1_PKT1_SA_S7_PKT3_PKT4_S5_PT5_21rocsparse_index_base_b
                                        ; -- End function
	.section	.AMDGPU.csdata,"",@progbits
; Kernel info:
; codeLenInByte = 1736
; NumSgprs: 24
; NumVgprs: 21
; ScratchSize: 0
; MemoryBound: 0
; FloatMode: 240
; IeeeMode: 1
; LDSByteSize: 2312 bytes/workgroup (compile time only)
; SGPRBlocks: 2
; VGPRBlocks: 2
; NumSGPRsForWavesPerEU: 24
; NumVGPRsForWavesPerEU: 21
; Occupancy: 15
; WaveLimiterHint : 1
; COMPUTE_PGM_RSRC2:SCRATCH_EN: 0
; COMPUTE_PGM_RSRC2:USER_SGPR: 15
; COMPUTE_PGM_RSRC2:TRAP_HANDLER: 0
; COMPUTE_PGM_RSRC2:TGID_X_EN: 1
; COMPUTE_PGM_RSRC2:TGID_Y_EN: 0
; COMPUTE_PGM_RSRC2:TGID_Z_EN: 0
; COMPUTE_PGM_RSRC2:TIDIG_COMP_CNT: 0
	.section	.text._ZN9rocsparseL20bsrxmvn_17_32_kernelILj18EdllfddEEvT2_20rocsparse_direction_NS_24const_host_device_scalarIT0_EES1_PKS1_PKT1_SA_S7_PKT3_PKT4_S5_PT5_21rocsparse_index_base_b,"axG",@progbits,_ZN9rocsparseL20bsrxmvn_17_32_kernelILj18EdllfddEEvT2_20rocsparse_direction_NS_24const_host_device_scalarIT0_EES1_PKS1_PKT1_SA_S7_PKT3_PKT4_S5_PT5_21rocsparse_index_base_b,comdat
	.globl	_ZN9rocsparseL20bsrxmvn_17_32_kernelILj18EdllfddEEvT2_20rocsparse_direction_NS_24const_host_device_scalarIT0_EES1_PKS1_PKT1_SA_S7_PKT3_PKT4_S5_PT5_21rocsparse_index_base_b ; -- Begin function _ZN9rocsparseL20bsrxmvn_17_32_kernelILj18EdllfddEEvT2_20rocsparse_direction_NS_24const_host_device_scalarIT0_EES1_PKS1_PKT1_SA_S7_PKT3_PKT4_S5_PT5_21rocsparse_index_base_b
	.p2align	8
	.type	_ZN9rocsparseL20bsrxmvn_17_32_kernelILj18EdllfddEEvT2_20rocsparse_direction_NS_24const_host_device_scalarIT0_EES1_PKS1_PKT1_SA_S7_PKT3_PKT4_S5_PT5_21rocsparse_index_base_b,@function
_ZN9rocsparseL20bsrxmvn_17_32_kernelILj18EdllfddEEvT2_20rocsparse_direction_NS_24const_host_device_scalarIT0_EES1_PKS1_PKT1_SA_S7_PKT3_PKT4_S5_PT5_21rocsparse_index_base_b: ; @_ZN9rocsparseL20bsrxmvn_17_32_kernelILj18EdllfddEEvT2_20rocsparse_direction_NS_24const_host_device_scalarIT0_EES1_PKS1_PKT1_SA_S7_PKT3_PKT4_S5_PT5_21rocsparse_index_base_b
; %bb.0:
	s_clause 0x2
	s_load_b64 s[12:13], s[0:1], 0x60
	s_load_b64 s[4:5], s[0:1], 0x10
	;; [unrolled: 1-line block ×3, first 2 shown]
	s_mov_b32 s8, s15
	s_waitcnt lgkmcnt(0)
	s_bitcmp1_b32 s13, 0
	v_dual_mov_b32 v3, s4 :: v_dual_mov_b32 v4, s5
	s_cselect_b32 s6, -1, 0
	s_delay_alu instid0(SALU_CYCLE_1)
	s_and_b32 vcc_lo, exec_lo, s6
	s_xor_b32 s6, s6, -1
	s_cbranch_vccnz .LBB513_2
; %bb.1:
	v_dual_mov_b32 v1, s4 :: v_dual_mov_b32 v2, s5
	flat_load_b64 v[3:4], v[1:2]
.LBB513_2:
	v_dual_mov_b32 v1, s2 :: v_dual_mov_b32 v2, s3
	s_and_not1_b32 vcc_lo, exec_lo, s6
	s_cbranch_vccnz .LBB513_4
; %bb.3:
	v_dual_mov_b32 v1, s2 :: v_dual_mov_b32 v2, s3
	flat_load_b64 v[1:2], v[1:2]
.LBB513_4:
	s_waitcnt vmcnt(0) lgkmcnt(0)
	v_cmp_neq_f64_e32 vcc_lo, 0, v[3:4]
	v_cmp_neq_f64_e64 s2, 1.0, v[1:2]
	s_delay_alu instid0(VALU_DEP_1) | instskip(NEXT) | instid1(SALU_CYCLE_1)
	s_or_b32 s2, vcc_lo, s2
	s_and_saveexec_b32 s3, s2
	s_cbranch_execz .LBB513_38
; %bb.5:
	s_clause 0x1
	s_load_b128 s[4:7], s[0:1], 0x20
	s_load_b64 s[10:11], s[0:1], 0x30
	s_mov_b32 s9, 0
	s_waitcnt lgkmcnt(0)
	s_cmp_eq_u64 s[4:5], 0
	s_cbranch_scc1 .LBB513_7
; %bb.6:
	s_lshl_b64 s[2:3], s[8:9], 3
	s_delay_alu instid0(SALU_CYCLE_1)
	s_add_u32 s2, s4, s2
	s_addc_u32 s3, s5, s3
	s_load_b64 s[2:3], s[2:3], 0x0
	s_waitcnt lgkmcnt(0)
	s_sub_u32 s8, s2, s12
	s_subb_u32 s9, s3, 0
.LBB513_7:
	s_load_b32 s3, s[0:1], 0x8
	v_mul_u32_u24_e32 v5, 0xe39, v0
	s_delay_alu instid0(VALU_DEP_1) | instskip(NEXT) | instid1(VALU_DEP_1)
	v_lshrrev_b32_e32 v7, 16, v5
	v_mul_lo_u16 v5, v7, 18
	s_delay_alu instid0(VALU_DEP_1)
	v_sub_nc_u16 v13, v0, v5
	v_mov_b32_e32 v5, 0
	v_mov_b32_e32 v6, 0
	s_waitcnt lgkmcnt(0)
	s_cmp_eq_u32 s3, 1
	s_cselect_b32 s2, -1, 0
	s_cmp_lg_u32 s3, 1
	s_cselect_b32 s3, -1, 0
	s_lshl_b64 s[4:5], s[8:9], 3
	s_delay_alu instid0(SALU_CYCLE_1)
	s_add_u32 s6, s6, s4
	s_addc_u32 s7, s7, s5
	s_add_u32 s13, s6, 8
	s_addc_u32 s14, s7, 0
	;; [unrolled: 2-line block ×3, first 2 shown]
	s_cmp_eq_u64 s[10:11], 0
	s_load_b64 s[10:11], s[0:1], 0x58
	s_cselect_b32 s5, s14, s5
	s_cselect_b32 s4, s13, s4
	s_load_b64 s[16:17], s[6:7], 0x0
	s_load_b64 s[14:15], s[4:5], 0x0
	s_waitcnt lgkmcnt(0)
	v_cmp_ge_i64_e64 s4, s[16:17], s[14:15]
	s_delay_alu instid0(VALU_DEP_1)
	s_and_b32 vcc_lo, exec_lo, s4
	s_cbranch_vccnz .LBB513_12
; %bb.8:
	v_mul_lo_u16 v5, v7, 15
	v_and_b32_e32 v8, 0xffff, v0
	v_and_b32_e32 v6, 0xffff, v13
	s_clause 0x1
	s_load_b128 s[4:7], s[0:1], 0x38
	s_load_b64 s[18:19], s[0:1], 0x48
	s_sub_u32 s0, s14, s12
	v_lshrrev_b16 v5, 8, v5
	s_subb_u32 s1, s15, 0
	s_sub_u32 s14, s16, s12
	s_subb_u32 s15, s17, 0
	v_lshlrev_b32_e32 v9, 2, v0
	v_mul_lo_u16 v5, v5, 18
	s_mul_hi_u32 s13, s14, 0x510
	s_mul_i32 s20, s15, 0x510
	s_mul_i32 s21, s14, 0x510
	s_add_i32 s13, s13, s20
	v_sub_nc_u16 v5, v7, v5
	v_mul_u32_u24_e32 v7, 0x195, v8
	s_delay_alu instid0(VALU_DEP_2) | instskip(NEXT) | instid1(VALU_DEP_2)
	v_and_b32_e32 v5, 0xff, v5
	v_lshrrev_b32_e32 v14, 17, v7
	s_delay_alu instid0(VALU_DEP_2) | instskip(NEXT) | instid1(VALU_DEP_2)
	v_cndmask_b32_e64 v5, v6, v5, s2
	v_add_co_u32 v6, s2, s16, v14
	s_delay_alu instid0(VALU_DEP_1) | instskip(NEXT) | instid1(VALU_DEP_3)
	v_add_co_ci_u32_e64 v7, null, s17, 0, s2
	v_lshlrev_b32_e32 v8, 3, v5
	s_delay_alu instid0(VALU_DEP_3) | instskip(NEXT) | instid1(VALU_DEP_3)
	v_sub_co_u32 v5, vcc_lo, v6, s12
	v_subrev_co_ci_u32_e32 v6, vcc_lo, 0, v7, vcc_lo
	s_waitcnt lgkmcnt(0)
	s_add_u32 s2, s6, s21
	s_addc_u32 s6, s7, s13
	v_add_co_u32 v7, s7, s18, v8
	v_lshlrev_b64 v[11:12], 3, v[5:6]
	v_mov_b32_e32 v5, 0
	v_mov_b32_e32 v6, 0
	v_add_co_u32 v9, s2, s2, v9
	v_add_co_ci_u32_e64 v8, null, s19, 0, s7
	v_add_co_u32 v11, vcc_lo, s4, v11
	v_add_co_ci_u32_e64 v10, null, s6, 0, s2
	v_add_co_ci_u32_e32 v12, vcc_lo, s5, v12, vcc_lo
	s_set_inst_prefetch_distance 0x1
	s_branch .LBB513_10
	.p2align	6
.LBB513_9:                              ;   in Loop: Header=BB513_10 Depth=1
	s_or_b32 exec_lo, exec_lo, s2
	s_add_u32 s14, s14, 1
	s_addc_u32 s15, s15, 0
	v_add_co_u32 v11, vcc_lo, v11, 8
	v_cmp_lt_i64_e64 s2, s[14:15], s[0:1]
	v_add_co_ci_u32_e32 v12, vcc_lo, 0, v12, vcc_lo
	s_delay_alu instid0(VALU_DEP_2)
	s_and_b32 vcc_lo, exec_lo, s2
	s_cbranch_vccz .LBB513_12
.LBB513_10:                             ; =>This Inner Loop Header: Depth=1
	v_add_co_u32 v15, s2, v14, s14
	s_delay_alu instid0(VALU_DEP_1) | instskip(SKIP_1) | instid1(VALU_DEP_1)
	v_add_co_ci_u32_e64 v16, null, 0, s15, s2
	s_mov_b32 s2, exec_lo
	v_cmpx_gt_i64_e64 s[0:1], v[15:16]
	s_cbranch_execz .LBB513_9
; %bb.11:                               ;   in Loop: Header=BB513_10 Depth=1
	global_load_b64 v[15:16], v[11:12], off
	global_load_b32 v19, v[9:10], off
	s_waitcnt vmcnt(1)
	v_sub_co_u32 v17, vcc_lo, v15, s12
	v_subrev_co_ci_u32_e32 v20, vcc_lo, 0, v16, vcc_lo
	v_add_co_u32 v9, vcc_lo, 0x510, v9
	s_delay_alu instid0(VALU_DEP_3) | instskip(SKIP_1) | instid1(VALU_DEP_2)
	v_mad_u64_u32 v[15:16], null, 0x90, v17, v[7:8]
	v_add_co_ci_u32_e32 v10, vcc_lo, 0, v10, vcc_lo
	v_mad_u64_u32 v[17:18], null, 0x90, v20, v[16:17]
	s_delay_alu instid0(VALU_DEP_1)
	v_mov_b32_e32 v16, v17
	s_waitcnt vmcnt(0)
	v_cvt_f64_f32_e32 v[17:18], v19
	global_load_b64 v[15:16], v[15:16], off
	s_waitcnt vmcnt(0)
	v_fma_f64 v[5:6], v[17:18], v[15:16], v[5:6]
	s_branch .LBB513_9
.LBB513_12:
	s_set_inst_prefetch_distance 0x2
	v_lshlrev_b32_e32 v7, 3, v0
	s_and_b32 vcc_lo, exec_lo, s3
	ds_store_b64 v7, v[5:6]
	s_waitcnt lgkmcnt(0)
	s_barrier
	buffer_gl0_inv
	s_cbranch_vccz .LBB513_24
; %bb.13:
	v_cmp_gt_u16_e32 vcc_lo, 2, v13
	s_and_saveexec_b32 s0, vcc_lo
	s_cbranch_execz .LBB513_15
; %bb.14:
	ds_load_2addr_b64 v[8:11], v7 offset1:16
	s_waitcnt lgkmcnt(0)
	v_add_f64 v[8:9], v[10:11], v[8:9]
	ds_store_b64 v7, v[8:9]
.LBB513_15:
	s_or_b32 exec_lo, exec_lo, s0
	s_delay_alu instid0(SALU_CYCLE_1)
	s_mov_b32 s1, exec_lo
	s_waitcnt lgkmcnt(0)
	s_barrier
	buffer_gl0_inv
	v_cmpx_gt_u16_e32 8, v13
	s_cbranch_execz .LBB513_17
; %bb.16:
	ds_load_2addr_b64 v[8:11], v7 offset1:8
	s_waitcnt lgkmcnt(0)
	v_add_f64 v[8:9], v[10:11], v[8:9]
	ds_store_b64 v7, v[8:9]
.LBB513_17:
	s_or_b32 exec_lo, exec_lo, s1
	s_delay_alu instid0(SALU_CYCLE_1)
	s_mov_b32 s1, exec_lo
	s_waitcnt lgkmcnt(0)
	s_barrier
	buffer_gl0_inv
	v_cmpx_gt_u16_e32 4, v13
	s_cbranch_execz .LBB513_19
; %bb.18:
	ds_load_2addr_b64 v[8:11], v7 offset1:4
	s_waitcnt lgkmcnt(0)
	v_add_f64 v[8:9], v[10:11], v[8:9]
	ds_store_b64 v7, v[8:9]
.LBB513_19:
	s_or_b32 exec_lo, exec_lo, s1
	s_waitcnt lgkmcnt(0)
	s_barrier
	buffer_gl0_inv
	s_and_saveexec_b32 s0, vcc_lo
	s_cbranch_execz .LBB513_21
; %bb.20:
	ds_load_2addr_b64 v[8:11], v7 offset1:2
	s_waitcnt lgkmcnt(0)
	v_add_f64 v[8:9], v[10:11], v[8:9]
	ds_store_b64 v7, v[8:9]
.LBB513_21:
	s_or_b32 exec_lo, exec_lo, s0
	s_mov_b32 s0, 0
	s_mov_b32 s1, 0
	s_mov_b32 s2, exec_lo
	s_waitcnt lgkmcnt(0)
	s_barrier
	buffer_gl0_inv
                                        ; implicit-def: $vgpr8
                                        ; implicit-def: $vgpr9
	v_cmpx_gt_u32_e32 18, v0
	s_xor_b32 s2, exec_lo, s2
; %bb.22:
	v_mul_u32_u24_e32 v8, 18, v0
	v_mad_u32_u24 v9, 0x88, v0, v7
	s_mov_b32 s1, exec_lo
	s_delay_alu instid0(VALU_DEP_2)
	v_or_b32_e32 v8, 1, v8
; %bb.23:
	s_or_b32 exec_lo, exec_lo, s2
	s_delay_alu instid0(SALU_CYCLE_1)
	s_and_b32 vcc_lo, exec_lo, s0
	s_cbranch_vccnz .LBB513_25
	s_branch .LBB513_36
.LBB513_24:
	s_mov_b32 s1, 0
                                        ; implicit-def: $vgpr8
                                        ; implicit-def: $vgpr9
	s_cbranch_execz .LBB513_36
.LBB513_25:
	v_cmp_gt_u32_e32 vcc_lo, 36, v0
	s_and_saveexec_b32 s0, vcc_lo
	s_cbranch_execz .LBB513_27
; %bb.26:
	ds_load_b64 v[8:9], v7 offset:2304
	ds_load_b64 v[10:11], v7
	s_waitcnt lgkmcnt(0)
	v_add_f64 v[8:9], v[8:9], v[10:11]
	ds_store_b64 v7, v[8:9]
.LBB513_27:
	s_or_b32 exec_lo, exec_lo, s0
	s_delay_alu instid0(SALU_CYCLE_1)
	s_mov_b32 s2, exec_lo
	s_waitcnt lgkmcnt(0)
	s_barrier
	buffer_gl0_inv
	v_cmpx_gt_u32_e32 0x90, v0
	s_cbranch_execz .LBB513_29
; %bb.28:
	ds_load_2addr_b64 v[8:11], v7 offset1:144
	s_waitcnt lgkmcnt(0)
	v_add_f64 v[8:9], v[10:11], v[8:9]
	ds_store_b64 v7, v[8:9]
.LBB513_29:
	s_or_b32 exec_lo, exec_lo, s2
	s_delay_alu instid0(SALU_CYCLE_1)
	s_mov_b32 s2, exec_lo
	s_waitcnt lgkmcnt(0)
	s_barrier
	buffer_gl0_inv
	v_cmpx_gt_u32_e32 0x48, v0
	s_cbranch_execz .LBB513_31
; %bb.30:
	ds_load_2addr_b64 v[8:11], v7 offset1:72
	s_waitcnt lgkmcnt(0)
	v_add_f64 v[8:9], v[10:11], v[8:9]
	ds_store_b64 v7, v[8:9]
.LBB513_31:
	s_or_b32 exec_lo, exec_lo, s2
	s_waitcnt lgkmcnt(0)
	s_barrier
	buffer_gl0_inv
	s_and_saveexec_b32 s0, vcc_lo
	s_cbranch_execz .LBB513_33
; %bb.32:
	ds_load_2addr_b64 v[8:11], v7 offset1:36
	s_waitcnt lgkmcnt(0)
	v_add_f64 v[8:9], v[10:11], v[8:9]
	ds_store_b64 v7, v[8:9]
.LBB513_33:
	s_or_b32 exec_lo, exec_lo, s0
	s_delay_alu instid0(SALU_CYCLE_1)
	s_mov_b32 s0, exec_lo
	s_waitcnt lgkmcnt(0)
	buffer_gl0_inv
                                        ; implicit-def: $vgpr8
	v_cmpx_gt_u32_e32 18, v0
; %bb.34:
	v_add_nc_u32_e32 v8, 18, v0
	s_or_b32 s1, s1, exec_lo
                                        ; implicit-def: $vgpr5_vgpr6
; %bb.35:
	s_or_b32 exec_lo, exec_lo, s0
	v_mov_b32_e32 v9, v7
.LBB513_36:
	s_and_saveexec_b32 s0, s1
	s_cbranch_execnz .LBB513_39
; %bb.37:
	s_or_b32 exec_lo, exec_lo, s0
	v_cmp_gt_u32_e32 vcc_lo, 18, v0
	s_and_b32 exec_lo, exec_lo, vcc_lo
	s_cbranch_execnz .LBB513_40
.LBB513_38:
	s_nop 0
	s_sendmsg sendmsg(MSG_DEALLOC_VGPRS)
	s_endpgm
.LBB513_39:
	v_lshlrev_b32_e32 v7, 3, v8
	ds_load_b64 v[5:6], v9
	ds_load_b64 v[7:8], v7
	s_waitcnt lgkmcnt(0)
	v_add_f64 v[5:6], v[5:6], v[7:8]
	s_or_b32 exec_lo, exec_lo, s0
	v_cmp_gt_u32_e32 vcc_lo, 18, v0
	s_and_b32 exec_lo, exec_lo, vcc_lo
	s_cbranch_execz .LBB513_38
.LBB513_40:
	s_delay_alu instid0(VALU_DEP_2)
	v_mul_f64 v[3:4], v[3:4], v[5:6]
	s_mul_i32 s0, s9, 0x90
	s_mul_hi_u32 s1, s8, 0x90
	s_mul_i32 s2, s8, 0x90
	s_mov_b32 s3, exec_lo
	v_cmpx_eq_f64_e32 0, v[1:2]
	s_xor_b32 s3, exec_lo, s3
	s_cbranch_execz .LBB513_42
; %bb.41:
	v_lshlrev_b32_e32 v0, 3, v0
	s_add_i32 s5, s1, s0
	s_add_u32 s4, s10, s2
	s_addc_u32 s5, s11, s5
                                        ; implicit-def: $vgpr1_vgpr2
	global_store_b64 v0, v[3:4], s[4:5]
                                        ; implicit-def: $vgpr0
                                        ; implicit-def: $vgpr3_vgpr4
.LBB513_42:
	s_and_not1_saveexec_b32 s3, s3
	s_cbranch_execz .LBB513_38
; %bb.43:
	v_lshlrev_b32_e32 v7, 3, v0
	s_add_i32 s1, s1, s0
	s_add_u32 s0, s10, s2
	s_addc_u32 s1, s11, s1
	global_load_b64 v[5:6], v7, s[0:1]
	s_waitcnt vmcnt(0)
	v_fma_f64 v[0:1], v[1:2], v[5:6], v[3:4]
	global_store_b64 v7, v[0:1], s[0:1]
	s_nop 0
	s_sendmsg sendmsg(MSG_DEALLOC_VGPRS)
	s_endpgm
	.section	.rodata,"a",@progbits
	.p2align	6, 0x0
	.amdhsa_kernel _ZN9rocsparseL20bsrxmvn_17_32_kernelILj18EdllfddEEvT2_20rocsparse_direction_NS_24const_host_device_scalarIT0_EES1_PKS1_PKT1_SA_S7_PKT3_PKT4_S5_PT5_21rocsparse_index_base_b
		.amdhsa_group_segment_fixed_size 2592
		.amdhsa_private_segment_fixed_size 0
		.amdhsa_kernarg_size 104
		.amdhsa_user_sgpr_count 15
		.amdhsa_user_sgpr_dispatch_ptr 0
		.amdhsa_user_sgpr_queue_ptr 0
		.amdhsa_user_sgpr_kernarg_segment_ptr 1
		.amdhsa_user_sgpr_dispatch_id 0
		.amdhsa_user_sgpr_private_segment_size 0
		.amdhsa_wavefront_size32 1
		.amdhsa_uses_dynamic_stack 0
		.amdhsa_enable_private_segment 0
		.amdhsa_system_sgpr_workgroup_id_x 1
		.amdhsa_system_sgpr_workgroup_id_y 0
		.amdhsa_system_sgpr_workgroup_id_z 0
		.amdhsa_system_sgpr_workgroup_info 0
		.amdhsa_system_vgpr_workitem_id 0
		.amdhsa_next_free_vgpr 21
		.amdhsa_next_free_sgpr 22
		.amdhsa_reserve_vcc 1
		.amdhsa_float_round_mode_32 0
		.amdhsa_float_round_mode_16_64 0
		.amdhsa_float_denorm_mode_32 3
		.amdhsa_float_denorm_mode_16_64 3
		.amdhsa_dx10_clamp 1
		.amdhsa_ieee_mode 1
		.amdhsa_fp16_overflow 0
		.amdhsa_workgroup_processor_mode 1
		.amdhsa_memory_ordered 1
		.amdhsa_forward_progress 0
		.amdhsa_shared_vgpr_count 0
		.amdhsa_exception_fp_ieee_invalid_op 0
		.amdhsa_exception_fp_denorm_src 0
		.amdhsa_exception_fp_ieee_div_zero 0
		.amdhsa_exception_fp_ieee_overflow 0
		.amdhsa_exception_fp_ieee_underflow 0
		.amdhsa_exception_fp_ieee_inexact 0
		.amdhsa_exception_int_div_zero 0
	.end_amdhsa_kernel
	.section	.text._ZN9rocsparseL20bsrxmvn_17_32_kernelILj18EdllfddEEvT2_20rocsparse_direction_NS_24const_host_device_scalarIT0_EES1_PKS1_PKT1_SA_S7_PKT3_PKT4_S5_PT5_21rocsparse_index_base_b,"axG",@progbits,_ZN9rocsparseL20bsrxmvn_17_32_kernelILj18EdllfddEEvT2_20rocsparse_direction_NS_24const_host_device_scalarIT0_EES1_PKS1_PKT1_SA_S7_PKT3_PKT4_S5_PT5_21rocsparse_index_base_b,comdat
.Lfunc_end513:
	.size	_ZN9rocsparseL20bsrxmvn_17_32_kernelILj18EdllfddEEvT2_20rocsparse_direction_NS_24const_host_device_scalarIT0_EES1_PKS1_PKT1_SA_S7_PKT3_PKT4_S5_PT5_21rocsparse_index_base_b, .Lfunc_end513-_ZN9rocsparseL20bsrxmvn_17_32_kernelILj18EdllfddEEvT2_20rocsparse_direction_NS_24const_host_device_scalarIT0_EES1_PKS1_PKT1_SA_S7_PKT3_PKT4_S5_PT5_21rocsparse_index_base_b
                                        ; -- End function
	.section	.AMDGPU.csdata,"",@progbits
; Kernel info:
; codeLenInByte = 1720
; NumSgprs: 24
; NumVgprs: 21
; ScratchSize: 0
; MemoryBound: 0
; FloatMode: 240
; IeeeMode: 1
; LDSByteSize: 2592 bytes/workgroup (compile time only)
; SGPRBlocks: 2
; VGPRBlocks: 2
; NumSGPRsForWavesPerEU: 24
; NumVGPRsForWavesPerEU: 21
; Occupancy: 14
; WaveLimiterHint : 1
; COMPUTE_PGM_RSRC2:SCRATCH_EN: 0
; COMPUTE_PGM_RSRC2:USER_SGPR: 15
; COMPUTE_PGM_RSRC2:TRAP_HANDLER: 0
; COMPUTE_PGM_RSRC2:TGID_X_EN: 1
; COMPUTE_PGM_RSRC2:TGID_Y_EN: 0
; COMPUTE_PGM_RSRC2:TGID_Z_EN: 0
; COMPUTE_PGM_RSRC2:TIDIG_COMP_CNT: 0
	.section	.text._ZN9rocsparseL20bsrxmvn_17_32_kernelILj19EdllfddEEvT2_20rocsparse_direction_NS_24const_host_device_scalarIT0_EES1_PKS1_PKT1_SA_S7_PKT3_PKT4_S5_PT5_21rocsparse_index_base_b,"axG",@progbits,_ZN9rocsparseL20bsrxmvn_17_32_kernelILj19EdllfddEEvT2_20rocsparse_direction_NS_24const_host_device_scalarIT0_EES1_PKS1_PKT1_SA_S7_PKT3_PKT4_S5_PT5_21rocsparse_index_base_b,comdat
	.globl	_ZN9rocsparseL20bsrxmvn_17_32_kernelILj19EdllfddEEvT2_20rocsparse_direction_NS_24const_host_device_scalarIT0_EES1_PKS1_PKT1_SA_S7_PKT3_PKT4_S5_PT5_21rocsparse_index_base_b ; -- Begin function _ZN9rocsparseL20bsrxmvn_17_32_kernelILj19EdllfddEEvT2_20rocsparse_direction_NS_24const_host_device_scalarIT0_EES1_PKS1_PKT1_SA_S7_PKT3_PKT4_S5_PT5_21rocsparse_index_base_b
	.p2align	8
	.type	_ZN9rocsparseL20bsrxmvn_17_32_kernelILj19EdllfddEEvT2_20rocsparse_direction_NS_24const_host_device_scalarIT0_EES1_PKS1_PKT1_SA_S7_PKT3_PKT4_S5_PT5_21rocsparse_index_base_b,@function
_ZN9rocsparseL20bsrxmvn_17_32_kernelILj19EdllfddEEvT2_20rocsparse_direction_NS_24const_host_device_scalarIT0_EES1_PKS1_PKT1_SA_S7_PKT3_PKT4_S5_PT5_21rocsparse_index_base_b: ; @_ZN9rocsparseL20bsrxmvn_17_32_kernelILj19EdllfddEEvT2_20rocsparse_direction_NS_24const_host_device_scalarIT0_EES1_PKS1_PKT1_SA_S7_PKT3_PKT4_S5_PT5_21rocsparse_index_base_b
; %bb.0:
	s_clause 0x2
	s_load_b64 s[12:13], s[0:1], 0x60
	s_load_b64 s[4:5], s[0:1], 0x10
	;; [unrolled: 1-line block ×3, first 2 shown]
	s_mov_b32 s8, s15
	s_waitcnt lgkmcnt(0)
	s_bitcmp1_b32 s13, 0
	v_dual_mov_b32 v3, s4 :: v_dual_mov_b32 v4, s5
	s_cselect_b32 s6, -1, 0
	s_delay_alu instid0(SALU_CYCLE_1)
	s_and_b32 vcc_lo, exec_lo, s6
	s_xor_b32 s6, s6, -1
	s_cbranch_vccnz .LBB514_2
; %bb.1:
	v_dual_mov_b32 v1, s4 :: v_dual_mov_b32 v2, s5
	flat_load_b64 v[3:4], v[1:2]
.LBB514_2:
	v_dual_mov_b32 v1, s2 :: v_dual_mov_b32 v2, s3
	s_and_not1_b32 vcc_lo, exec_lo, s6
	s_cbranch_vccnz .LBB514_4
; %bb.3:
	v_dual_mov_b32 v1, s2 :: v_dual_mov_b32 v2, s3
	flat_load_b64 v[1:2], v[1:2]
.LBB514_4:
	s_waitcnt vmcnt(0) lgkmcnt(0)
	v_cmp_neq_f64_e32 vcc_lo, 0, v[3:4]
	v_cmp_neq_f64_e64 s2, 1.0, v[1:2]
	s_delay_alu instid0(VALU_DEP_1) | instskip(NEXT) | instid1(SALU_CYCLE_1)
	s_or_b32 s2, vcc_lo, s2
	s_and_saveexec_b32 s3, s2
	s_cbranch_execz .LBB514_38
; %bb.5:
	s_clause 0x1
	s_load_b128 s[4:7], s[0:1], 0x20
	s_load_b64 s[10:11], s[0:1], 0x30
	s_mov_b32 s9, 0
	s_waitcnt lgkmcnt(0)
	s_cmp_eq_u64 s[4:5], 0
	s_cbranch_scc1 .LBB514_7
; %bb.6:
	s_lshl_b64 s[2:3], s[8:9], 3
	s_delay_alu instid0(SALU_CYCLE_1)
	s_add_u32 s2, s4, s2
	s_addc_u32 s3, s5, s3
	s_load_b64 s[2:3], s[2:3], 0x0
	s_waitcnt lgkmcnt(0)
	s_sub_u32 s8, s2, s12
	s_subb_u32 s9, s3, 0
.LBB514_7:
	s_load_b32 s3, s[0:1], 0x8
	v_mul_u32_u24_e32 v5, 0xd7a, v0
	s_delay_alu instid0(VALU_DEP_1) | instskip(NEXT) | instid1(VALU_DEP_1)
	v_lshrrev_b32_e32 v7, 16, v5
	v_mul_lo_u16 v5, v7, 19
	s_delay_alu instid0(VALU_DEP_1)
	v_sub_nc_u16 v13, v0, v5
	v_mov_b32_e32 v5, 0
	v_mov_b32_e32 v6, 0
	s_waitcnt lgkmcnt(0)
	s_cmp_eq_u32 s3, 1
	s_cselect_b32 s2, -1, 0
	s_cmp_lg_u32 s3, 1
	s_cselect_b32 s3, -1, 0
	s_lshl_b64 s[4:5], s[8:9], 3
	s_delay_alu instid0(SALU_CYCLE_1)
	s_add_u32 s6, s6, s4
	s_addc_u32 s7, s7, s5
	s_add_u32 s13, s6, 8
	s_addc_u32 s14, s7, 0
	;; [unrolled: 2-line block ×3, first 2 shown]
	s_cmp_eq_u64 s[10:11], 0
	s_load_b64 s[10:11], s[0:1], 0x58
	s_cselect_b32 s5, s14, s5
	s_cselect_b32 s4, s13, s4
	s_load_b64 s[16:17], s[6:7], 0x0
	s_load_b64 s[14:15], s[4:5], 0x0
	s_waitcnt lgkmcnt(0)
	v_cmp_ge_i64_e64 s4, s[16:17], s[14:15]
	s_delay_alu instid0(VALU_DEP_1)
	s_and_b32 vcc_lo, exec_lo, s4
	s_cbranch_vccnz .LBB514_12
; %bb.8:
	v_mul_lo_u16 v5, v7, 14
	v_and_b32_e32 v8, 0xffff, v0
	v_and_b32_e32 v6, 0xffff, v13
	s_clause 0x1
	s_load_b128 s[4:7], s[0:1], 0x38
	s_load_b64 s[18:19], s[0:1], 0x48
	s_sub_u32 s0, s14, s12
	v_lshrrev_b16 v5, 8, v5
	s_subb_u32 s1, s15, 0
	s_sub_u32 s14, s16, s12
	s_subb_u32 s15, s17, 0
	v_lshlrev_b32_e32 v9, 2, v0
	v_mul_lo_u16 v5, v5, 19
	s_mul_hi_u32 s13, s14, 0x5a4
	s_mul_i32 s20, s15, 0x5a4
	s_mul_i32 s21, s14, 0x5a4
	s_add_i32 s13, s13, s20
	v_sub_nc_u16 v5, v7, v5
	v_mul_u32_u24_e32 v7, 0xb6, v8
	s_delay_alu instid0(VALU_DEP_2) | instskip(NEXT) | instid1(VALU_DEP_2)
	v_and_b32_e32 v5, 0xff, v5
	v_lshrrev_b32_e32 v14, 16, v7
	s_delay_alu instid0(VALU_DEP_2) | instskip(NEXT) | instid1(VALU_DEP_2)
	v_cndmask_b32_e64 v5, v6, v5, s2
	v_add_co_u32 v6, s2, s16, v14
	s_delay_alu instid0(VALU_DEP_1) | instskip(NEXT) | instid1(VALU_DEP_3)
	v_add_co_ci_u32_e64 v7, null, s17, 0, s2
	v_lshlrev_b32_e32 v8, 3, v5
	s_delay_alu instid0(VALU_DEP_3) | instskip(NEXT) | instid1(VALU_DEP_3)
	v_sub_co_u32 v5, vcc_lo, v6, s12
	v_subrev_co_ci_u32_e32 v6, vcc_lo, 0, v7, vcc_lo
	s_waitcnt lgkmcnt(0)
	s_add_u32 s2, s6, s21
	s_addc_u32 s6, s7, s13
	v_add_co_u32 v7, s7, s18, v8
	v_lshlrev_b64 v[11:12], 3, v[5:6]
	v_mov_b32_e32 v5, 0
	v_mov_b32_e32 v6, 0
	v_add_co_u32 v9, s2, s2, v9
	v_add_co_ci_u32_e64 v8, null, s19, 0, s7
	v_add_co_u32 v11, vcc_lo, s4, v11
	v_add_co_ci_u32_e64 v10, null, s6, 0, s2
	v_add_co_ci_u32_e32 v12, vcc_lo, s5, v12, vcc_lo
	s_set_inst_prefetch_distance 0x1
	s_branch .LBB514_10
	.p2align	6
.LBB514_9:                              ;   in Loop: Header=BB514_10 Depth=1
	s_or_b32 exec_lo, exec_lo, s2
	s_add_u32 s14, s14, 1
	s_addc_u32 s15, s15, 0
	v_add_co_u32 v11, vcc_lo, v11, 8
	v_cmp_lt_i64_e64 s2, s[14:15], s[0:1]
	v_add_co_ci_u32_e32 v12, vcc_lo, 0, v12, vcc_lo
	s_delay_alu instid0(VALU_DEP_2)
	s_and_b32 vcc_lo, exec_lo, s2
	s_cbranch_vccz .LBB514_12
.LBB514_10:                             ; =>This Inner Loop Header: Depth=1
	v_add_co_u32 v15, s2, v14, s14
	s_delay_alu instid0(VALU_DEP_1) | instskip(SKIP_1) | instid1(VALU_DEP_1)
	v_add_co_ci_u32_e64 v16, null, 0, s15, s2
	s_mov_b32 s2, exec_lo
	v_cmpx_gt_i64_e64 s[0:1], v[15:16]
	s_cbranch_execz .LBB514_9
; %bb.11:                               ;   in Loop: Header=BB514_10 Depth=1
	global_load_b64 v[15:16], v[11:12], off
	global_load_b32 v19, v[9:10], off
	s_waitcnt vmcnt(1)
	v_sub_co_u32 v17, vcc_lo, v15, s12
	v_subrev_co_ci_u32_e32 v20, vcc_lo, 0, v16, vcc_lo
	v_add_co_u32 v9, vcc_lo, 0x5a4, v9
	s_delay_alu instid0(VALU_DEP_3) | instskip(SKIP_1) | instid1(VALU_DEP_2)
	v_mad_u64_u32 v[15:16], null, 0x98, v17, v[7:8]
	v_add_co_ci_u32_e32 v10, vcc_lo, 0, v10, vcc_lo
	v_mad_u64_u32 v[17:18], null, 0x98, v20, v[16:17]
	s_delay_alu instid0(VALU_DEP_1)
	v_mov_b32_e32 v16, v17
	s_waitcnt vmcnt(0)
	v_cvt_f64_f32_e32 v[17:18], v19
	global_load_b64 v[15:16], v[15:16], off
	s_waitcnt vmcnt(0)
	v_fma_f64 v[5:6], v[17:18], v[15:16], v[5:6]
	s_branch .LBB514_9
.LBB514_12:
	s_set_inst_prefetch_distance 0x2
	v_lshlrev_b32_e32 v7, 3, v0
	s_and_b32 vcc_lo, exec_lo, s3
	ds_store_b64 v7, v[5:6]
	s_waitcnt lgkmcnt(0)
	s_barrier
	buffer_gl0_inv
	s_cbranch_vccz .LBB514_24
; %bb.13:
	s_mov_b32 s0, exec_lo
	v_cmpx_gt_u16_e32 3, v13
	s_cbranch_execz .LBB514_15
; %bb.14:
	ds_load_2addr_b64 v[8:11], v7 offset1:16
	s_waitcnt lgkmcnt(0)
	v_add_f64 v[8:9], v[10:11], v[8:9]
	ds_store_b64 v7, v[8:9]
.LBB514_15:
	s_or_b32 exec_lo, exec_lo, s0
	s_delay_alu instid0(SALU_CYCLE_1)
	s_mov_b32 s0, exec_lo
	s_waitcnt lgkmcnt(0)
	s_barrier
	buffer_gl0_inv
	v_cmpx_gt_u16_e32 8, v13
	s_cbranch_execz .LBB514_17
; %bb.16:
	ds_load_2addr_b64 v[8:11], v7 offset1:8
	s_waitcnt lgkmcnt(0)
	v_add_f64 v[8:9], v[10:11], v[8:9]
	ds_store_b64 v7, v[8:9]
.LBB514_17:
	s_or_b32 exec_lo, exec_lo, s0
	s_delay_alu instid0(SALU_CYCLE_1)
	s_mov_b32 s0, exec_lo
	s_waitcnt lgkmcnt(0)
	s_barrier
	buffer_gl0_inv
	;; [unrolled: 14-line block ×3, first 2 shown]
	v_cmpx_gt_u16_e32 2, v13
	s_cbranch_execz .LBB514_21
; %bb.20:
	ds_load_2addr_b64 v[8:11], v7 offset1:2
	s_waitcnt lgkmcnt(0)
	v_add_f64 v[8:9], v[10:11], v[8:9]
	ds_store_b64 v7, v[8:9]
.LBB514_21:
	s_or_b32 exec_lo, exec_lo, s0
	s_mov_b32 s1, 0
	s_mov_b32 s0, 0
	s_mov_b32 s2, exec_lo
	s_waitcnt lgkmcnt(0)
	s_barrier
	buffer_gl0_inv
                                        ; implicit-def: $vgpr8
                                        ; implicit-def: $vgpr9
	v_cmpx_gt_u32_e32 19, v0
	s_xor_b32 s2, exec_lo, s2
; %bb.22:
	v_mad_u32_u24 v8, v0, 19, 1
	v_mad_u32_u24 v9, 0x90, v0, v7
	s_mov_b32 s0, exec_lo
; %bb.23:
	s_or_b32 exec_lo, exec_lo, s2
	s_delay_alu instid0(SALU_CYCLE_1)
	s_and_b32 vcc_lo, exec_lo, s1
	s_cbranch_vccnz .LBB514_25
	s_branch .LBB514_36
.LBB514_24:
	s_mov_b32 s0, 0
                                        ; implicit-def: $vgpr8
                                        ; implicit-def: $vgpr9
	s_cbranch_execz .LBB514_36
.LBB514_25:
	s_mov_b32 s1, exec_lo
	v_cmpx_gt_u32_e32 57, v0
	s_cbranch_execz .LBB514_27
; %bb.26:
	ds_load_b64 v[8:9], v7 offset:2432
	ds_load_b64 v[10:11], v7
	s_waitcnt lgkmcnt(0)
	v_add_f64 v[8:9], v[8:9], v[10:11]
	ds_store_b64 v7, v[8:9]
.LBB514_27:
	s_or_b32 exec_lo, exec_lo, s1
	s_delay_alu instid0(SALU_CYCLE_1)
	s_mov_b32 s1, exec_lo
	s_waitcnt lgkmcnt(0)
	s_barrier
	buffer_gl0_inv
	v_cmpx_gt_u32_e32 0x98, v0
	s_cbranch_execz .LBB514_29
; %bb.28:
	ds_load_2addr_b64 v[8:11], v7 offset1:152
	s_waitcnt lgkmcnt(0)
	v_add_f64 v[8:9], v[10:11], v[8:9]
	ds_store_b64 v7, v[8:9]
.LBB514_29:
	s_or_b32 exec_lo, exec_lo, s1
	s_delay_alu instid0(SALU_CYCLE_1)
	s_mov_b32 s1, exec_lo
	s_waitcnt lgkmcnt(0)
	s_barrier
	buffer_gl0_inv
	v_cmpx_gt_u32_e32 0x4c, v0
	s_cbranch_execz .LBB514_31
; %bb.30:
	ds_load_2addr_b64 v[8:11], v7 offset1:76
	s_waitcnt lgkmcnt(0)
	v_add_f64 v[8:9], v[10:11], v[8:9]
	ds_store_b64 v7, v[8:9]
.LBB514_31:
	;; [unrolled: 14-line block ×3, first 2 shown]
	s_or_b32 exec_lo, exec_lo, s1
	s_delay_alu instid0(SALU_CYCLE_1)
	s_mov_b32 s1, exec_lo
	s_waitcnt lgkmcnt(0)
	buffer_gl0_inv
                                        ; implicit-def: $vgpr8
	v_cmpx_gt_u32_e32 19, v0
; %bb.34:
	v_add_nc_u32_e32 v8, 19, v0
	s_or_b32 s0, s0, exec_lo
                                        ; implicit-def: $vgpr5_vgpr6
; %bb.35:
	s_or_b32 exec_lo, exec_lo, s1
	v_mov_b32_e32 v9, v7
.LBB514_36:
	s_and_saveexec_b32 s1, s0
	s_cbranch_execnz .LBB514_39
; %bb.37:
	s_or_b32 exec_lo, exec_lo, s1
	v_cmp_gt_u32_e32 vcc_lo, 19, v0
	s_and_b32 exec_lo, exec_lo, vcc_lo
	s_cbranch_execnz .LBB514_40
.LBB514_38:
	s_nop 0
	s_sendmsg sendmsg(MSG_DEALLOC_VGPRS)
	s_endpgm
.LBB514_39:
	v_lshlrev_b32_e32 v7, 3, v8
	ds_load_b64 v[5:6], v9
	ds_load_b64 v[7:8], v7
	s_waitcnt lgkmcnt(0)
	v_add_f64 v[5:6], v[5:6], v[7:8]
	s_or_b32 exec_lo, exec_lo, s1
	v_cmp_gt_u32_e32 vcc_lo, 19, v0
	s_and_b32 exec_lo, exec_lo, vcc_lo
	s_cbranch_execz .LBB514_38
.LBB514_40:
	s_delay_alu instid0(VALU_DEP_2)
	v_mul_f64 v[3:4], v[3:4], v[5:6]
	s_mul_i32 s0, s9, 0x98
	s_mul_hi_u32 s1, s8, 0x98
	s_mul_i32 s2, s8, 0x98
	s_mov_b32 s3, exec_lo
	v_cmpx_eq_f64_e32 0, v[1:2]
	s_xor_b32 s3, exec_lo, s3
	s_cbranch_execz .LBB514_42
; %bb.41:
	v_lshlrev_b32_e32 v0, 3, v0
	s_add_i32 s5, s1, s0
	s_add_u32 s4, s10, s2
	s_addc_u32 s5, s11, s5
                                        ; implicit-def: $vgpr1_vgpr2
	global_store_b64 v0, v[3:4], s[4:5]
                                        ; implicit-def: $vgpr0
                                        ; implicit-def: $vgpr3_vgpr4
.LBB514_42:
	s_and_not1_saveexec_b32 s3, s3
	s_cbranch_execz .LBB514_38
; %bb.43:
	v_lshlrev_b32_e32 v7, 3, v0
	s_add_i32 s1, s1, s0
	s_add_u32 s0, s10, s2
	s_addc_u32 s1, s11, s1
	global_load_b64 v[5:6], v7, s[0:1]
	s_waitcnt vmcnt(0)
	v_fma_f64 v[0:1], v[1:2], v[5:6], v[3:4]
	global_store_b64 v7, v[0:1], s[0:1]
	s_nop 0
	s_sendmsg sendmsg(MSG_DEALLOC_VGPRS)
	s_endpgm
	.section	.rodata,"a",@progbits
	.p2align	6, 0x0
	.amdhsa_kernel _ZN9rocsparseL20bsrxmvn_17_32_kernelILj19EdllfddEEvT2_20rocsparse_direction_NS_24const_host_device_scalarIT0_EES1_PKS1_PKT1_SA_S7_PKT3_PKT4_S5_PT5_21rocsparse_index_base_b
		.amdhsa_group_segment_fixed_size 2888
		.amdhsa_private_segment_fixed_size 0
		.amdhsa_kernarg_size 104
		.amdhsa_user_sgpr_count 15
		.amdhsa_user_sgpr_dispatch_ptr 0
		.amdhsa_user_sgpr_queue_ptr 0
		.amdhsa_user_sgpr_kernarg_segment_ptr 1
		.amdhsa_user_sgpr_dispatch_id 0
		.amdhsa_user_sgpr_private_segment_size 0
		.amdhsa_wavefront_size32 1
		.amdhsa_uses_dynamic_stack 0
		.amdhsa_enable_private_segment 0
		.amdhsa_system_sgpr_workgroup_id_x 1
		.amdhsa_system_sgpr_workgroup_id_y 0
		.amdhsa_system_sgpr_workgroup_id_z 0
		.amdhsa_system_sgpr_workgroup_info 0
		.amdhsa_system_vgpr_workitem_id 0
		.amdhsa_next_free_vgpr 21
		.amdhsa_next_free_sgpr 22
		.amdhsa_reserve_vcc 1
		.amdhsa_float_round_mode_32 0
		.amdhsa_float_round_mode_16_64 0
		.amdhsa_float_denorm_mode_32 3
		.amdhsa_float_denorm_mode_16_64 3
		.amdhsa_dx10_clamp 1
		.amdhsa_ieee_mode 1
		.amdhsa_fp16_overflow 0
		.amdhsa_workgroup_processor_mode 1
		.amdhsa_memory_ordered 1
		.amdhsa_forward_progress 0
		.amdhsa_shared_vgpr_count 0
		.amdhsa_exception_fp_ieee_invalid_op 0
		.amdhsa_exception_fp_denorm_src 0
		.amdhsa_exception_fp_ieee_div_zero 0
		.amdhsa_exception_fp_ieee_overflow 0
		.amdhsa_exception_fp_ieee_underflow 0
		.amdhsa_exception_fp_ieee_inexact 0
		.amdhsa_exception_int_div_zero 0
	.end_amdhsa_kernel
	.section	.text._ZN9rocsparseL20bsrxmvn_17_32_kernelILj19EdllfddEEvT2_20rocsparse_direction_NS_24const_host_device_scalarIT0_EES1_PKS1_PKT1_SA_S7_PKT3_PKT4_S5_PT5_21rocsparse_index_base_b,"axG",@progbits,_ZN9rocsparseL20bsrxmvn_17_32_kernelILj19EdllfddEEvT2_20rocsparse_direction_NS_24const_host_device_scalarIT0_EES1_PKS1_PKT1_SA_S7_PKT3_PKT4_S5_PT5_21rocsparse_index_base_b,comdat
.Lfunc_end514:
	.size	_ZN9rocsparseL20bsrxmvn_17_32_kernelILj19EdllfddEEvT2_20rocsparse_direction_NS_24const_host_device_scalarIT0_EES1_PKS1_PKT1_SA_S7_PKT3_PKT4_S5_PT5_21rocsparse_index_base_b, .Lfunc_end514-_ZN9rocsparseL20bsrxmvn_17_32_kernelILj19EdllfddEEvT2_20rocsparse_direction_NS_24const_host_device_scalarIT0_EES1_PKS1_PKT1_SA_S7_PKT3_PKT4_S5_PT5_21rocsparse_index_base_b
                                        ; -- End function
	.section	.AMDGPU.csdata,"",@progbits
; Kernel info:
; codeLenInByte = 1732
; NumSgprs: 24
; NumVgprs: 21
; ScratchSize: 0
; MemoryBound: 0
; FloatMode: 240
; IeeeMode: 1
; LDSByteSize: 2888 bytes/workgroup (compile time only)
; SGPRBlocks: 2
; VGPRBlocks: 2
; NumSGPRsForWavesPerEU: 24
; NumVGPRsForWavesPerEU: 21
; Occupancy: 15
; WaveLimiterHint : 1
; COMPUTE_PGM_RSRC2:SCRATCH_EN: 0
; COMPUTE_PGM_RSRC2:USER_SGPR: 15
; COMPUTE_PGM_RSRC2:TRAP_HANDLER: 0
; COMPUTE_PGM_RSRC2:TGID_X_EN: 1
; COMPUTE_PGM_RSRC2:TGID_Y_EN: 0
; COMPUTE_PGM_RSRC2:TGID_Z_EN: 0
; COMPUTE_PGM_RSRC2:TIDIG_COMP_CNT: 0
	.section	.text._ZN9rocsparseL20bsrxmvn_17_32_kernelILj20EdllfddEEvT2_20rocsparse_direction_NS_24const_host_device_scalarIT0_EES1_PKS1_PKT1_SA_S7_PKT3_PKT4_S5_PT5_21rocsparse_index_base_b,"axG",@progbits,_ZN9rocsparseL20bsrxmvn_17_32_kernelILj20EdllfddEEvT2_20rocsparse_direction_NS_24const_host_device_scalarIT0_EES1_PKS1_PKT1_SA_S7_PKT3_PKT4_S5_PT5_21rocsparse_index_base_b,comdat
	.globl	_ZN9rocsparseL20bsrxmvn_17_32_kernelILj20EdllfddEEvT2_20rocsparse_direction_NS_24const_host_device_scalarIT0_EES1_PKS1_PKT1_SA_S7_PKT3_PKT4_S5_PT5_21rocsparse_index_base_b ; -- Begin function _ZN9rocsparseL20bsrxmvn_17_32_kernelILj20EdllfddEEvT2_20rocsparse_direction_NS_24const_host_device_scalarIT0_EES1_PKS1_PKT1_SA_S7_PKT3_PKT4_S5_PT5_21rocsparse_index_base_b
	.p2align	8
	.type	_ZN9rocsparseL20bsrxmvn_17_32_kernelILj20EdllfddEEvT2_20rocsparse_direction_NS_24const_host_device_scalarIT0_EES1_PKS1_PKT1_SA_S7_PKT3_PKT4_S5_PT5_21rocsparse_index_base_b,@function
_ZN9rocsparseL20bsrxmvn_17_32_kernelILj20EdllfddEEvT2_20rocsparse_direction_NS_24const_host_device_scalarIT0_EES1_PKS1_PKT1_SA_S7_PKT3_PKT4_S5_PT5_21rocsparse_index_base_b: ; @_ZN9rocsparseL20bsrxmvn_17_32_kernelILj20EdllfddEEvT2_20rocsparse_direction_NS_24const_host_device_scalarIT0_EES1_PKS1_PKT1_SA_S7_PKT3_PKT4_S5_PT5_21rocsparse_index_base_b
; %bb.0:
	s_clause 0x2
	s_load_b64 s[12:13], s[0:1], 0x60
	s_load_b64 s[4:5], s[0:1], 0x10
	;; [unrolled: 1-line block ×3, first 2 shown]
	s_mov_b32 s8, s15
	s_waitcnt lgkmcnt(0)
	s_bitcmp1_b32 s13, 0
	v_dual_mov_b32 v3, s4 :: v_dual_mov_b32 v4, s5
	s_cselect_b32 s6, -1, 0
	s_delay_alu instid0(SALU_CYCLE_1)
	s_and_b32 vcc_lo, exec_lo, s6
	s_xor_b32 s6, s6, -1
	s_cbranch_vccnz .LBB515_2
; %bb.1:
	v_dual_mov_b32 v1, s4 :: v_dual_mov_b32 v2, s5
	flat_load_b64 v[3:4], v[1:2]
.LBB515_2:
	v_dual_mov_b32 v1, s2 :: v_dual_mov_b32 v2, s3
	s_and_not1_b32 vcc_lo, exec_lo, s6
	s_cbranch_vccnz .LBB515_4
; %bb.3:
	v_dual_mov_b32 v1, s2 :: v_dual_mov_b32 v2, s3
	flat_load_b64 v[1:2], v[1:2]
.LBB515_4:
	s_waitcnt vmcnt(0) lgkmcnt(0)
	v_cmp_neq_f64_e32 vcc_lo, 0, v[3:4]
	v_cmp_neq_f64_e64 s2, 1.0, v[1:2]
	s_delay_alu instid0(VALU_DEP_1) | instskip(NEXT) | instid1(SALU_CYCLE_1)
	s_or_b32 s2, vcc_lo, s2
	s_and_saveexec_b32 s3, s2
	s_cbranch_execz .LBB515_38
; %bb.5:
	s_clause 0x1
	s_load_b128 s[4:7], s[0:1], 0x20
	s_load_b64 s[10:11], s[0:1], 0x30
	s_mov_b32 s9, 0
	s_waitcnt lgkmcnt(0)
	s_cmp_eq_u64 s[4:5], 0
	s_cbranch_scc1 .LBB515_7
; %bb.6:
	s_lshl_b64 s[2:3], s[8:9], 3
	s_delay_alu instid0(SALU_CYCLE_1)
	s_add_u32 s2, s4, s2
	s_addc_u32 s3, s5, s3
	s_load_b64 s[2:3], s[2:3], 0x0
	s_waitcnt lgkmcnt(0)
	s_sub_u32 s8, s2, s12
	s_subb_u32 s9, s3, 0
.LBB515_7:
	s_load_b32 s3, s[0:1], 0x8
	v_mul_u32_u24_e32 v5, 0xccd, v0
	s_delay_alu instid0(VALU_DEP_1) | instskip(NEXT) | instid1(VALU_DEP_1)
	v_lshrrev_b32_e32 v7, 16, v5
	v_mul_lo_u16 v5, v7, 20
	s_delay_alu instid0(VALU_DEP_1)
	v_sub_nc_u16 v13, v0, v5
	v_mov_b32_e32 v5, 0
	v_mov_b32_e32 v6, 0
	s_waitcnt lgkmcnt(0)
	s_cmp_eq_u32 s3, 1
	s_cselect_b32 s2, -1, 0
	s_cmp_lg_u32 s3, 1
	s_cselect_b32 s3, -1, 0
	s_lshl_b64 s[4:5], s[8:9], 3
	s_delay_alu instid0(SALU_CYCLE_1)
	s_add_u32 s6, s6, s4
	s_addc_u32 s7, s7, s5
	s_add_u32 s13, s6, 8
	s_addc_u32 s14, s7, 0
	;; [unrolled: 2-line block ×3, first 2 shown]
	s_cmp_eq_u64 s[10:11], 0
	s_load_b64 s[10:11], s[0:1], 0x58
	s_cselect_b32 s5, s14, s5
	s_cselect_b32 s4, s13, s4
	s_load_b64 s[16:17], s[6:7], 0x0
	s_load_b64 s[14:15], s[4:5], 0x0
	s_waitcnt lgkmcnt(0)
	v_cmp_ge_i64_e64 s4, s[16:17], s[14:15]
	s_delay_alu instid0(VALU_DEP_1)
	s_and_b32 vcc_lo, exec_lo, s4
	s_cbranch_vccnz .LBB515_12
; %bb.8:
	v_mul_lo_u16 v5, v7, 13
	v_and_b32_e32 v8, 0xffff, v0
	v_and_b32_e32 v6, 0xffff, v13
	s_clause 0x1
	s_load_b128 s[4:7], s[0:1], 0x38
	s_load_b64 s[18:19], s[0:1], 0x48
	s_sub_u32 s0, s14, s12
	v_lshrrev_b16 v5, 8, v5
	s_subb_u32 s1, s15, 0
	s_sub_u32 s14, s16, s12
	s_subb_u32 s15, s17, 0
	v_lshlrev_b32_e32 v9, 2, v0
	v_mul_lo_u16 v5, v5, 20
	s_mul_hi_u32 s13, s14, 0x640
	s_mul_i32 s20, s15, 0x640
	s_mul_i32 s21, s14, 0x640
	s_add_i32 s13, s13, s20
	v_sub_nc_u16 v5, v7, v5
	v_mul_u32_u24_e32 v7, 0xa4, v8
	s_delay_alu instid0(VALU_DEP_2) | instskip(NEXT) | instid1(VALU_DEP_2)
	v_and_b32_e32 v5, 0xff, v5
	v_lshrrev_b32_e32 v14, 16, v7
	s_delay_alu instid0(VALU_DEP_2) | instskip(NEXT) | instid1(VALU_DEP_2)
	v_cndmask_b32_e64 v5, v6, v5, s2
	v_add_co_u32 v6, s2, s16, v14
	s_delay_alu instid0(VALU_DEP_1) | instskip(NEXT) | instid1(VALU_DEP_3)
	v_add_co_ci_u32_e64 v7, null, s17, 0, s2
	v_lshlrev_b32_e32 v8, 3, v5
	s_delay_alu instid0(VALU_DEP_3) | instskip(NEXT) | instid1(VALU_DEP_3)
	v_sub_co_u32 v5, vcc_lo, v6, s12
	v_subrev_co_ci_u32_e32 v6, vcc_lo, 0, v7, vcc_lo
	s_waitcnt lgkmcnt(0)
	s_add_u32 s2, s6, s21
	s_addc_u32 s6, s7, s13
	v_add_co_u32 v7, s7, s18, v8
	v_lshlrev_b64 v[11:12], 3, v[5:6]
	v_mov_b32_e32 v5, 0
	v_mov_b32_e32 v6, 0
	v_add_co_u32 v9, s2, s2, v9
	v_add_co_ci_u32_e64 v8, null, s19, 0, s7
	v_add_co_u32 v11, vcc_lo, s4, v11
	v_add_co_ci_u32_e64 v10, null, s6, 0, s2
	v_add_co_ci_u32_e32 v12, vcc_lo, s5, v12, vcc_lo
	s_set_inst_prefetch_distance 0x1
	s_branch .LBB515_10
	.p2align	6
.LBB515_9:                              ;   in Loop: Header=BB515_10 Depth=1
	s_or_b32 exec_lo, exec_lo, s2
	s_add_u32 s14, s14, 1
	s_addc_u32 s15, s15, 0
	v_add_co_u32 v11, vcc_lo, v11, 8
	v_cmp_lt_i64_e64 s2, s[14:15], s[0:1]
	v_add_co_ci_u32_e32 v12, vcc_lo, 0, v12, vcc_lo
	s_delay_alu instid0(VALU_DEP_2)
	s_and_b32 vcc_lo, exec_lo, s2
	s_cbranch_vccz .LBB515_12
.LBB515_10:                             ; =>This Inner Loop Header: Depth=1
	v_add_co_u32 v15, s2, v14, s14
	s_delay_alu instid0(VALU_DEP_1) | instskip(SKIP_1) | instid1(VALU_DEP_1)
	v_add_co_ci_u32_e64 v16, null, 0, s15, s2
	s_mov_b32 s2, exec_lo
	v_cmpx_gt_i64_e64 s[0:1], v[15:16]
	s_cbranch_execz .LBB515_9
; %bb.11:                               ;   in Loop: Header=BB515_10 Depth=1
	global_load_b64 v[15:16], v[11:12], off
	global_load_b32 v19, v[9:10], off
	s_waitcnt vmcnt(1)
	v_sub_co_u32 v17, vcc_lo, v15, s12
	v_subrev_co_ci_u32_e32 v20, vcc_lo, 0, v16, vcc_lo
	v_add_co_u32 v9, vcc_lo, 0x640, v9
	s_delay_alu instid0(VALU_DEP_3) | instskip(SKIP_1) | instid1(VALU_DEP_2)
	v_mad_u64_u32 v[15:16], null, 0xa0, v17, v[7:8]
	v_add_co_ci_u32_e32 v10, vcc_lo, 0, v10, vcc_lo
	v_mad_u64_u32 v[17:18], null, 0xa0, v20, v[16:17]
	s_delay_alu instid0(VALU_DEP_1)
	v_mov_b32_e32 v16, v17
	s_waitcnt vmcnt(0)
	v_cvt_f64_f32_e32 v[17:18], v19
	global_load_b64 v[15:16], v[15:16], off
	s_waitcnt vmcnt(0)
	v_fma_f64 v[5:6], v[17:18], v[15:16], v[5:6]
	s_branch .LBB515_9
.LBB515_12:
	s_set_inst_prefetch_distance 0x2
	v_lshlrev_b32_e32 v7, 3, v0
	s_and_b32 vcc_lo, exec_lo, s3
	ds_store_b64 v7, v[5:6]
	s_waitcnt lgkmcnt(0)
	s_barrier
	buffer_gl0_inv
	s_cbranch_vccz .LBB515_24
; %bb.13:
	v_cmp_gt_u16_e32 vcc_lo, 4, v13
	s_and_saveexec_b32 s0, vcc_lo
	s_cbranch_execz .LBB515_15
; %bb.14:
	ds_load_2addr_b64 v[8:11], v7 offset1:16
	s_waitcnt lgkmcnt(0)
	v_add_f64 v[8:9], v[10:11], v[8:9]
	ds_store_b64 v7, v[8:9]
.LBB515_15:
	s_or_b32 exec_lo, exec_lo, s0
	s_delay_alu instid0(SALU_CYCLE_1)
	s_mov_b32 s1, exec_lo
	s_waitcnt lgkmcnt(0)
	s_barrier
	buffer_gl0_inv
	v_cmpx_gt_u16_e32 8, v13
	s_cbranch_execz .LBB515_17
; %bb.16:
	ds_load_2addr_b64 v[8:11], v7 offset1:8
	s_waitcnt lgkmcnt(0)
	v_add_f64 v[8:9], v[10:11], v[8:9]
	ds_store_b64 v7, v[8:9]
.LBB515_17:
	s_or_b32 exec_lo, exec_lo, s1
	s_waitcnt lgkmcnt(0)
	s_barrier
	buffer_gl0_inv
	s_and_saveexec_b32 s0, vcc_lo
	s_cbranch_execz .LBB515_19
; %bb.18:
	ds_load_2addr_b64 v[8:11], v7 offset1:4
	s_waitcnt lgkmcnt(0)
	v_add_f64 v[8:9], v[10:11], v[8:9]
	ds_store_b64 v7, v[8:9]
.LBB515_19:
	s_or_b32 exec_lo, exec_lo, s0
	s_delay_alu instid0(SALU_CYCLE_1)
	s_mov_b32 s0, exec_lo
	s_waitcnt lgkmcnt(0)
	s_barrier
	buffer_gl0_inv
	v_cmpx_gt_u16_e32 2, v13
	s_cbranch_execz .LBB515_21
; %bb.20:
	ds_load_2addr_b64 v[8:11], v7 offset1:2
	s_waitcnt lgkmcnt(0)
	v_add_f64 v[8:9], v[10:11], v[8:9]
	ds_store_b64 v7, v[8:9]
.LBB515_21:
	s_or_b32 exec_lo, exec_lo, s0
	s_mov_b32 s0, 0
	s_mov_b32 s1, 0
	s_mov_b32 s2, exec_lo
	s_waitcnt lgkmcnt(0)
	s_barrier
	buffer_gl0_inv
                                        ; implicit-def: $vgpr8
                                        ; implicit-def: $vgpr9
	v_cmpx_gt_u32_e32 20, v0
	s_xor_b32 s2, exec_lo, s2
; %bb.22:
	v_mul_u32_u24_e32 v8, 20, v0
	v_mad_u32_u24 v9, 0x98, v0, v7
	s_mov_b32 s1, exec_lo
	s_delay_alu instid0(VALU_DEP_2)
	v_or_b32_e32 v8, 1, v8
; %bb.23:
	s_or_b32 exec_lo, exec_lo, s2
	s_delay_alu instid0(SALU_CYCLE_1)
	s_and_b32 vcc_lo, exec_lo, s0
	s_cbranch_vccnz .LBB515_25
	s_branch .LBB515_36
.LBB515_24:
	s_mov_b32 s1, 0
                                        ; implicit-def: $vgpr8
                                        ; implicit-def: $vgpr9
	s_cbranch_execz .LBB515_36
.LBB515_25:
	v_cmp_gt_u32_e32 vcc_lo, 0x50, v0
	s_and_saveexec_b32 s0, vcc_lo
	s_cbranch_execz .LBB515_27
; %bb.26:
	ds_load_2addr_stride64_b64 v[8:11], v7 offset1:5
	s_waitcnt lgkmcnt(0)
	v_add_f64 v[8:9], v[10:11], v[8:9]
	ds_store_b64 v7, v[8:9]
.LBB515_27:
	s_or_b32 exec_lo, exec_lo, s0
	s_delay_alu instid0(SALU_CYCLE_1)
	s_mov_b32 s2, exec_lo
	s_waitcnt lgkmcnt(0)
	s_barrier
	buffer_gl0_inv
	v_cmpx_gt_u32_e32 0xa0, v0
	s_cbranch_execz .LBB515_29
; %bb.28:
	ds_load_2addr_b64 v[8:11], v7 offset1:160
	s_waitcnt lgkmcnt(0)
	v_add_f64 v[8:9], v[10:11], v[8:9]
	ds_store_b64 v7, v[8:9]
.LBB515_29:
	s_or_b32 exec_lo, exec_lo, s2
	s_waitcnt lgkmcnt(0)
	s_barrier
	buffer_gl0_inv
	s_and_saveexec_b32 s0, vcc_lo
	s_cbranch_execz .LBB515_31
; %bb.30:
	ds_load_2addr_b64 v[8:11], v7 offset1:80
	s_waitcnt lgkmcnt(0)
	v_add_f64 v[8:9], v[10:11], v[8:9]
	ds_store_b64 v7, v[8:9]
.LBB515_31:
	s_or_b32 exec_lo, exec_lo, s0
	s_delay_alu instid0(SALU_CYCLE_1)
	s_mov_b32 s0, exec_lo
	s_waitcnt lgkmcnt(0)
	s_barrier
	buffer_gl0_inv
	v_cmpx_gt_u32_e32 40, v0
	s_cbranch_execz .LBB515_33
; %bb.32:
	ds_load_2addr_b64 v[8:11], v7 offset1:40
	s_waitcnt lgkmcnt(0)
	v_add_f64 v[8:9], v[10:11], v[8:9]
	ds_store_b64 v7, v[8:9]
.LBB515_33:
	s_or_b32 exec_lo, exec_lo, s0
	s_delay_alu instid0(SALU_CYCLE_1)
	s_mov_b32 s0, exec_lo
	s_waitcnt lgkmcnt(0)
	buffer_gl0_inv
                                        ; implicit-def: $vgpr8
	v_cmpx_gt_u32_e32 20, v0
; %bb.34:
	v_add_nc_u32_e32 v8, 20, v0
	s_or_b32 s1, s1, exec_lo
                                        ; implicit-def: $vgpr5_vgpr6
; %bb.35:
	s_or_b32 exec_lo, exec_lo, s0
	v_mov_b32_e32 v9, v7
.LBB515_36:
	s_and_saveexec_b32 s0, s1
	s_cbranch_execnz .LBB515_39
; %bb.37:
	s_or_b32 exec_lo, exec_lo, s0
	v_cmp_gt_u32_e32 vcc_lo, 20, v0
	s_and_b32 exec_lo, exec_lo, vcc_lo
	s_cbranch_execnz .LBB515_40
.LBB515_38:
	s_nop 0
	s_sendmsg sendmsg(MSG_DEALLOC_VGPRS)
	s_endpgm
.LBB515_39:
	v_lshlrev_b32_e32 v7, 3, v8
	ds_load_b64 v[5:6], v9
	ds_load_b64 v[7:8], v7
	s_waitcnt lgkmcnt(0)
	v_add_f64 v[5:6], v[5:6], v[7:8]
	s_or_b32 exec_lo, exec_lo, s0
	v_cmp_gt_u32_e32 vcc_lo, 20, v0
	s_and_b32 exec_lo, exec_lo, vcc_lo
	s_cbranch_execz .LBB515_38
.LBB515_40:
	s_delay_alu instid0(VALU_DEP_2)
	v_mul_f64 v[3:4], v[3:4], v[5:6]
	s_mul_i32 s0, s9, 0xa0
	s_mul_hi_u32 s1, s8, 0xa0
	s_mul_i32 s2, s8, 0xa0
	s_mov_b32 s3, exec_lo
	v_cmpx_eq_f64_e32 0, v[1:2]
	s_xor_b32 s3, exec_lo, s3
	s_cbranch_execz .LBB515_42
; %bb.41:
	v_lshlrev_b32_e32 v0, 3, v0
	s_add_i32 s5, s1, s0
	s_add_u32 s4, s10, s2
	s_addc_u32 s5, s11, s5
                                        ; implicit-def: $vgpr1_vgpr2
	global_store_b64 v0, v[3:4], s[4:5]
                                        ; implicit-def: $vgpr0
                                        ; implicit-def: $vgpr3_vgpr4
.LBB515_42:
	s_and_not1_saveexec_b32 s3, s3
	s_cbranch_execz .LBB515_38
; %bb.43:
	v_lshlrev_b32_e32 v7, 3, v0
	s_add_i32 s1, s1, s0
	s_add_u32 s0, s10, s2
	s_addc_u32 s1, s11, s1
	global_load_b64 v[5:6], v7, s[0:1]
	s_waitcnt vmcnt(0)
	v_fma_f64 v[0:1], v[1:2], v[5:6], v[3:4]
	global_store_b64 v7, v[0:1], s[0:1]
	s_nop 0
	s_sendmsg sendmsg(MSG_DEALLOC_VGPRS)
	s_endpgm
	.section	.rodata,"a",@progbits
	.p2align	6, 0x0
	.amdhsa_kernel _ZN9rocsparseL20bsrxmvn_17_32_kernelILj20EdllfddEEvT2_20rocsparse_direction_NS_24const_host_device_scalarIT0_EES1_PKS1_PKT1_SA_S7_PKT3_PKT4_S5_PT5_21rocsparse_index_base_b
		.amdhsa_group_segment_fixed_size 3200
		.amdhsa_private_segment_fixed_size 0
		.amdhsa_kernarg_size 104
		.amdhsa_user_sgpr_count 15
		.amdhsa_user_sgpr_dispatch_ptr 0
		.amdhsa_user_sgpr_queue_ptr 0
		.amdhsa_user_sgpr_kernarg_segment_ptr 1
		.amdhsa_user_sgpr_dispatch_id 0
		.amdhsa_user_sgpr_private_segment_size 0
		.amdhsa_wavefront_size32 1
		.amdhsa_uses_dynamic_stack 0
		.amdhsa_enable_private_segment 0
		.amdhsa_system_sgpr_workgroup_id_x 1
		.amdhsa_system_sgpr_workgroup_id_y 0
		.amdhsa_system_sgpr_workgroup_id_z 0
		.amdhsa_system_sgpr_workgroup_info 0
		.amdhsa_system_vgpr_workitem_id 0
		.amdhsa_next_free_vgpr 21
		.amdhsa_next_free_sgpr 22
		.amdhsa_reserve_vcc 1
		.amdhsa_float_round_mode_32 0
		.amdhsa_float_round_mode_16_64 0
		.amdhsa_float_denorm_mode_32 3
		.amdhsa_float_denorm_mode_16_64 3
		.amdhsa_dx10_clamp 1
		.amdhsa_ieee_mode 1
		.amdhsa_fp16_overflow 0
		.amdhsa_workgroup_processor_mode 1
		.amdhsa_memory_ordered 1
		.amdhsa_forward_progress 0
		.amdhsa_shared_vgpr_count 0
		.amdhsa_exception_fp_ieee_invalid_op 0
		.amdhsa_exception_fp_denorm_src 0
		.amdhsa_exception_fp_ieee_div_zero 0
		.amdhsa_exception_fp_ieee_overflow 0
		.amdhsa_exception_fp_ieee_underflow 0
		.amdhsa_exception_fp_ieee_inexact 0
		.amdhsa_exception_int_div_zero 0
	.end_amdhsa_kernel
	.section	.text._ZN9rocsparseL20bsrxmvn_17_32_kernelILj20EdllfddEEvT2_20rocsparse_direction_NS_24const_host_device_scalarIT0_EES1_PKS1_PKT1_SA_S7_PKT3_PKT4_S5_PT5_21rocsparse_index_base_b,"axG",@progbits,_ZN9rocsparseL20bsrxmvn_17_32_kernelILj20EdllfddEEvT2_20rocsparse_direction_NS_24const_host_device_scalarIT0_EES1_PKS1_PKT1_SA_S7_PKT3_PKT4_S5_PT5_21rocsparse_index_base_b,comdat
.Lfunc_end515:
	.size	_ZN9rocsparseL20bsrxmvn_17_32_kernelILj20EdllfddEEvT2_20rocsparse_direction_NS_24const_host_device_scalarIT0_EES1_PKS1_PKT1_SA_S7_PKT3_PKT4_S5_PT5_21rocsparse_index_base_b, .Lfunc_end515-_ZN9rocsparseL20bsrxmvn_17_32_kernelILj20EdllfddEEvT2_20rocsparse_direction_NS_24const_host_device_scalarIT0_EES1_PKS1_PKT1_SA_S7_PKT3_PKT4_S5_PT5_21rocsparse_index_base_b
                                        ; -- End function
	.section	.AMDGPU.csdata,"",@progbits
; Kernel info:
; codeLenInByte = 1712
; NumSgprs: 24
; NumVgprs: 21
; ScratchSize: 0
; MemoryBound: 0
; FloatMode: 240
; IeeeMode: 1
; LDSByteSize: 3200 bytes/workgroup (compile time only)
; SGPRBlocks: 2
; VGPRBlocks: 2
; NumSGPRsForWavesPerEU: 24
; NumVGPRsForWavesPerEU: 21
; Occupancy: 13
; WaveLimiterHint : 1
; COMPUTE_PGM_RSRC2:SCRATCH_EN: 0
; COMPUTE_PGM_RSRC2:USER_SGPR: 15
; COMPUTE_PGM_RSRC2:TRAP_HANDLER: 0
; COMPUTE_PGM_RSRC2:TGID_X_EN: 1
; COMPUTE_PGM_RSRC2:TGID_Y_EN: 0
; COMPUTE_PGM_RSRC2:TGID_Z_EN: 0
; COMPUTE_PGM_RSRC2:TIDIG_COMP_CNT: 0
	.section	.text._ZN9rocsparseL20bsrxmvn_17_32_kernelILj21EdllfddEEvT2_20rocsparse_direction_NS_24const_host_device_scalarIT0_EES1_PKS1_PKT1_SA_S7_PKT3_PKT4_S5_PT5_21rocsparse_index_base_b,"axG",@progbits,_ZN9rocsparseL20bsrxmvn_17_32_kernelILj21EdllfddEEvT2_20rocsparse_direction_NS_24const_host_device_scalarIT0_EES1_PKS1_PKT1_SA_S7_PKT3_PKT4_S5_PT5_21rocsparse_index_base_b,comdat
	.globl	_ZN9rocsparseL20bsrxmvn_17_32_kernelILj21EdllfddEEvT2_20rocsparse_direction_NS_24const_host_device_scalarIT0_EES1_PKS1_PKT1_SA_S7_PKT3_PKT4_S5_PT5_21rocsparse_index_base_b ; -- Begin function _ZN9rocsparseL20bsrxmvn_17_32_kernelILj21EdllfddEEvT2_20rocsparse_direction_NS_24const_host_device_scalarIT0_EES1_PKS1_PKT1_SA_S7_PKT3_PKT4_S5_PT5_21rocsparse_index_base_b
	.p2align	8
	.type	_ZN9rocsparseL20bsrxmvn_17_32_kernelILj21EdllfddEEvT2_20rocsparse_direction_NS_24const_host_device_scalarIT0_EES1_PKS1_PKT1_SA_S7_PKT3_PKT4_S5_PT5_21rocsparse_index_base_b,@function
_ZN9rocsparseL20bsrxmvn_17_32_kernelILj21EdllfddEEvT2_20rocsparse_direction_NS_24const_host_device_scalarIT0_EES1_PKS1_PKT1_SA_S7_PKT3_PKT4_S5_PT5_21rocsparse_index_base_b: ; @_ZN9rocsparseL20bsrxmvn_17_32_kernelILj21EdllfddEEvT2_20rocsparse_direction_NS_24const_host_device_scalarIT0_EES1_PKS1_PKT1_SA_S7_PKT3_PKT4_S5_PT5_21rocsparse_index_base_b
; %bb.0:
	s_clause 0x2
	s_load_b64 s[12:13], s[0:1], 0x60
	s_load_b64 s[4:5], s[0:1], 0x10
	;; [unrolled: 1-line block ×3, first 2 shown]
	s_mov_b32 s8, s15
	s_waitcnt lgkmcnt(0)
	s_bitcmp1_b32 s13, 0
	v_dual_mov_b32 v3, s4 :: v_dual_mov_b32 v4, s5
	s_cselect_b32 s6, -1, 0
	s_delay_alu instid0(SALU_CYCLE_1)
	s_and_b32 vcc_lo, exec_lo, s6
	s_xor_b32 s6, s6, -1
	s_cbranch_vccnz .LBB516_2
; %bb.1:
	v_dual_mov_b32 v1, s4 :: v_dual_mov_b32 v2, s5
	flat_load_b64 v[3:4], v[1:2]
.LBB516_2:
	v_dual_mov_b32 v1, s2 :: v_dual_mov_b32 v2, s3
	s_and_not1_b32 vcc_lo, exec_lo, s6
	s_cbranch_vccnz .LBB516_4
; %bb.3:
	v_dual_mov_b32 v1, s2 :: v_dual_mov_b32 v2, s3
	flat_load_b64 v[1:2], v[1:2]
.LBB516_4:
	s_waitcnt vmcnt(0) lgkmcnt(0)
	v_cmp_neq_f64_e32 vcc_lo, 0, v[3:4]
	v_cmp_neq_f64_e64 s2, 1.0, v[1:2]
	s_delay_alu instid0(VALU_DEP_1) | instskip(NEXT) | instid1(SALU_CYCLE_1)
	s_or_b32 s2, vcc_lo, s2
	s_and_saveexec_b32 s3, s2
	s_cbranch_execz .LBB516_38
; %bb.5:
	s_clause 0x1
	s_load_b128 s[4:7], s[0:1], 0x20
	s_load_b64 s[10:11], s[0:1], 0x30
	s_mov_b32 s9, 0
	s_waitcnt lgkmcnt(0)
	s_cmp_eq_u64 s[4:5], 0
	s_cbranch_scc1 .LBB516_7
; %bb.6:
	s_lshl_b64 s[2:3], s[8:9], 3
	s_delay_alu instid0(SALU_CYCLE_1)
	s_add_u32 s2, s4, s2
	s_addc_u32 s3, s5, s3
	s_load_b64 s[2:3], s[2:3], 0x0
	s_waitcnt lgkmcnt(0)
	s_sub_u32 s8, s2, s12
	s_subb_u32 s9, s3, 0
.LBB516_7:
	s_load_b32 s3, s[0:1], 0x8
	v_mul_u32_u24_e32 v5, 0xc31, v0
	s_delay_alu instid0(VALU_DEP_1) | instskip(NEXT) | instid1(VALU_DEP_1)
	v_lshrrev_b32_e32 v7, 16, v5
	v_mul_lo_u16 v5, v7, 21
	s_delay_alu instid0(VALU_DEP_1)
	v_sub_nc_u16 v13, v0, v5
	v_mov_b32_e32 v5, 0
	v_mov_b32_e32 v6, 0
	s_waitcnt lgkmcnt(0)
	s_cmp_eq_u32 s3, 1
	s_cselect_b32 s2, -1, 0
	s_cmp_lg_u32 s3, 1
	s_cselect_b32 s3, -1, 0
	s_lshl_b64 s[4:5], s[8:9], 3
	s_delay_alu instid0(SALU_CYCLE_1)
	s_add_u32 s6, s6, s4
	s_addc_u32 s7, s7, s5
	s_add_u32 s13, s6, 8
	s_addc_u32 s14, s7, 0
	;; [unrolled: 2-line block ×3, first 2 shown]
	s_cmp_eq_u64 s[10:11], 0
	s_load_b64 s[10:11], s[0:1], 0x58
	s_cselect_b32 s5, s14, s5
	s_cselect_b32 s4, s13, s4
	s_load_b64 s[16:17], s[6:7], 0x0
	s_load_b64 s[14:15], s[4:5], 0x0
	s_waitcnt lgkmcnt(0)
	v_cmp_ge_i64_e64 s4, s[16:17], s[14:15]
	s_delay_alu instid0(VALU_DEP_1)
	s_and_b32 vcc_lo, exec_lo, s4
	s_cbranch_vccnz .LBB516_12
; %bb.8:
	v_mul_lo_u16 v5, v7, 25
	v_and_b32_e32 v8, 0xffff, v0
	v_and_b32_e32 v6, 0xffff, v13
	s_clause 0x1
	s_load_b128 s[4:7], s[0:1], 0x38
	s_load_b64 s[18:19], s[0:1], 0x48
	s_sub_u32 s0, s14, s12
	v_lshrrev_b16 v5, 9, v5
	s_subb_u32 s1, s15, 0
	s_sub_u32 s14, s16, s12
	s_subb_u32 s15, s17, 0
	v_lshlrev_b32_e32 v9, 2, v0
	v_mul_lo_u16 v5, v5, 21
	s_mul_hi_u32 s13, s14, 0x6e4
	s_mul_i32 s20, s15, 0x6e4
	s_mul_i32 s21, s14, 0x6e4
	s_add_i32 s13, s13, s20
	v_sub_nc_u16 v5, v7, v5
	v_mul_u32_u24_e32 v7, 0x253, v8
	s_delay_alu instid0(VALU_DEP_2) | instskip(NEXT) | instid1(VALU_DEP_2)
	v_and_b32_e32 v5, 0xff, v5
	v_lshrrev_b32_e32 v14, 18, v7
	s_delay_alu instid0(VALU_DEP_2) | instskip(NEXT) | instid1(VALU_DEP_2)
	v_cndmask_b32_e64 v5, v6, v5, s2
	v_add_co_u32 v6, s2, s16, v14
	s_delay_alu instid0(VALU_DEP_1) | instskip(NEXT) | instid1(VALU_DEP_3)
	v_add_co_ci_u32_e64 v7, null, s17, 0, s2
	v_lshlrev_b32_e32 v8, 3, v5
	s_delay_alu instid0(VALU_DEP_3) | instskip(NEXT) | instid1(VALU_DEP_3)
	v_sub_co_u32 v5, vcc_lo, v6, s12
	v_subrev_co_ci_u32_e32 v6, vcc_lo, 0, v7, vcc_lo
	s_waitcnt lgkmcnt(0)
	s_add_u32 s2, s6, s21
	s_addc_u32 s6, s7, s13
	v_add_co_u32 v7, s7, s18, v8
	v_lshlrev_b64 v[11:12], 3, v[5:6]
	v_mov_b32_e32 v5, 0
	v_mov_b32_e32 v6, 0
	v_add_co_u32 v9, s2, s2, v9
	v_add_co_ci_u32_e64 v8, null, s19, 0, s7
	v_add_co_u32 v11, vcc_lo, s4, v11
	v_add_co_ci_u32_e64 v10, null, s6, 0, s2
	v_add_co_ci_u32_e32 v12, vcc_lo, s5, v12, vcc_lo
	s_set_inst_prefetch_distance 0x1
	s_branch .LBB516_10
	.p2align	6
.LBB516_9:                              ;   in Loop: Header=BB516_10 Depth=1
	s_or_b32 exec_lo, exec_lo, s2
	s_add_u32 s14, s14, 1
	s_addc_u32 s15, s15, 0
	v_add_co_u32 v11, vcc_lo, v11, 8
	v_cmp_lt_i64_e64 s2, s[14:15], s[0:1]
	v_add_co_ci_u32_e32 v12, vcc_lo, 0, v12, vcc_lo
	s_delay_alu instid0(VALU_DEP_2)
	s_and_b32 vcc_lo, exec_lo, s2
	s_cbranch_vccz .LBB516_12
.LBB516_10:                             ; =>This Inner Loop Header: Depth=1
	v_add_co_u32 v15, s2, v14, s14
	s_delay_alu instid0(VALU_DEP_1) | instskip(SKIP_1) | instid1(VALU_DEP_1)
	v_add_co_ci_u32_e64 v16, null, 0, s15, s2
	s_mov_b32 s2, exec_lo
	v_cmpx_gt_i64_e64 s[0:1], v[15:16]
	s_cbranch_execz .LBB516_9
; %bb.11:                               ;   in Loop: Header=BB516_10 Depth=1
	global_load_b64 v[15:16], v[11:12], off
	global_load_b32 v19, v[9:10], off
	s_waitcnt vmcnt(1)
	v_sub_co_u32 v17, vcc_lo, v15, s12
	v_subrev_co_ci_u32_e32 v20, vcc_lo, 0, v16, vcc_lo
	v_add_co_u32 v9, vcc_lo, 0x6e4, v9
	s_delay_alu instid0(VALU_DEP_3) | instskip(SKIP_1) | instid1(VALU_DEP_2)
	v_mad_u64_u32 v[15:16], null, 0xa8, v17, v[7:8]
	v_add_co_ci_u32_e32 v10, vcc_lo, 0, v10, vcc_lo
	v_mad_u64_u32 v[17:18], null, 0xa8, v20, v[16:17]
	s_delay_alu instid0(VALU_DEP_1)
	v_mov_b32_e32 v16, v17
	s_waitcnt vmcnt(0)
	v_cvt_f64_f32_e32 v[17:18], v19
	global_load_b64 v[15:16], v[15:16], off
	s_waitcnt vmcnt(0)
	v_fma_f64 v[5:6], v[17:18], v[15:16], v[5:6]
	s_branch .LBB516_9
.LBB516_12:
	s_set_inst_prefetch_distance 0x2
	v_lshlrev_b32_e32 v7, 3, v0
	s_and_b32 vcc_lo, exec_lo, s3
	ds_store_b64 v7, v[5:6]
	s_waitcnt lgkmcnt(0)
	s_barrier
	buffer_gl0_inv
	s_cbranch_vccz .LBB516_24
; %bb.13:
	s_mov_b32 s0, exec_lo
	v_cmpx_gt_u16_e32 5, v13
	s_cbranch_execz .LBB516_15
; %bb.14:
	ds_load_2addr_b64 v[8:11], v7 offset1:16
	s_waitcnt lgkmcnt(0)
	v_add_f64 v[8:9], v[10:11], v[8:9]
	ds_store_b64 v7, v[8:9]
.LBB516_15:
	s_or_b32 exec_lo, exec_lo, s0
	s_delay_alu instid0(SALU_CYCLE_1)
	s_mov_b32 s0, exec_lo
	s_waitcnt lgkmcnt(0)
	s_barrier
	buffer_gl0_inv
	v_cmpx_gt_u16_e32 8, v13
	s_cbranch_execz .LBB516_17
; %bb.16:
	ds_load_2addr_b64 v[8:11], v7 offset1:8
	s_waitcnt lgkmcnt(0)
	v_add_f64 v[8:9], v[10:11], v[8:9]
	ds_store_b64 v7, v[8:9]
.LBB516_17:
	s_or_b32 exec_lo, exec_lo, s0
	s_delay_alu instid0(SALU_CYCLE_1)
	s_mov_b32 s0, exec_lo
	s_waitcnt lgkmcnt(0)
	s_barrier
	buffer_gl0_inv
	;; [unrolled: 14-line block ×3, first 2 shown]
	v_cmpx_gt_u16_e32 2, v13
	s_cbranch_execz .LBB516_21
; %bb.20:
	ds_load_2addr_b64 v[8:11], v7 offset1:2
	s_waitcnt lgkmcnt(0)
	v_add_f64 v[8:9], v[10:11], v[8:9]
	ds_store_b64 v7, v[8:9]
.LBB516_21:
	s_or_b32 exec_lo, exec_lo, s0
	s_mov_b32 s1, 0
	s_mov_b32 s0, 0
	s_mov_b32 s2, exec_lo
	s_waitcnt lgkmcnt(0)
	s_barrier
	buffer_gl0_inv
                                        ; implicit-def: $vgpr8
                                        ; implicit-def: $vgpr9
	v_cmpx_gt_u32_e32 21, v0
	s_xor_b32 s2, exec_lo, s2
; %bb.22:
	v_mad_u32_u24 v8, v0, 21, 1
	v_mad_u32_u24 v9, 0xa0, v0, v7
	s_mov_b32 s0, exec_lo
; %bb.23:
	s_or_b32 exec_lo, exec_lo, s2
	s_delay_alu instid0(SALU_CYCLE_1)
	s_and_b32 vcc_lo, exec_lo, s1
	s_cbranch_vccnz .LBB516_25
	s_branch .LBB516_36
.LBB516_24:
	s_mov_b32 s0, 0
                                        ; implicit-def: $vgpr8
                                        ; implicit-def: $vgpr9
	s_cbranch_execz .LBB516_36
.LBB516_25:
	s_mov_b32 s1, exec_lo
	v_cmpx_gt_u32_e32 0x69, v0
	s_cbranch_execz .LBB516_27
; %bb.26:
	ds_load_b64 v[8:9], v7 offset:2688
	ds_load_b64 v[10:11], v7
	s_waitcnt lgkmcnt(0)
	v_add_f64 v[8:9], v[8:9], v[10:11]
	ds_store_b64 v7, v[8:9]
.LBB516_27:
	s_or_b32 exec_lo, exec_lo, s1
	s_delay_alu instid0(SALU_CYCLE_1)
	s_mov_b32 s1, exec_lo
	s_waitcnt lgkmcnt(0)
	s_barrier
	buffer_gl0_inv
	v_cmpx_gt_u32_e32 0xa8, v0
	s_cbranch_execz .LBB516_29
; %bb.28:
	ds_load_2addr_b64 v[8:11], v7 offset1:168
	s_waitcnt lgkmcnt(0)
	v_add_f64 v[8:9], v[10:11], v[8:9]
	ds_store_b64 v7, v[8:9]
.LBB516_29:
	s_or_b32 exec_lo, exec_lo, s1
	s_delay_alu instid0(SALU_CYCLE_1)
	s_mov_b32 s1, exec_lo
	s_waitcnt lgkmcnt(0)
	s_barrier
	buffer_gl0_inv
	v_cmpx_gt_u32_e32 0x54, v0
	s_cbranch_execz .LBB516_31
; %bb.30:
	ds_load_2addr_b64 v[8:11], v7 offset1:84
	s_waitcnt lgkmcnt(0)
	v_add_f64 v[8:9], v[10:11], v[8:9]
	ds_store_b64 v7, v[8:9]
.LBB516_31:
	;; [unrolled: 14-line block ×3, first 2 shown]
	s_or_b32 exec_lo, exec_lo, s1
	s_delay_alu instid0(SALU_CYCLE_1)
	s_mov_b32 s1, exec_lo
	s_waitcnt lgkmcnt(0)
	buffer_gl0_inv
                                        ; implicit-def: $vgpr8
	v_cmpx_gt_u32_e32 21, v0
; %bb.34:
	v_add_nc_u32_e32 v8, 21, v0
	s_or_b32 s0, s0, exec_lo
                                        ; implicit-def: $vgpr5_vgpr6
; %bb.35:
	s_or_b32 exec_lo, exec_lo, s1
	v_mov_b32_e32 v9, v7
.LBB516_36:
	s_and_saveexec_b32 s1, s0
	s_cbranch_execnz .LBB516_39
; %bb.37:
	s_or_b32 exec_lo, exec_lo, s1
	v_cmp_gt_u32_e32 vcc_lo, 21, v0
	s_and_b32 exec_lo, exec_lo, vcc_lo
	s_cbranch_execnz .LBB516_40
.LBB516_38:
	s_nop 0
	s_sendmsg sendmsg(MSG_DEALLOC_VGPRS)
	s_endpgm
.LBB516_39:
	v_lshlrev_b32_e32 v7, 3, v8
	ds_load_b64 v[5:6], v9
	ds_load_b64 v[7:8], v7
	s_waitcnt lgkmcnt(0)
	v_add_f64 v[5:6], v[5:6], v[7:8]
	s_or_b32 exec_lo, exec_lo, s1
	v_cmp_gt_u32_e32 vcc_lo, 21, v0
	s_and_b32 exec_lo, exec_lo, vcc_lo
	s_cbranch_execz .LBB516_38
.LBB516_40:
	s_delay_alu instid0(VALU_DEP_2)
	v_mul_f64 v[3:4], v[3:4], v[5:6]
	s_mul_i32 s0, s9, 0xa8
	s_mul_hi_u32 s1, s8, 0xa8
	s_mul_i32 s2, s8, 0xa8
	s_mov_b32 s3, exec_lo
	v_cmpx_eq_f64_e32 0, v[1:2]
	s_xor_b32 s3, exec_lo, s3
	s_cbranch_execz .LBB516_42
; %bb.41:
	v_lshlrev_b32_e32 v0, 3, v0
	s_add_i32 s5, s1, s0
	s_add_u32 s4, s10, s2
	s_addc_u32 s5, s11, s5
                                        ; implicit-def: $vgpr1_vgpr2
	global_store_b64 v0, v[3:4], s[4:5]
                                        ; implicit-def: $vgpr0
                                        ; implicit-def: $vgpr3_vgpr4
.LBB516_42:
	s_and_not1_saveexec_b32 s3, s3
	s_cbranch_execz .LBB516_38
; %bb.43:
	v_lshlrev_b32_e32 v7, 3, v0
	s_add_i32 s1, s1, s0
	s_add_u32 s0, s10, s2
	s_addc_u32 s1, s11, s1
	global_load_b64 v[5:6], v7, s[0:1]
	s_waitcnt vmcnt(0)
	v_fma_f64 v[0:1], v[1:2], v[5:6], v[3:4]
	global_store_b64 v7, v[0:1], s[0:1]
	s_nop 0
	s_sendmsg sendmsg(MSG_DEALLOC_VGPRS)
	s_endpgm
	.section	.rodata,"a",@progbits
	.p2align	6, 0x0
	.amdhsa_kernel _ZN9rocsparseL20bsrxmvn_17_32_kernelILj21EdllfddEEvT2_20rocsparse_direction_NS_24const_host_device_scalarIT0_EES1_PKS1_PKT1_SA_S7_PKT3_PKT4_S5_PT5_21rocsparse_index_base_b
		.amdhsa_group_segment_fixed_size 3528
		.amdhsa_private_segment_fixed_size 0
		.amdhsa_kernarg_size 104
		.amdhsa_user_sgpr_count 15
		.amdhsa_user_sgpr_dispatch_ptr 0
		.amdhsa_user_sgpr_queue_ptr 0
		.amdhsa_user_sgpr_kernarg_segment_ptr 1
		.amdhsa_user_sgpr_dispatch_id 0
		.amdhsa_user_sgpr_private_segment_size 0
		.amdhsa_wavefront_size32 1
		.amdhsa_uses_dynamic_stack 0
		.amdhsa_enable_private_segment 0
		.amdhsa_system_sgpr_workgroup_id_x 1
		.amdhsa_system_sgpr_workgroup_id_y 0
		.amdhsa_system_sgpr_workgroup_id_z 0
		.amdhsa_system_sgpr_workgroup_info 0
		.amdhsa_system_vgpr_workitem_id 0
		.amdhsa_next_free_vgpr 21
		.amdhsa_next_free_sgpr 22
		.amdhsa_reserve_vcc 1
		.amdhsa_float_round_mode_32 0
		.amdhsa_float_round_mode_16_64 0
		.amdhsa_float_denorm_mode_32 3
		.amdhsa_float_denorm_mode_16_64 3
		.amdhsa_dx10_clamp 1
		.amdhsa_ieee_mode 1
		.amdhsa_fp16_overflow 0
		.amdhsa_workgroup_processor_mode 1
		.amdhsa_memory_ordered 1
		.amdhsa_forward_progress 0
		.amdhsa_shared_vgpr_count 0
		.amdhsa_exception_fp_ieee_invalid_op 0
		.amdhsa_exception_fp_denorm_src 0
		.amdhsa_exception_fp_ieee_div_zero 0
		.amdhsa_exception_fp_ieee_overflow 0
		.amdhsa_exception_fp_ieee_underflow 0
		.amdhsa_exception_fp_ieee_inexact 0
		.amdhsa_exception_int_div_zero 0
	.end_amdhsa_kernel
	.section	.text._ZN9rocsparseL20bsrxmvn_17_32_kernelILj21EdllfddEEvT2_20rocsparse_direction_NS_24const_host_device_scalarIT0_EES1_PKS1_PKT1_SA_S7_PKT3_PKT4_S5_PT5_21rocsparse_index_base_b,"axG",@progbits,_ZN9rocsparseL20bsrxmvn_17_32_kernelILj21EdllfddEEvT2_20rocsparse_direction_NS_24const_host_device_scalarIT0_EES1_PKS1_PKT1_SA_S7_PKT3_PKT4_S5_PT5_21rocsparse_index_base_b,comdat
.Lfunc_end516:
	.size	_ZN9rocsparseL20bsrxmvn_17_32_kernelILj21EdllfddEEvT2_20rocsparse_direction_NS_24const_host_device_scalarIT0_EES1_PKS1_PKT1_SA_S7_PKT3_PKT4_S5_PT5_21rocsparse_index_base_b, .Lfunc_end516-_ZN9rocsparseL20bsrxmvn_17_32_kernelILj21EdllfddEEvT2_20rocsparse_direction_NS_24const_host_device_scalarIT0_EES1_PKS1_PKT1_SA_S7_PKT3_PKT4_S5_PT5_21rocsparse_index_base_b
                                        ; -- End function
	.section	.AMDGPU.csdata,"",@progbits
; Kernel info:
; codeLenInByte = 1736
; NumSgprs: 24
; NumVgprs: 21
; ScratchSize: 0
; MemoryBound: 0
; FloatMode: 240
; IeeeMode: 1
; LDSByteSize: 3528 bytes/workgroup (compile time only)
; SGPRBlocks: 2
; VGPRBlocks: 2
; NumSGPRsForWavesPerEU: 24
; NumVGPRsForWavesPerEU: 21
; Occupancy: 14
; WaveLimiterHint : 1
; COMPUTE_PGM_RSRC2:SCRATCH_EN: 0
; COMPUTE_PGM_RSRC2:USER_SGPR: 15
; COMPUTE_PGM_RSRC2:TRAP_HANDLER: 0
; COMPUTE_PGM_RSRC2:TGID_X_EN: 1
; COMPUTE_PGM_RSRC2:TGID_Y_EN: 0
; COMPUTE_PGM_RSRC2:TGID_Z_EN: 0
; COMPUTE_PGM_RSRC2:TIDIG_COMP_CNT: 0
	.section	.text._ZN9rocsparseL20bsrxmvn_17_32_kernelILj22EdllfddEEvT2_20rocsparse_direction_NS_24const_host_device_scalarIT0_EES1_PKS1_PKT1_SA_S7_PKT3_PKT4_S5_PT5_21rocsparse_index_base_b,"axG",@progbits,_ZN9rocsparseL20bsrxmvn_17_32_kernelILj22EdllfddEEvT2_20rocsparse_direction_NS_24const_host_device_scalarIT0_EES1_PKS1_PKT1_SA_S7_PKT3_PKT4_S5_PT5_21rocsparse_index_base_b,comdat
	.globl	_ZN9rocsparseL20bsrxmvn_17_32_kernelILj22EdllfddEEvT2_20rocsparse_direction_NS_24const_host_device_scalarIT0_EES1_PKS1_PKT1_SA_S7_PKT3_PKT4_S5_PT5_21rocsparse_index_base_b ; -- Begin function _ZN9rocsparseL20bsrxmvn_17_32_kernelILj22EdllfddEEvT2_20rocsparse_direction_NS_24const_host_device_scalarIT0_EES1_PKS1_PKT1_SA_S7_PKT3_PKT4_S5_PT5_21rocsparse_index_base_b
	.p2align	8
	.type	_ZN9rocsparseL20bsrxmvn_17_32_kernelILj22EdllfddEEvT2_20rocsparse_direction_NS_24const_host_device_scalarIT0_EES1_PKS1_PKT1_SA_S7_PKT3_PKT4_S5_PT5_21rocsparse_index_base_b,@function
_ZN9rocsparseL20bsrxmvn_17_32_kernelILj22EdllfddEEvT2_20rocsparse_direction_NS_24const_host_device_scalarIT0_EES1_PKS1_PKT1_SA_S7_PKT3_PKT4_S5_PT5_21rocsparse_index_base_b: ; @_ZN9rocsparseL20bsrxmvn_17_32_kernelILj22EdllfddEEvT2_20rocsparse_direction_NS_24const_host_device_scalarIT0_EES1_PKS1_PKT1_SA_S7_PKT3_PKT4_S5_PT5_21rocsparse_index_base_b
; %bb.0:
	s_clause 0x2
	s_load_b64 s[12:13], s[0:1], 0x60
	s_load_b64 s[4:5], s[0:1], 0x10
	;; [unrolled: 1-line block ×3, first 2 shown]
	s_mov_b32 s8, s15
	s_waitcnt lgkmcnt(0)
	s_bitcmp1_b32 s13, 0
	v_dual_mov_b32 v3, s4 :: v_dual_mov_b32 v4, s5
	s_cselect_b32 s6, -1, 0
	s_delay_alu instid0(SALU_CYCLE_1)
	s_and_b32 vcc_lo, exec_lo, s6
	s_xor_b32 s6, s6, -1
	s_cbranch_vccnz .LBB517_2
; %bb.1:
	v_dual_mov_b32 v1, s4 :: v_dual_mov_b32 v2, s5
	flat_load_b64 v[3:4], v[1:2]
.LBB517_2:
	v_dual_mov_b32 v1, s2 :: v_dual_mov_b32 v2, s3
	s_and_not1_b32 vcc_lo, exec_lo, s6
	s_cbranch_vccnz .LBB517_4
; %bb.3:
	v_dual_mov_b32 v1, s2 :: v_dual_mov_b32 v2, s3
	flat_load_b64 v[1:2], v[1:2]
.LBB517_4:
	s_waitcnt vmcnt(0) lgkmcnt(0)
	v_cmp_neq_f64_e32 vcc_lo, 0, v[3:4]
	v_cmp_neq_f64_e64 s2, 1.0, v[1:2]
	s_delay_alu instid0(VALU_DEP_1) | instskip(NEXT) | instid1(SALU_CYCLE_1)
	s_or_b32 s2, vcc_lo, s2
	s_and_saveexec_b32 s3, s2
	s_cbranch_execz .LBB517_38
; %bb.5:
	s_clause 0x1
	s_load_b128 s[4:7], s[0:1], 0x20
	s_load_b64 s[10:11], s[0:1], 0x30
	s_mov_b32 s9, 0
	s_waitcnt lgkmcnt(0)
	s_cmp_eq_u64 s[4:5], 0
	s_cbranch_scc1 .LBB517_7
; %bb.6:
	s_lshl_b64 s[2:3], s[8:9], 3
	s_delay_alu instid0(SALU_CYCLE_1)
	s_add_u32 s2, s4, s2
	s_addc_u32 s3, s5, s3
	s_load_b64 s[2:3], s[2:3], 0x0
	s_waitcnt lgkmcnt(0)
	s_sub_u32 s8, s2, s12
	s_subb_u32 s9, s3, 0
.LBB517_7:
	s_load_b32 s3, s[0:1], 0x8
	v_mul_u32_u24_e32 v5, 0xba3, v0
	s_delay_alu instid0(VALU_DEP_1) | instskip(NEXT) | instid1(VALU_DEP_1)
	v_lshrrev_b32_e32 v7, 16, v5
	v_mul_lo_u16 v5, v7, 22
	s_delay_alu instid0(VALU_DEP_1)
	v_sub_nc_u16 v13, v0, v5
	v_mov_b32_e32 v5, 0
	v_mov_b32_e32 v6, 0
	s_waitcnt lgkmcnt(0)
	s_cmp_eq_u32 s3, 1
	s_cselect_b32 s2, -1, 0
	s_cmp_lg_u32 s3, 1
	s_cselect_b32 s3, -1, 0
	s_lshl_b64 s[4:5], s[8:9], 3
	s_delay_alu instid0(SALU_CYCLE_1)
	s_add_u32 s6, s6, s4
	s_addc_u32 s7, s7, s5
	s_add_u32 s13, s6, 8
	s_addc_u32 s14, s7, 0
	;; [unrolled: 2-line block ×3, first 2 shown]
	s_cmp_eq_u64 s[10:11], 0
	s_load_b64 s[10:11], s[0:1], 0x58
	s_cselect_b32 s5, s14, s5
	s_cselect_b32 s4, s13, s4
	s_load_b64 s[16:17], s[6:7], 0x0
	s_load_b64 s[14:15], s[4:5], 0x0
	s_waitcnt lgkmcnt(0)
	v_cmp_ge_i64_e64 s4, s[16:17], s[14:15]
	s_delay_alu instid0(VALU_DEP_1)
	s_and_b32 vcc_lo, exec_lo, s4
	s_cbranch_vccnz .LBB517_12
; %bb.8:
	v_mul_lo_u16 v5, v7, 12
	v_and_b32_e32 v8, 0xffff, v0
	v_and_b32_e32 v6, 0xffff, v13
	s_clause 0x1
	s_load_b128 s[4:7], s[0:1], 0x38
	s_load_b64 s[18:19], s[0:1], 0x48
	s_sub_u32 s0, s14, s12
	v_lshrrev_b16 v5, 8, v5
	s_subb_u32 s1, s15, 0
	s_sub_u32 s14, s16, s12
	s_subb_u32 s15, s17, 0
	v_lshlrev_b32_e32 v9, 2, v0
	v_mul_lo_u16 v5, v5, 22
	s_mul_hi_u32 s13, s14, 0x790
	s_mul_i32 s20, s15, 0x790
	s_mul_i32 s21, s14, 0x790
	s_add_i32 s13, s13, s20
	v_sub_nc_u16 v5, v7, v5
	v_mul_u32_u24_e32 v7, 0x10f, v8
	s_delay_alu instid0(VALU_DEP_2) | instskip(NEXT) | instid1(VALU_DEP_2)
	v_and_b32_e32 v5, 0xff, v5
	v_lshrrev_b32_e32 v14, 17, v7
	s_delay_alu instid0(VALU_DEP_2) | instskip(NEXT) | instid1(VALU_DEP_2)
	v_cndmask_b32_e64 v5, v6, v5, s2
	v_add_co_u32 v6, s2, s16, v14
	s_delay_alu instid0(VALU_DEP_1) | instskip(NEXT) | instid1(VALU_DEP_3)
	v_add_co_ci_u32_e64 v7, null, s17, 0, s2
	v_lshlrev_b32_e32 v8, 3, v5
	s_delay_alu instid0(VALU_DEP_3) | instskip(NEXT) | instid1(VALU_DEP_3)
	v_sub_co_u32 v5, vcc_lo, v6, s12
	v_subrev_co_ci_u32_e32 v6, vcc_lo, 0, v7, vcc_lo
	s_waitcnt lgkmcnt(0)
	s_add_u32 s2, s6, s21
	s_addc_u32 s6, s7, s13
	v_add_co_u32 v7, s7, s18, v8
	v_lshlrev_b64 v[11:12], 3, v[5:6]
	v_mov_b32_e32 v5, 0
	v_mov_b32_e32 v6, 0
	v_add_co_u32 v9, s2, s2, v9
	v_add_co_ci_u32_e64 v8, null, s19, 0, s7
	v_add_co_u32 v11, vcc_lo, s4, v11
	v_add_co_ci_u32_e64 v10, null, s6, 0, s2
	v_add_co_ci_u32_e32 v12, vcc_lo, s5, v12, vcc_lo
	s_set_inst_prefetch_distance 0x1
	s_branch .LBB517_10
	.p2align	6
.LBB517_9:                              ;   in Loop: Header=BB517_10 Depth=1
	s_or_b32 exec_lo, exec_lo, s2
	s_add_u32 s14, s14, 1
	s_addc_u32 s15, s15, 0
	v_add_co_u32 v11, vcc_lo, v11, 8
	v_cmp_lt_i64_e64 s2, s[14:15], s[0:1]
	v_add_co_ci_u32_e32 v12, vcc_lo, 0, v12, vcc_lo
	s_delay_alu instid0(VALU_DEP_2)
	s_and_b32 vcc_lo, exec_lo, s2
	s_cbranch_vccz .LBB517_12
.LBB517_10:                             ; =>This Inner Loop Header: Depth=1
	v_add_co_u32 v15, s2, v14, s14
	s_delay_alu instid0(VALU_DEP_1) | instskip(SKIP_1) | instid1(VALU_DEP_1)
	v_add_co_ci_u32_e64 v16, null, 0, s15, s2
	s_mov_b32 s2, exec_lo
	v_cmpx_gt_i64_e64 s[0:1], v[15:16]
	s_cbranch_execz .LBB517_9
; %bb.11:                               ;   in Loop: Header=BB517_10 Depth=1
	global_load_b64 v[15:16], v[11:12], off
	global_load_b32 v19, v[9:10], off
	s_waitcnt vmcnt(1)
	v_sub_co_u32 v17, vcc_lo, v15, s12
	v_subrev_co_ci_u32_e32 v20, vcc_lo, 0, v16, vcc_lo
	v_add_co_u32 v9, vcc_lo, 0x790, v9
	s_delay_alu instid0(VALU_DEP_3) | instskip(SKIP_1) | instid1(VALU_DEP_2)
	v_mad_u64_u32 v[15:16], null, 0xb0, v17, v[7:8]
	v_add_co_ci_u32_e32 v10, vcc_lo, 0, v10, vcc_lo
	v_mad_u64_u32 v[17:18], null, 0xb0, v20, v[16:17]
	s_delay_alu instid0(VALU_DEP_1)
	v_mov_b32_e32 v16, v17
	s_waitcnt vmcnt(0)
	v_cvt_f64_f32_e32 v[17:18], v19
	global_load_b64 v[15:16], v[15:16], off
	s_waitcnt vmcnt(0)
	v_fma_f64 v[5:6], v[17:18], v[15:16], v[5:6]
	s_branch .LBB517_9
.LBB517_12:
	s_set_inst_prefetch_distance 0x2
	v_lshlrev_b32_e32 v7, 3, v0
	s_and_b32 vcc_lo, exec_lo, s3
	ds_store_b64 v7, v[5:6]
	s_waitcnt lgkmcnt(0)
	s_barrier
	buffer_gl0_inv
	s_cbranch_vccz .LBB517_24
; %bb.13:
	s_mov_b32 s0, exec_lo
	v_cmpx_gt_u16_e32 6, v13
	s_cbranch_execz .LBB517_15
; %bb.14:
	ds_load_2addr_b64 v[8:11], v7 offset1:16
	s_waitcnt lgkmcnt(0)
	v_add_f64 v[8:9], v[10:11], v[8:9]
	ds_store_b64 v7, v[8:9]
.LBB517_15:
	s_or_b32 exec_lo, exec_lo, s0
	s_delay_alu instid0(SALU_CYCLE_1)
	s_mov_b32 s0, exec_lo
	s_waitcnt lgkmcnt(0)
	s_barrier
	buffer_gl0_inv
	v_cmpx_gt_u16_e32 8, v13
	s_cbranch_execz .LBB517_17
; %bb.16:
	ds_load_2addr_b64 v[8:11], v7 offset1:8
	s_waitcnt lgkmcnt(0)
	v_add_f64 v[8:9], v[10:11], v[8:9]
	ds_store_b64 v7, v[8:9]
.LBB517_17:
	s_or_b32 exec_lo, exec_lo, s0
	s_delay_alu instid0(SALU_CYCLE_1)
	s_mov_b32 s0, exec_lo
	s_waitcnt lgkmcnt(0)
	s_barrier
	buffer_gl0_inv
	;; [unrolled: 14-line block ×3, first 2 shown]
	v_cmpx_gt_u16_e32 2, v13
	s_cbranch_execz .LBB517_21
; %bb.20:
	ds_load_2addr_b64 v[8:11], v7 offset1:2
	s_waitcnt lgkmcnt(0)
	v_add_f64 v[8:9], v[10:11], v[8:9]
	ds_store_b64 v7, v[8:9]
.LBB517_21:
	s_or_b32 exec_lo, exec_lo, s0
	s_mov_b32 s1, 0
	s_mov_b32 s0, 0
	s_mov_b32 s2, exec_lo
	s_waitcnt lgkmcnt(0)
	s_barrier
	buffer_gl0_inv
                                        ; implicit-def: $vgpr8
                                        ; implicit-def: $vgpr9
	v_cmpx_gt_u32_e32 22, v0
	s_xor_b32 s2, exec_lo, s2
; %bb.22:
	v_mul_u32_u24_e32 v8, 22, v0
	v_mad_u32_u24 v9, 0xa8, v0, v7
	s_mov_b32 s0, exec_lo
	s_delay_alu instid0(VALU_DEP_2)
	v_or_b32_e32 v8, 1, v8
; %bb.23:
	s_or_b32 exec_lo, exec_lo, s2
	s_delay_alu instid0(SALU_CYCLE_1)
	s_and_b32 vcc_lo, exec_lo, s1
	s_cbranch_vccnz .LBB517_25
	s_branch .LBB517_36
.LBB517_24:
	s_mov_b32 s0, 0
                                        ; implicit-def: $vgpr8
                                        ; implicit-def: $vgpr9
	s_cbranch_execz .LBB517_36
.LBB517_25:
	s_mov_b32 s1, exec_lo
	v_cmpx_gt_u32_e32 0x84, v0
	s_cbranch_execz .LBB517_27
; %bb.26:
	ds_load_b64 v[8:9], v7 offset:2816
	ds_load_b64 v[10:11], v7
	s_waitcnt lgkmcnt(0)
	v_add_f64 v[8:9], v[8:9], v[10:11]
	ds_store_b64 v7, v[8:9]
.LBB517_27:
	s_or_b32 exec_lo, exec_lo, s1
	s_delay_alu instid0(SALU_CYCLE_1)
	s_mov_b32 s1, exec_lo
	s_waitcnt lgkmcnt(0)
	s_barrier
	buffer_gl0_inv
	v_cmpx_gt_u32_e32 0xb0, v0
	s_cbranch_execz .LBB517_29
; %bb.28:
	ds_load_2addr_b64 v[8:11], v7 offset1:176
	s_waitcnt lgkmcnt(0)
	v_add_f64 v[8:9], v[10:11], v[8:9]
	ds_store_b64 v7, v[8:9]
.LBB517_29:
	s_or_b32 exec_lo, exec_lo, s1
	s_delay_alu instid0(SALU_CYCLE_1)
	s_mov_b32 s1, exec_lo
	s_waitcnt lgkmcnt(0)
	s_barrier
	buffer_gl0_inv
	v_cmpx_gt_u32_e32 0x58, v0
	s_cbranch_execz .LBB517_31
; %bb.30:
	ds_load_2addr_b64 v[8:11], v7 offset1:88
	s_waitcnt lgkmcnt(0)
	v_add_f64 v[8:9], v[10:11], v[8:9]
	ds_store_b64 v7, v[8:9]
.LBB517_31:
	;; [unrolled: 14-line block ×3, first 2 shown]
	s_or_b32 exec_lo, exec_lo, s1
	s_delay_alu instid0(SALU_CYCLE_1)
	s_mov_b32 s1, exec_lo
	s_waitcnt lgkmcnt(0)
	buffer_gl0_inv
                                        ; implicit-def: $vgpr8
	v_cmpx_gt_u32_e32 22, v0
; %bb.34:
	v_add_nc_u32_e32 v8, 22, v0
	s_or_b32 s0, s0, exec_lo
                                        ; implicit-def: $vgpr5_vgpr6
; %bb.35:
	s_or_b32 exec_lo, exec_lo, s1
	v_mov_b32_e32 v9, v7
.LBB517_36:
	s_and_saveexec_b32 s1, s0
	s_cbranch_execnz .LBB517_39
; %bb.37:
	s_or_b32 exec_lo, exec_lo, s1
	v_cmp_gt_u32_e32 vcc_lo, 22, v0
	s_and_b32 exec_lo, exec_lo, vcc_lo
	s_cbranch_execnz .LBB517_40
.LBB517_38:
	s_nop 0
	s_sendmsg sendmsg(MSG_DEALLOC_VGPRS)
	s_endpgm
.LBB517_39:
	v_lshlrev_b32_e32 v7, 3, v8
	ds_load_b64 v[5:6], v9
	ds_load_b64 v[7:8], v7
	s_waitcnt lgkmcnt(0)
	v_add_f64 v[5:6], v[5:6], v[7:8]
	s_or_b32 exec_lo, exec_lo, s1
	v_cmp_gt_u32_e32 vcc_lo, 22, v0
	s_and_b32 exec_lo, exec_lo, vcc_lo
	s_cbranch_execz .LBB517_38
.LBB517_40:
	s_delay_alu instid0(VALU_DEP_2)
	v_mul_f64 v[3:4], v[3:4], v[5:6]
	s_mul_i32 s0, s9, 0xb0
	s_mul_hi_u32 s1, s8, 0xb0
	s_mul_i32 s2, s8, 0xb0
	s_mov_b32 s3, exec_lo
	v_cmpx_eq_f64_e32 0, v[1:2]
	s_xor_b32 s3, exec_lo, s3
	s_cbranch_execz .LBB517_42
; %bb.41:
	v_lshlrev_b32_e32 v0, 3, v0
	s_add_i32 s5, s1, s0
	s_add_u32 s4, s10, s2
	s_addc_u32 s5, s11, s5
                                        ; implicit-def: $vgpr1_vgpr2
	global_store_b64 v0, v[3:4], s[4:5]
                                        ; implicit-def: $vgpr0
                                        ; implicit-def: $vgpr3_vgpr4
.LBB517_42:
	s_and_not1_saveexec_b32 s3, s3
	s_cbranch_execz .LBB517_38
; %bb.43:
	v_lshlrev_b32_e32 v7, 3, v0
	s_add_i32 s1, s1, s0
	s_add_u32 s0, s10, s2
	s_addc_u32 s1, s11, s1
	global_load_b64 v[5:6], v7, s[0:1]
	s_waitcnt vmcnt(0)
	v_fma_f64 v[0:1], v[1:2], v[5:6], v[3:4]
	global_store_b64 v7, v[0:1], s[0:1]
	s_nop 0
	s_sendmsg sendmsg(MSG_DEALLOC_VGPRS)
	s_endpgm
	.section	.rodata,"a",@progbits
	.p2align	6, 0x0
	.amdhsa_kernel _ZN9rocsparseL20bsrxmvn_17_32_kernelILj22EdllfddEEvT2_20rocsparse_direction_NS_24const_host_device_scalarIT0_EES1_PKS1_PKT1_SA_S7_PKT3_PKT4_S5_PT5_21rocsparse_index_base_b
		.amdhsa_group_segment_fixed_size 3872
		.amdhsa_private_segment_fixed_size 0
		.amdhsa_kernarg_size 104
		.amdhsa_user_sgpr_count 15
		.amdhsa_user_sgpr_dispatch_ptr 0
		.amdhsa_user_sgpr_queue_ptr 0
		.amdhsa_user_sgpr_kernarg_segment_ptr 1
		.amdhsa_user_sgpr_dispatch_id 0
		.amdhsa_user_sgpr_private_segment_size 0
		.amdhsa_wavefront_size32 1
		.amdhsa_uses_dynamic_stack 0
		.amdhsa_enable_private_segment 0
		.amdhsa_system_sgpr_workgroup_id_x 1
		.amdhsa_system_sgpr_workgroup_id_y 0
		.amdhsa_system_sgpr_workgroup_id_z 0
		.amdhsa_system_sgpr_workgroup_info 0
		.amdhsa_system_vgpr_workitem_id 0
		.amdhsa_next_free_vgpr 21
		.amdhsa_next_free_sgpr 22
		.amdhsa_reserve_vcc 1
		.amdhsa_float_round_mode_32 0
		.amdhsa_float_round_mode_16_64 0
		.amdhsa_float_denorm_mode_32 3
		.amdhsa_float_denorm_mode_16_64 3
		.amdhsa_dx10_clamp 1
		.amdhsa_ieee_mode 1
		.amdhsa_fp16_overflow 0
		.amdhsa_workgroup_processor_mode 1
		.amdhsa_memory_ordered 1
		.amdhsa_forward_progress 0
		.amdhsa_shared_vgpr_count 0
		.amdhsa_exception_fp_ieee_invalid_op 0
		.amdhsa_exception_fp_denorm_src 0
		.amdhsa_exception_fp_ieee_div_zero 0
		.amdhsa_exception_fp_ieee_overflow 0
		.amdhsa_exception_fp_ieee_underflow 0
		.amdhsa_exception_fp_ieee_inexact 0
		.amdhsa_exception_int_div_zero 0
	.end_amdhsa_kernel
	.section	.text._ZN9rocsparseL20bsrxmvn_17_32_kernelILj22EdllfddEEvT2_20rocsparse_direction_NS_24const_host_device_scalarIT0_EES1_PKS1_PKT1_SA_S7_PKT3_PKT4_S5_PT5_21rocsparse_index_base_b,"axG",@progbits,_ZN9rocsparseL20bsrxmvn_17_32_kernelILj22EdllfddEEvT2_20rocsparse_direction_NS_24const_host_device_scalarIT0_EES1_PKS1_PKT1_SA_S7_PKT3_PKT4_S5_PT5_21rocsparse_index_base_b,comdat
.Lfunc_end517:
	.size	_ZN9rocsparseL20bsrxmvn_17_32_kernelILj22EdllfddEEvT2_20rocsparse_direction_NS_24const_host_device_scalarIT0_EES1_PKS1_PKT1_SA_S7_PKT3_PKT4_S5_PT5_21rocsparse_index_base_b, .Lfunc_end517-_ZN9rocsparseL20bsrxmvn_17_32_kernelILj22EdllfddEEvT2_20rocsparse_direction_NS_24const_host_device_scalarIT0_EES1_PKS1_PKT1_SA_S7_PKT3_PKT4_S5_PT5_21rocsparse_index_base_b
                                        ; -- End function
	.section	.AMDGPU.csdata,"",@progbits
; Kernel info:
; codeLenInByte = 1740
; NumSgprs: 24
; NumVgprs: 21
; ScratchSize: 0
; MemoryBound: 0
; FloatMode: 240
; IeeeMode: 1
; LDSByteSize: 3872 bytes/workgroup (compile time only)
; SGPRBlocks: 2
; VGPRBlocks: 2
; NumSGPRsForWavesPerEU: 24
; NumVGPRsForWavesPerEU: 21
; Occupancy: 16
; WaveLimiterHint : 1
; COMPUTE_PGM_RSRC2:SCRATCH_EN: 0
; COMPUTE_PGM_RSRC2:USER_SGPR: 15
; COMPUTE_PGM_RSRC2:TRAP_HANDLER: 0
; COMPUTE_PGM_RSRC2:TGID_X_EN: 1
; COMPUTE_PGM_RSRC2:TGID_Y_EN: 0
; COMPUTE_PGM_RSRC2:TGID_Z_EN: 0
; COMPUTE_PGM_RSRC2:TIDIG_COMP_CNT: 0
	.section	.text._ZN9rocsparseL20bsrxmvn_17_32_kernelILj23EdllfddEEvT2_20rocsparse_direction_NS_24const_host_device_scalarIT0_EES1_PKS1_PKT1_SA_S7_PKT3_PKT4_S5_PT5_21rocsparse_index_base_b,"axG",@progbits,_ZN9rocsparseL20bsrxmvn_17_32_kernelILj23EdllfddEEvT2_20rocsparse_direction_NS_24const_host_device_scalarIT0_EES1_PKS1_PKT1_SA_S7_PKT3_PKT4_S5_PT5_21rocsparse_index_base_b,comdat
	.globl	_ZN9rocsparseL20bsrxmvn_17_32_kernelILj23EdllfddEEvT2_20rocsparse_direction_NS_24const_host_device_scalarIT0_EES1_PKS1_PKT1_SA_S7_PKT3_PKT4_S5_PT5_21rocsparse_index_base_b ; -- Begin function _ZN9rocsparseL20bsrxmvn_17_32_kernelILj23EdllfddEEvT2_20rocsparse_direction_NS_24const_host_device_scalarIT0_EES1_PKS1_PKT1_SA_S7_PKT3_PKT4_S5_PT5_21rocsparse_index_base_b
	.p2align	8
	.type	_ZN9rocsparseL20bsrxmvn_17_32_kernelILj23EdllfddEEvT2_20rocsparse_direction_NS_24const_host_device_scalarIT0_EES1_PKS1_PKT1_SA_S7_PKT3_PKT4_S5_PT5_21rocsparse_index_base_b,@function
_ZN9rocsparseL20bsrxmvn_17_32_kernelILj23EdllfddEEvT2_20rocsparse_direction_NS_24const_host_device_scalarIT0_EES1_PKS1_PKT1_SA_S7_PKT3_PKT4_S5_PT5_21rocsparse_index_base_b: ; @_ZN9rocsparseL20bsrxmvn_17_32_kernelILj23EdllfddEEvT2_20rocsparse_direction_NS_24const_host_device_scalarIT0_EES1_PKS1_PKT1_SA_S7_PKT3_PKT4_S5_PT5_21rocsparse_index_base_b
; %bb.0:
	s_clause 0x2
	s_load_b64 s[12:13], s[0:1], 0x60
	s_load_b64 s[4:5], s[0:1], 0x10
	s_load_b64 s[2:3], s[0:1], 0x50
	s_mov_b32 s8, s15
	s_waitcnt lgkmcnt(0)
	s_bitcmp1_b32 s13, 0
	v_dual_mov_b32 v3, s4 :: v_dual_mov_b32 v4, s5
	s_cselect_b32 s6, -1, 0
	s_delay_alu instid0(SALU_CYCLE_1)
	s_and_b32 vcc_lo, exec_lo, s6
	s_xor_b32 s6, s6, -1
	s_cbranch_vccnz .LBB518_2
; %bb.1:
	v_dual_mov_b32 v1, s4 :: v_dual_mov_b32 v2, s5
	flat_load_b64 v[3:4], v[1:2]
.LBB518_2:
	v_dual_mov_b32 v1, s2 :: v_dual_mov_b32 v2, s3
	s_and_not1_b32 vcc_lo, exec_lo, s6
	s_cbranch_vccnz .LBB518_4
; %bb.3:
	v_dual_mov_b32 v1, s2 :: v_dual_mov_b32 v2, s3
	flat_load_b64 v[1:2], v[1:2]
.LBB518_4:
	s_waitcnt vmcnt(0) lgkmcnt(0)
	v_cmp_neq_f64_e32 vcc_lo, 0, v[3:4]
	v_cmp_neq_f64_e64 s2, 1.0, v[1:2]
	s_delay_alu instid0(VALU_DEP_1) | instskip(NEXT) | instid1(SALU_CYCLE_1)
	s_or_b32 s2, vcc_lo, s2
	s_and_saveexec_b32 s3, s2
	s_cbranch_execz .LBB518_38
; %bb.5:
	s_clause 0x1
	s_load_b128 s[4:7], s[0:1], 0x20
	s_load_b64 s[10:11], s[0:1], 0x30
	s_mov_b32 s9, 0
	s_waitcnt lgkmcnt(0)
	s_cmp_eq_u64 s[4:5], 0
	s_cbranch_scc1 .LBB518_7
; %bb.6:
	s_lshl_b64 s[2:3], s[8:9], 3
	s_delay_alu instid0(SALU_CYCLE_1)
	s_add_u32 s2, s4, s2
	s_addc_u32 s3, s5, s3
	s_load_b64 s[2:3], s[2:3], 0x0
	s_waitcnt lgkmcnt(0)
	s_sub_u32 s8, s2, s12
	s_subb_u32 s9, s3, 0
.LBB518_7:
	s_load_b32 s3, s[0:1], 0x8
	v_mul_u32_u24_e32 v5, 0xb22, v0
	s_delay_alu instid0(VALU_DEP_1) | instskip(NEXT) | instid1(VALU_DEP_1)
	v_lshrrev_b32_e32 v7, 16, v5
	v_mul_lo_u16 v5, v7, 23
	s_delay_alu instid0(VALU_DEP_1)
	v_sub_nc_u16 v13, v0, v5
	v_mov_b32_e32 v5, 0
	v_mov_b32_e32 v6, 0
	s_waitcnt lgkmcnt(0)
	s_cmp_eq_u32 s3, 1
	s_cselect_b32 s2, -1, 0
	s_cmp_lg_u32 s3, 1
	s_cselect_b32 s13, -1, 0
	s_lshl_b64 s[4:5], s[8:9], 3
	s_delay_alu instid0(SALU_CYCLE_1)
	s_add_u32 s6, s6, s4
	s_addc_u32 s7, s7, s5
	s_add_u32 s3, s6, 8
	s_addc_u32 s14, s7, 0
	;; [unrolled: 2-line block ×3, first 2 shown]
	s_cmp_eq_u64 s[10:11], 0
	s_load_b64 s[10:11], s[0:1], 0x58
	s_cselect_b32 s5, s14, s5
	s_cselect_b32 s4, s3, s4
	s_load_b64 s[14:15], s[6:7], 0x0
	s_load_b64 s[16:17], s[4:5], 0x0
	s_waitcnt lgkmcnt(0)
	v_cmp_ge_i64_e64 s3, s[14:15], s[16:17]
	s_delay_alu instid0(VALU_DEP_1)
	s_and_b32 vcc_lo, exec_lo, s3
	s_cbranch_vccnz .LBB518_12
; %bb.8:
	v_dual_mov_b32 v6, 0 :: v_dual_and_b32 v5, 0xffff, v7
	v_cmp_gt_u32_e32 vcc_lo, 0x211, v0
	s_clause 0x1
	s_load_b128 s[4:7], s[0:1], 0x38
	s_load_b64 s[18:19], s[0:1], 0x48
	v_and_b32_e32 v8, 0xffff, v13
	v_subrev_nc_u32_e32 v7, 23, v5
	s_sub_u32 s0, s16, s12
	s_subb_u32 s1, s17, 0
	s_delay_alu instid0(VALU_DEP_1) | instskip(SKIP_1) | instid1(VALU_DEP_2)
	v_cndmask_b32_e32 v5, v7, v5, vcc_lo
	v_cmp_lt_u32_e32 vcc_lo, 0x210, v0
	v_cndmask_b32_e64 v5, v8, v5, s2
	v_cndmask_b32_e64 v14, 0, 1, vcc_lo
	s_sub_u32 s2, s14, s12
	s_subb_u32 s3, s15, 0
	s_mul_hi_u32 s16, s2, 0x844
	v_lshlrev_b64 v[5:6], 3, v[5:6]
	v_add_co_u32 v9, s14, s14, v14
	s_delay_alu instid0(VALU_DEP_1) | instskip(SKIP_2) | instid1(VALU_DEP_3)
	v_add_co_ci_u32_e64 v10, null, s15, 0, s14
	s_mul_i32 s17, s3, 0x844
	s_waitcnt lgkmcnt(0)
	v_add_co_u32 v7, vcc_lo, s18, v5
	v_add_co_ci_u32_e32 v8, vcc_lo, s19, v6, vcc_lo
	v_sub_co_u32 v5, vcc_lo, v9, s12
	v_subrev_co_ci_u32_e32 v6, vcc_lo, 0, v10, vcc_lo
	v_lshlrev_b32_e32 v9, 2, v0
	s_mul_i32 s14, s2, 0x844
	s_add_i32 s16, s16, s17
	s_delay_alu instid0(VALU_DEP_2)
	v_lshlrev_b64 v[11:12], 3, v[5:6]
	s_add_u32 s6, s6, s14
	v_mov_b32_e32 v5, 0
	v_mov_b32_e32 v6, 0
	s_addc_u32 s7, s7, s16
	v_add_co_u32 v9, s6, s6, v9
	v_add_co_u32 v11, vcc_lo, s4, v11
	v_add_co_ci_u32_e64 v10, null, s7, 0, s6
	v_add_co_ci_u32_e32 v12, vcc_lo, s5, v12, vcc_lo
	s_set_inst_prefetch_distance 0x1
	s_branch .LBB518_10
	.p2align	6
.LBB518_9:                              ;   in Loop: Header=BB518_10 Depth=1
	s_or_b32 exec_lo, exec_lo, s4
	s_add_u32 s2, s2, 1
	s_addc_u32 s3, s3, 0
	v_add_co_u32 v11, vcc_lo, v11, 8
	v_cmp_lt_i64_e64 s4, s[2:3], s[0:1]
	v_add_co_ci_u32_e32 v12, vcc_lo, 0, v12, vcc_lo
	s_delay_alu instid0(VALU_DEP_2)
	s_and_b32 vcc_lo, exec_lo, s4
	s_cbranch_vccz .LBB518_12
.LBB518_10:                             ; =>This Inner Loop Header: Depth=1
	v_add_co_u32 v15, s4, v14, s2
	s_delay_alu instid0(VALU_DEP_1) | instskip(SKIP_1) | instid1(VALU_DEP_1)
	v_add_co_ci_u32_e64 v16, null, 0, s3, s4
	s_mov_b32 s4, exec_lo
	v_cmpx_gt_i64_e64 s[0:1], v[15:16]
	s_cbranch_execz .LBB518_9
; %bb.11:                               ;   in Loop: Header=BB518_10 Depth=1
	global_load_b64 v[15:16], v[11:12], off
	global_load_b32 v19, v[9:10], off
	s_waitcnt vmcnt(1)
	v_sub_co_u32 v17, vcc_lo, v15, s12
	v_subrev_co_ci_u32_e32 v20, vcc_lo, 0, v16, vcc_lo
	v_add_co_u32 v9, vcc_lo, 0x844, v9
	s_delay_alu instid0(VALU_DEP_3) | instskip(SKIP_1) | instid1(VALU_DEP_2)
	v_mad_u64_u32 v[15:16], null, 0xb8, v17, v[7:8]
	v_add_co_ci_u32_e32 v10, vcc_lo, 0, v10, vcc_lo
	v_mad_u64_u32 v[17:18], null, 0xb8, v20, v[16:17]
	s_delay_alu instid0(VALU_DEP_1)
	v_mov_b32_e32 v16, v17
	s_waitcnt vmcnt(0)
	v_cvt_f64_f32_e32 v[17:18], v19
	global_load_b64 v[15:16], v[15:16], off
	s_waitcnt vmcnt(0)
	v_fma_f64 v[5:6], v[17:18], v[15:16], v[5:6]
	s_branch .LBB518_9
.LBB518_12:
	s_set_inst_prefetch_distance 0x2
	v_lshlrev_b32_e32 v7, 3, v0
	s_and_b32 vcc_lo, exec_lo, s13
	ds_store_b64 v7, v[5:6]
	s_waitcnt lgkmcnt(0)
	s_barrier
	buffer_gl0_inv
	s_cbranch_vccz .LBB518_24
; %bb.13:
	s_mov_b32 s0, exec_lo
	v_cmpx_gt_u16_e32 7, v13
	s_cbranch_execz .LBB518_15
; %bb.14:
	ds_load_2addr_b64 v[8:11], v7 offset1:16
	s_waitcnt lgkmcnt(0)
	v_add_f64 v[8:9], v[10:11], v[8:9]
	ds_store_b64 v7, v[8:9]
.LBB518_15:
	s_or_b32 exec_lo, exec_lo, s0
	s_delay_alu instid0(SALU_CYCLE_1)
	s_mov_b32 s0, exec_lo
	s_waitcnt lgkmcnt(0)
	s_barrier
	buffer_gl0_inv
	v_cmpx_gt_u16_e32 8, v13
	s_cbranch_execz .LBB518_17
; %bb.16:
	ds_load_2addr_b64 v[8:11], v7 offset1:8
	s_waitcnt lgkmcnt(0)
	v_add_f64 v[8:9], v[10:11], v[8:9]
	ds_store_b64 v7, v[8:9]
.LBB518_17:
	s_or_b32 exec_lo, exec_lo, s0
	s_delay_alu instid0(SALU_CYCLE_1)
	s_mov_b32 s0, exec_lo
	s_waitcnt lgkmcnt(0)
	s_barrier
	buffer_gl0_inv
	;; [unrolled: 14-line block ×3, first 2 shown]
	v_cmpx_gt_u16_e32 2, v13
	s_cbranch_execz .LBB518_21
; %bb.20:
	ds_load_2addr_b64 v[8:11], v7 offset1:2
	s_waitcnt lgkmcnt(0)
	v_add_f64 v[8:9], v[10:11], v[8:9]
	ds_store_b64 v7, v[8:9]
.LBB518_21:
	s_or_b32 exec_lo, exec_lo, s0
	s_mov_b32 s1, 0
	s_mov_b32 s0, 0
	s_mov_b32 s2, exec_lo
	s_waitcnt lgkmcnt(0)
	s_barrier
	buffer_gl0_inv
                                        ; implicit-def: $vgpr8
                                        ; implicit-def: $vgpr9
	v_cmpx_gt_u32_e32 23, v0
	s_xor_b32 s2, exec_lo, s2
; %bb.22:
	v_mad_u32_u24 v8, v0, 23, 1
	v_mad_u32_u24 v9, 0xb0, v0, v7
	s_mov_b32 s0, exec_lo
; %bb.23:
	s_or_b32 exec_lo, exec_lo, s2
	s_delay_alu instid0(SALU_CYCLE_1)
	s_and_b32 vcc_lo, exec_lo, s1
	s_cbranch_vccnz .LBB518_25
	s_branch .LBB518_36
.LBB518_24:
	s_mov_b32 s0, 0
                                        ; implicit-def: $vgpr8
                                        ; implicit-def: $vgpr9
	s_cbranch_execz .LBB518_36
.LBB518_25:
	s_mov_b32 s1, exec_lo
	v_cmpx_gt_u32_e32 0xa1, v0
	s_cbranch_execz .LBB518_27
; %bb.26:
	ds_load_b64 v[8:9], v7 offset:2944
	ds_load_b64 v[10:11], v7
	s_waitcnt lgkmcnt(0)
	v_add_f64 v[8:9], v[8:9], v[10:11]
	ds_store_b64 v7, v[8:9]
.LBB518_27:
	s_or_b32 exec_lo, exec_lo, s1
	s_delay_alu instid0(SALU_CYCLE_1)
	s_mov_b32 s1, exec_lo
	s_waitcnt lgkmcnt(0)
	s_barrier
	buffer_gl0_inv
	v_cmpx_gt_u32_e32 0xb8, v0
	s_cbranch_execz .LBB518_29
; %bb.28:
	ds_load_2addr_b64 v[8:11], v7 offset1:184
	s_waitcnt lgkmcnt(0)
	v_add_f64 v[8:9], v[10:11], v[8:9]
	ds_store_b64 v7, v[8:9]
.LBB518_29:
	s_or_b32 exec_lo, exec_lo, s1
	s_delay_alu instid0(SALU_CYCLE_1)
	s_mov_b32 s1, exec_lo
	s_waitcnt lgkmcnt(0)
	s_barrier
	buffer_gl0_inv
	v_cmpx_gt_u32_e32 0x5c, v0
	s_cbranch_execz .LBB518_31
; %bb.30:
	ds_load_2addr_b64 v[8:11], v7 offset1:92
	s_waitcnt lgkmcnt(0)
	v_add_f64 v[8:9], v[10:11], v[8:9]
	ds_store_b64 v7, v[8:9]
.LBB518_31:
	;; [unrolled: 14-line block ×3, first 2 shown]
	s_or_b32 exec_lo, exec_lo, s1
	s_delay_alu instid0(SALU_CYCLE_1)
	s_mov_b32 s1, exec_lo
	s_waitcnt lgkmcnt(0)
	buffer_gl0_inv
                                        ; implicit-def: $vgpr8
	v_cmpx_gt_u32_e32 23, v0
; %bb.34:
	v_add_nc_u32_e32 v8, 23, v0
	s_or_b32 s0, s0, exec_lo
                                        ; implicit-def: $vgpr5_vgpr6
; %bb.35:
	s_or_b32 exec_lo, exec_lo, s1
	v_mov_b32_e32 v9, v7
.LBB518_36:
	s_and_saveexec_b32 s1, s0
	s_cbranch_execnz .LBB518_39
; %bb.37:
	s_or_b32 exec_lo, exec_lo, s1
	v_cmp_gt_u32_e32 vcc_lo, 23, v0
	s_and_b32 exec_lo, exec_lo, vcc_lo
	s_cbranch_execnz .LBB518_40
.LBB518_38:
	s_nop 0
	s_sendmsg sendmsg(MSG_DEALLOC_VGPRS)
	s_endpgm
.LBB518_39:
	v_lshlrev_b32_e32 v7, 3, v8
	ds_load_b64 v[5:6], v9
	ds_load_b64 v[7:8], v7
	s_waitcnt lgkmcnt(0)
	v_add_f64 v[5:6], v[5:6], v[7:8]
	s_or_b32 exec_lo, exec_lo, s1
	v_cmp_gt_u32_e32 vcc_lo, 23, v0
	s_and_b32 exec_lo, exec_lo, vcc_lo
	s_cbranch_execz .LBB518_38
.LBB518_40:
	s_delay_alu instid0(VALU_DEP_2)
	v_mul_f64 v[3:4], v[3:4], v[5:6]
	s_mul_i32 s0, s9, 0xb8
	s_mul_hi_u32 s1, s8, 0xb8
	s_mul_i32 s2, s8, 0xb8
	s_mov_b32 s3, exec_lo
	v_cmpx_eq_f64_e32 0, v[1:2]
	s_xor_b32 s3, exec_lo, s3
	s_cbranch_execz .LBB518_42
; %bb.41:
	v_lshlrev_b32_e32 v0, 3, v0
	s_add_i32 s5, s1, s0
	s_add_u32 s4, s10, s2
	s_addc_u32 s5, s11, s5
                                        ; implicit-def: $vgpr1_vgpr2
	global_store_b64 v0, v[3:4], s[4:5]
                                        ; implicit-def: $vgpr0
                                        ; implicit-def: $vgpr3_vgpr4
.LBB518_42:
	s_and_not1_saveexec_b32 s3, s3
	s_cbranch_execz .LBB518_38
; %bb.43:
	v_lshlrev_b32_e32 v7, 3, v0
	s_add_i32 s1, s1, s0
	s_add_u32 s0, s10, s2
	s_addc_u32 s1, s11, s1
	global_load_b64 v[5:6], v7, s[0:1]
	s_waitcnt vmcnt(0)
	v_fma_f64 v[0:1], v[1:2], v[5:6], v[3:4]
	global_store_b64 v7, v[0:1], s[0:1]
	s_nop 0
	s_sendmsg sendmsg(MSG_DEALLOC_VGPRS)
	s_endpgm
	.section	.rodata,"a",@progbits
	.p2align	6, 0x0
	.amdhsa_kernel _ZN9rocsparseL20bsrxmvn_17_32_kernelILj23EdllfddEEvT2_20rocsparse_direction_NS_24const_host_device_scalarIT0_EES1_PKS1_PKT1_SA_S7_PKT3_PKT4_S5_PT5_21rocsparse_index_base_b
		.amdhsa_group_segment_fixed_size 4232
		.amdhsa_private_segment_fixed_size 0
		.amdhsa_kernarg_size 104
		.amdhsa_user_sgpr_count 15
		.amdhsa_user_sgpr_dispatch_ptr 0
		.amdhsa_user_sgpr_queue_ptr 0
		.amdhsa_user_sgpr_kernarg_segment_ptr 1
		.amdhsa_user_sgpr_dispatch_id 0
		.amdhsa_user_sgpr_private_segment_size 0
		.amdhsa_wavefront_size32 1
		.amdhsa_uses_dynamic_stack 0
		.amdhsa_enable_private_segment 0
		.amdhsa_system_sgpr_workgroup_id_x 1
		.amdhsa_system_sgpr_workgroup_id_y 0
		.amdhsa_system_sgpr_workgroup_id_z 0
		.amdhsa_system_sgpr_workgroup_info 0
		.amdhsa_system_vgpr_workitem_id 0
		.amdhsa_next_free_vgpr 21
		.amdhsa_next_free_sgpr 20
		.amdhsa_reserve_vcc 1
		.amdhsa_float_round_mode_32 0
		.amdhsa_float_round_mode_16_64 0
		.amdhsa_float_denorm_mode_32 3
		.amdhsa_float_denorm_mode_16_64 3
		.amdhsa_dx10_clamp 1
		.amdhsa_ieee_mode 1
		.amdhsa_fp16_overflow 0
		.amdhsa_workgroup_processor_mode 1
		.amdhsa_memory_ordered 1
		.amdhsa_forward_progress 0
		.amdhsa_shared_vgpr_count 0
		.amdhsa_exception_fp_ieee_invalid_op 0
		.amdhsa_exception_fp_denorm_src 0
		.amdhsa_exception_fp_ieee_div_zero 0
		.amdhsa_exception_fp_ieee_overflow 0
		.amdhsa_exception_fp_ieee_underflow 0
		.amdhsa_exception_fp_ieee_inexact 0
		.amdhsa_exception_int_div_zero 0
	.end_amdhsa_kernel
	.section	.text._ZN9rocsparseL20bsrxmvn_17_32_kernelILj23EdllfddEEvT2_20rocsparse_direction_NS_24const_host_device_scalarIT0_EES1_PKS1_PKT1_SA_S7_PKT3_PKT4_S5_PT5_21rocsparse_index_base_b,"axG",@progbits,_ZN9rocsparseL20bsrxmvn_17_32_kernelILj23EdllfddEEvT2_20rocsparse_direction_NS_24const_host_device_scalarIT0_EES1_PKS1_PKT1_SA_S7_PKT3_PKT4_S5_PT5_21rocsparse_index_base_b,comdat
.Lfunc_end518:
	.size	_ZN9rocsparseL20bsrxmvn_17_32_kernelILj23EdllfddEEvT2_20rocsparse_direction_NS_24const_host_device_scalarIT0_EES1_PKS1_PKT1_SA_S7_PKT3_PKT4_S5_PT5_21rocsparse_index_base_b, .Lfunc_end518-_ZN9rocsparseL20bsrxmvn_17_32_kernelILj23EdllfddEEvT2_20rocsparse_direction_NS_24const_host_device_scalarIT0_EES1_PKS1_PKT1_SA_S7_PKT3_PKT4_S5_PT5_21rocsparse_index_base_b
                                        ; -- End function
	.section	.AMDGPU.csdata,"",@progbits
; Kernel info:
; codeLenInByte = 1716
; NumSgprs: 22
; NumVgprs: 21
; ScratchSize: 0
; MemoryBound: 0
; FloatMode: 240
; IeeeMode: 1
; LDSByteSize: 4232 bytes/workgroup (compile time only)
; SGPRBlocks: 2
; VGPRBlocks: 2
; NumSGPRsForWavesPerEU: 22
; NumVGPRsForWavesPerEU: 21
; Occupancy: 13
; WaveLimiterHint : 1
; COMPUTE_PGM_RSRC2:SCRATCH_EN: 0
; COMPUTE_PGM_RSRC2:USER_SGPR: 15
; COMPUTE_PGM_RSRC2:TRAP_HANDLER: 0
; COMPUTE_PGM_RSRC2:TGID_X_EN: 1
; COMPUTE_PGM_RSRC2:TGID_Y_EN: 0
; COMPUTE_PGM_RSRC2:TGID_Z_EN: 0
; COMPUTE_PGM_RSRC2:TIDIG_COMP_CNT: 0
	.section	.text._ZN9rocsparseL20bsrxmvn_17_32_kernelILj24EdllfddEEvT2_20rocsparse_direction_NS_24const_host_device_scalarIT0_EES1_PKS1_PKT1_SA_S7_PKT3_PKT4_S5_PT5_21rocsparse_index_base_b,"axG",@progbits,_ZN9rocsparseL20bsrxmvn_17_32_kernelILj24EdllfddEEvT2_20rocsparse_direction_NS_24const_host_device_scalarIT0_EES1_PKS1_PKT1_SA_S7_PKT3_PKT4_S5_PT5_21rocsparse_index_base_b,comdat
	.globl	_ZN9rocsparseL20bsrxmvn_17_32_kernelILj24EdllfddEEvT2_20rocsparse_direction_NS_24const_host_device_scalarIT0_EES1_PKS1_PKT1_SA_S7_PKT3_PKT4_S5_PT5_21rocsparse_index_base_b ; -- Begin function _ZN9rocsparseL20bsrxmvn_17_32_kernelILj24EdllfddEEvT2_20rocsparse_direction_NS_24const_host_device_scalarIT0_EES1_PKS1_PKT1_SA_S7_PKT3_PKT4_S5_PT5_21rocsparse_index_base_b
	.p2align	8
	.type	_ZN9rocsparseL20bsrxmvn_17_32_kernelILj24EdllfddEEvT2_20rocsparse_direction_NS_24const_host_device_scalarIT0_EES1_PKS1_PKT1_SA_S7_PKT3_PKT4_S5_PT5_21rocsparse_index_base_b,@function
_ZN9rocsparseL20bsrxmvn_17_32_kernelILj24EdllfddEEvT2_20rocsparse_direction_NS_24const_host_device_scalarIT0_EES1_PKS1_PKT1_SA_S7_PKT3_PKT4_S5_PT5_21rocsparse_index_base_b: ; @_ZN9rocsparseL20bsrxmvn_17_32_kernelILj24EdllfddEEvT2_20rocsparse_direction_NS_24const_host_device_scalarIT0_EES1_PKS1_PKT1_SA_S7_PKT3_PKT4_S5_PT5_21rocsparse_index_base_b
; %bb.0:
	s_clause 0x2
	s_load_b64 s[12:13], s[0:1], 0x60
	s_load_b64 s[4:5], s[0:1], 0x10
	;; [unrolled: 1-line block ×3, first 2 shown]
	s_mov_b32 s8, s15
	s_waitcnt lgkmcnt(0)
	s_bitcmp1_b32 s13, 0
	v_dual_mov_b32 v3, s4 :: v_dual_mov_b32 v4, s5
	s_cselect_b32 s6, -1, 0
	s_delay_alu instid0(SALU_CYCLE_1)
	s_and_b32 vcc_lo, exec_lo, s6
	s_xor_b32 s6, s6, -1
	s_cbranch_vccnz .LBB519_2
; %bb.1:
	v_dual_mov_b32 v1, s4 :: v_dual_mov_b32 v2, s5
	flat_load_b64 v[3:4], v[1:2]
.LBB519_2:
	v_dual_mov_b32 v1, s2 :: v_dual_mov_b32 v2, s3
	s_and_not1_b32 vcc_lo, exec_lo, s6
	s_cbranch_vccnz .LBB519_4
; %bb.3:
	v_dual_mov_b32 v1, s2 :: v_dual_mov_b32 v2, s3
	flat_load_b64 v[1:2], v[1:2]
.LBB519_4:
	s_waitcnt vmcnt(0) lgkmcnt(0)
	v_cmp_neq_f64_e32 vcc_lo, 0, v[3:4]
	v_cmp_neq_f64_e64 s2, 1.0, v[1:2]
	s_delay_alu instid0(VALU_DEP_1) | instskip(NEXT) | instid1(SALU_CYCLE_1)
	s_or_b32 s2, vcc_lo, s2
	s_and_saveexec_b32 s3, s2
	s_cbranch_execz .LBB519_38
; %bb.5:
	s_clause 0x1
	s_load_b128 s[4:7], s[0:1], 0x20
	s_load_b64 s[10:11], s[0:1], 0x30
	s_mov_b32 s9, 0
	s_waitcnt lgkmcnt(0)
	s_cmp_eq_u64 s[4:5], 0
	s_cbranch_scc1 .LBB519_7
; %bb.6:
	s_lshl_b64 s[2:3], s[8:9], 3
	s_delay_alu instid0(SALU_CYCLE_1)
	s_add_u32 s2, s4, s2
	s_addc_u32 s3, s5, s3
	s_load_b64 s[2:3], s[2:3], 0x0
	s_waitcnt lgkmcnt(0)
	s_sub_u32 s8, s2, s12
	s_subb_u32 s9, s3, 0
.LBB519_7:
	s_load_b32 s3, s[0:1], 0x8
	v_mul_u32_u24_e32 v5, 0xaab, v0
	s_delay_alu instid0(VALU_DEP_1) | instskip(NEXT) | instid1(VALU_DEP_1)
	v_lshrrev_b32_e32 v7, 16, v5
	v_mul_lo_u16 v5, v7, 24
	s_delay_alu instid0(VALU_DEP_1)
	v_sub_nc_u16 v13, v0, v5
	v_mov_b32_e32 v5, 0
	v_mov_b32_e32 v6, 0
	s_waitcnt lgkmcnt(0)
	s_cmp_eq_u32 s3, 1
	s_cselect_b32 s2, -1, 0
	s_cmp_lg_u32 s3, 1
	s_cselect_b32 s13, -1, 0
	s_lshl_b64 s[4:5], s[8:9], 3
	s_delay_alu instid0(SALU_CYCLE_1)
	s_add_u32 s6, s6, s4
	s_addc_u32 s7, s7, s5
	s_add_u32 s3, s6, 8
	s_addc_u32 s14, s7, 0
	s_add_u32 s4, s10, s4
	s_addc_u32 s5, s11, s5
	s_cmp_eq_u64 s[10:11], 0
	s_load_b64 s[10:11], s[0:1], 0x58
	s_cselect_b32 s5, s14, s5
	s_cselect_b32 s4, s3, s4
	s_load_b64 s[14:15], s[6:7], 0x0
	s_load_b64 s[16:17], s[4:5], 0x0
	s_waitcnt lgkmcnt(0)
	v_cmp_ge_i64_e64 s3, s[14:15], s[16:17]
	s_delay_alu instid0(VALU_DEP_1)
	s_and_b32 vcc_lo, exec_lo, s3
	s_cbranch_vccnz .LBB519_12
; %bb.8:
	v_dual_mov_b32 v6, 0 :: v_dual_and_b32 v5, 0xffff, v7
	v_cmp_gt_u32_e32 vcc_lo, 0x240, v0
	s_clause 0x1
	s_load_b128 s[4:7], s[0:1], 0x38
	s_load_b64 s[18:19], s[0:1], 0x48
	v_and_b32_e32 v8, 0xffff, v13
	v_subrev_nc_u32_e32 v7, 24, v5
	s_sub_u32 s0, s16, s12
	s_subb_u32 s1, s17, 0
	s_delay_alu instid0(VALU_DEP_1) | instskip(SKIP_1) | instid1(VALU_DEP_2)
	v_cndmask_b32_e32 v5, v7, v5, vcc_lo
	v_cmp_lt_u32_e32 vcc_lo, 0x23f, v0
	v_cndmask_b32_e64 v5, v8, v5, s2
	v_cndmask_b32_e64 v14, 0, 1, vcc_lo
	s_sub_u32 s2, s14, s12
	s_subb_u32 s3, s15, 0
	s_mul_hi_u32 s16, s2, 0x900
	v_lshlrev_b64 v[5:6], 3, v[5:6]
	v_add_co_u32 v9, s14, s14, v14
	s_delay_alu instid0(VALU_DEP_1) | instskip(SKIP_2) | instid1(VALU_DEP_3)
	v_add_co_ci_u32_e64 v10, null, s15, 0, s14
	s_mul_i32 s17, s3, 0x900
	s_waitcnt lgkmcnt(0)
	v_add_co_u32 v7, vcc_lo, s18, v5
	v_add_co_ci_u32_e32 v8, vcc_lo, s19, v6, vcc_lo
	v_sub_co_u32 v5, vcc_lo, v9, s12
	v_subrev_co_ci_u32_e32 v6, vcc_lo, 0, v10, vcc_lo
	v_lshlrev_b32_e32 v9, 2, v0
	s_mul_i32 s14, s2, 0x900
	s_add_i32 s16, s16, s17
	s_delay_alu instid0(VALU_DEP_2)
	v_lshlrev_b64 v[11:12], 3, v[5:6]
	s_add_u32 s6, s6, s14
	v_mov_b32_e32 v5, 0
	v_mov_b32_e32 v6, 0
	s_addc_u32 s7, s7, s16
	v_add_co_u32 v9, s6, s6, v9
	v_add_co_u32 v11, vcc_lo, s4, v11
	v_add_co_ci_u32_e64 v10, null, s7, 0, s6
	v_add_co_ci_u32_e32 v12, vcc_lo, s5, v12, vcc_lo
	s_set_inst_prefetch_distance 0x1
	s_branch .LBB519_10
	.p2align	6
.LBB519_9:                              ;   in Loop: Header=BB519_10 Depth=1
	s_or_b32 exec_lo, exec_lo, s4
	s_add_u32 s2, s2, 1
	s_addc_u32 s3, s3, 0
	v_add_co_u32 v11, vcc_lo, v11, 8
	v_cmp_lt_i64_e64 s4, s[2:3], s[0:1]
	v_add_co_ci_u32_e32 v12, vcc_lo, 0, v12, vcc_lo
	s_delay_alu instid0(VALU_DEP_2)
	s_and_b32 vcc_lo, exec_lo, s4
	s_cbranch_vccz .LBB519_12
.LBB519_10:                             ; =>This Inner Loop Header: Depth=1
	v_add_co_u32 v15, s4, v14, s2
	s_delay_alu instid0(VALU_DEP_1) | instskip(SKIP_1) | instid1(VALU_DEP_1)
	v_add_co_ci_u32_e64 v16, null, 0, s3, s4
	s_mov_b32 s4, exec_lo
	v_cmpx_gt_i64_e64 s[0:1], v[15:16]
	s_cbranch_execz .LBB519_9
; %bb.11:                               ;   in Loop: Header=BB519_10 Depth=1
	global_load_b64 v[15:16], v[11:12], off
	global_load_b32 v19, v[9:10], off
	s_waitcnt vmcnt(1)
	v_sub_co_u32 v17, vcc_lo, v15, s12
	v_subrev_co_ci_u32_e32 v20, vcc_lo, 0, v16, vcc_lo
	v_add_co_u32 v9, vcc_lo, 0x900, v9
	s_delay_alu instid0(VALU_DEP_3) | instskip(SKIP_1) | instid1(VALU_DEP_2)
	v_mad_u64_u32 v[15:16], null, 0xc0, v17, v[7:8]
	v_add_co_ci_u32_e32 v10, vcc_lo, 0, v10, vcc_lo
	v_mad_u64_u32 v[17:18], null, 0xc0, v20, v[16:17]
	s_delay_alu instid0(VALU_DEP_1)
	v_mov_b32_e32 v16, v17
	s_waitcnt vmcnt(0)
	v_cvt_f64_f32_e32 v[17:18], v19
	global_load_b64 v[15:16], v[15:16], off
	s_waitcnt vmcnt(0)
	v_fma_f64 v[5:6], v[17:18], v[15:16], v[5:6]
	s_branch .LBB519_9
.LBB519_12:
	s_set_inst_prefetch_distance 0x2
	v_lshlrev_b32_e32 v7, 3, v0
	s_and_b32 vcc_lo, exec_lo, s13
	ds_store_b64 v7, v[5:6]
	s_waitcnt lgkmcnt(0)
	s_barrier
	buffer_gl0_inv
	s_cbranch_vccz .LBB519_24
; %bb.13:
	v_cmp_gt_u16_e32 vcc_lo, 8, v13
	s_and_saveexec_b32 s0, vcc_lo
	s_cbranch_execz .LBB519_15
; %bb.14:
	ds_load_2addr_b64 v[8:11], v7 offset1:16
	s_waitcnt lgkmcnt(0)
	v_add_f64 v[8:9], v[10:11], v[8:9]
	ds_store_b64 v7, v[8:9]
.LBB519_15:
	s_or_b32 exec_lo, exec_lo, s0
	s_waitcnt lgkmcnt(0)
	s_barrier
	buffer_gl0_inv
	s_and_saveexec_b32 s0, vcc_lo
	s_cbranch_execz .LBB519_17
; %bb.16:
	ds_load_2addr_b64 v[8:11], v7 offset1:8
	s_waitcnt lgkmcnt(0)
	v_add_f64 v[8:9], v[10:11], v[8:9]
	ds_store_b64 v7, v[8:9]
.LBB519_17:
	s_or_b32 exec_lo, exec_lo, s0
	s_delay_alu instid0(SALU_CYCLE_1)
	s_mov_b32 s0, exec_lo
	s_waitcnt lgkmcnt(0)
	s_barrier
	buffer_gl0_inv
	v_cmpx_gt_u16_e32 4, v13
	s_cbranch_execz .LBB519_19
; %bb.18:
	ds_load_2addr_b64 v[8:11], v7 offset1:4
	s_waitcnt lgkmcnt(0)
	v_add_f64 v[8:9], v[10:11], v[8:9]
	ds_store_b64 v7, v[8:9]
.LBB519_19:
	s_or_b32 exec_lo, exec_lo, s0
	s_delay_alu instid0(SALU_CYCLE_1)
	s_mov_b32 s0, exec_lo
	s_waitcnt lgkmcnt(0)
	s_barrier
	buffer_gl0_inv
	v_cmpx_gt_u16_e32 2, v13
	s_cbranch_execz .LBB519_21
; %bb.20:
	ds_load_2addr_b64 v[8:11], v7 offset1:2
	s_waitcnt lgkmcnt(0)
	v_add_f64 v[8:9], v[10:11], v[8:9]
	ds_store_b64 v7, v[8:9]
.LBB519_21:
	s_or_b32 exec_lo, exec_lo, s0
	s_mov_b32 s1, 0
	s_mov_b32 s0, 0
	s_mov_b32 s2, exec_lo
	s_waitcnt lgkmcnt(0)
	s_barrier
	buffer_gl0_inv
                                        ; implicit-def: $vgpr8
                                        ; implicit-def: $vgpr9
	v_cmpx_gt_u32_e32 24, v0
	s_xor_b32 s2, exec_lo, s2
; %bb.22:
	v_mul_u32_u24_e32 v8, 24, v0
	v_mad_u32_u24 v9, 0xb8, v0, v7
	s_mov_b32 s0, exec_lo
	s_delay_alu instid0(VALU_DEP_2)
	v_or_b32_e32 v8, 1, v8
; %bb.23:
	s_or_b32 exec_lo, exec_lo, s2
	s_delay_alu instid0(SALU_CYCLE_1)
	s_and_b32 vcc_lo, exec_lo, s1
	s_cbranch_vccnz .LBB519_25
	s_branch .LBB519_36
.LBB519_24:
	s_mov_b32 s0, 0
                                        ; implicit-def: $vgpr8
                                        ; implicit-def: $vgpr9
	s_cbranch_execz .LBB519_36
.LBB519_25:
	v_cmp_gt_u32_e32 vcc_lo, 0xc0, v0
	s_and_saveexec_b32 s1, vcc_lo
	s_cbranch_execz .LBB519_27
; %bb.26:
	ds_load_2addr_stride64_b64 v[8:11], v7 offset1:6
	s_waitcnt lgkmcnt(0)
	v_add_f64 v[8:9], v[10:11], v[8:9]
	ds_store_b64 v7, v[8:9]
.LBB519_27:
	s_or_b32 exec_lo, exec_lo, s1
	s_waitcnt lgkmcnt(0)
	s_barrier
	buffer_gl0_inv
	s_and_saveexec_b32 s1, vcc_lo
	s_cbranch_execz .LBB519_29
; %bb.28:
	ds_load_2addr_stride64_b64 v[8:11], v7 offset1:3
	s_waitcnt lgkmcnt(0)
	v_add_f64 v[8:9], v[10:11], v[8:9]
	ds_store_b64 v7, v[8:9]
.LBB519_29:
	s_or_b32 exec_lo, exec_lo, s1
	s_delay_alu instid0(SALU_CYCLE_1)
	s_mov_b32 s1, exec_lo
	s_waitcnt lgkmcnt(0)
	s_barrier
	buffer_gl0_inv
	v_cmpx_gt_u32_e32 0x60, v0
	s_cbranch_execz .LBB519_31
; %bb.30:
	ds_load_2addr_b64 v[8:11], v7 offset1:96
	s_waitcnt lgkmcnt(0)
	v_add_f64 v[8:9], v[10:11], v[8:9]
	ds_store_b64 v7, v[8:9]
.LBB519_31:
	s_or_b32 exec_lo, exec_lo, s1
	s_delay_alu instid0(SALU_CYCLE_1)
	s_mov_b32 s1, exec_lo
	s_waitcnt lgkmcnt(0)
	s_barrier
	buffer_gl0_inv
	v_cmpx_gt_u32_e32 48, v0
	s_cbranch_execz .LBB519_33
; %bb.32:
	ds_load_2addr_b64 v[8:11], v7 offset1:48
	s_waitcnt lgkmcnt(0)
	v_add_f64 v[8:9], v[10:11], v[8:9]
	ds_store_b64 v7, v[8:9]
.LBB519_33:
	s_or_b32 exec_lo, exec_lo, s1
	s_delay_alu instid0(SALU_CYCLE_1)
	s_mov_b32 s1, exec_lo
	s_waitcnt lgkmcnt(0)
	buffer_gl0_inv
                                        ; implicit-def: $vgpr8
	v_cmpx_gt_u32_e32 24, v0
; %bb.34:
	v_add_nc_u32_e32 v8, 24, v0
	s_or_b32 s0, s0, exec_lo
                                        ; implicit-def: $vgpr5_vgpr6
; %bb.35:
	s_or_b32 exec_lo, exec_lo, s1
	v_mov_b32_e32 v9, v7
.LBB519_36:
	s_and_saveexec_b32 s1, s0
	s_cbranch_execnz .LBB519_39
; %bb.37:
	s_or_b32 exec_lo, exec_lo, s1
	v_cmp_gt_u32_e32 vcc_lo, 24, v0
	s_and_b32 exec_lo, exec_lo, vcc_lo
	s_cbranch_execnz .LBB519_40
.LBB519_38:
	s_nop 0
	s_sendmsg sendmsg(MSG_DEALLOC_VGPRS)
	s_endpgm
.LBB519_39:
	v_lshlrev_b32_e32 v7, 3, v8
	ds_load_b64 v[5:6], v9
	ds_load_b64 v[7:8], v7
	s_waitcnt lgkmcnt(0)
	v_add_f64 v[5:6], v[5:6], v[7:8]
	s_or_b32 exec_lo, exec_lo, s1
	v_cmp_gt_u32_e32 vcc_lo, 24, v0
	s_and_b32 exec_lo, exec_lo, vcc_lo
	s_cbranch_execz .LBB519_38
.LBB519_40:
	s_delay_alu instid0(VALU_DEP_2)
	v_mul_f64 v[3:4], v[3:4], v[5:6]
	s_mul_i32 s0, s9, 0xc0
	s_mul_hi_u32 s1, s8, 0xc0
	s_mul_i32 s2, s8, 0xc0
	s_mov_b32 s3, exec_lo
	v_cmpx_eq_f64_e32 0, v[1:2]
	s_xor_b32 s3, exec_lo, s3
	s_cbranch_execz .LBB519_42
; %bb.41:
	v_lshlrev_b32_e32 v0, 3, v0
	s_add_i32 s5, s1, s0
	s_add_u32 s4, s10, s2
	s_addc_u32 s5, s11, s5
                                        ; implicit-def: $vgpr1_vgpr2
	global_store_b64 v0, v[3:4], s[4:5]
                                        ; implicit-def: $vgpr0
                                        ; implicit-def: $vgpr3_vgpr4
.LBB519_42:
	s_and_not1_saveexec_b32 s3, s3
	s_cbranch_execz .LBB519_38
; %bb.43:
	v_lshlrev_b32_e32 v7, 3, v0
	s_add_i32 s1, s1, s0
	s_add_u32 s0, s10, s2
	s_addc_u32 s1, s11, s1
	global_load_b64 v[5:6], v7, s[0:1]
	s_waitcnt vmcnt(0)
	v_fma_f64 v[0:1], v[1:2], v[5:6], v[3:4]
	global_store_b64 v7, v[0:1], s[0:1]
	s_nop 0
	s_sendmsg sendmsg(MSG_DEALLOC_VGPRS)
	s_endpgm
	.section	.rodata,"a",@progbits
	.p2align	6, 0x0
	.amdhsa_kernel _ZN9rocsparseL20bsrxmvn_17_32_kernelILj24EdllfddEEvT2_20rocsparse_direction_NS_24const_host_device_scalarIT0_EES1_PKS1_PKT1_SA_S7_PKT3_PKT4_S5_PT5_21rocsparse_index_base_b
		.amdhsa_group_segment_fixed_size 4608
		.amdhsa_private_segment_fixed_size 0
		.amdhsa_kernarg_size 104
		.amdhsa_user_sgpr_count 15
		.amdhsa_user_sgpr_dispatch_ptr 0
		.amdhsa_user_sgpr_queue_ptr 0
		.amdhsa_user_sgpr_kernarg_segment_ptr 1
		.amdhsa_user_sgpr_dispatch_id 0
		.amdhsa_user_sgpr_private_segment_size 0
		.amdhsa_wavefront_size32 1
		.amdhsa_uses_dynamic_stack 0
		.amdhsa_enable_private_segment 0
		.amdhsa_system_sgpr_workgroup_id_x 1
		.amdhsa_system_sgpr_workgroup_id_y 0
		.amdhsa_system_sgpr_workgroup_id_z 0
		.amdhsa_system_sgpr_workgroup_info 0
		.amdhsa_system_vgpr_workitem_id 0
		.amdhsa_next_free_vgpr 21
		.amdhsa_next_free_sgpr 20
		.amdhsa_reserve_vcc 1
		.amdhsa_float_round_mode_32 0
		.amdhsa_float_round_mode_16_64 0
		.amdhsa_float_denorm_mode_32 3
		.amdhsa_float_denorm_mode_16_64 3
		.amdhsa_dx10_clamp 1
		.amdhsa_ieee_mode 1
		.amdhsa_fp16_overflow 0
		.amdhsa_workgroup_processor_mode 1
		.amdhsa_memory_ordered 1
		.amdhsa_forward_progress 0
		.amdhsa_shared_vgpr_count 0
		.amdhsa_exception_fp_ieee_invalid_op 0
		.amdhsa_exception_fp_denorm_src 0
		.amdhsa_exception_fp_ieee_div_zero 0
		.amdhsa_exception_fp_ieee_overflow 0
		.amdhsa_exception_fp_ieee_underflow 0
		.amdhsa_exception_fp_ieee_inexact 0
		.amdhsa_exception_int_div_zero 0
	.end_amdhsa_kernel
	.section	.text._ZN9rocsparseL20bsrxmvn_17_32_kernelILj24EdllfddEEvT2_20rocsparse_direction_NS_24const_host_device_scalarIT0_EES1_PKS1_PKT1_SA_S7_PKT3_PKT4_S5_PT5_21rocsparse_index_base_b,"axG",@progbits,_ZN9rocsparseL20bsrxmvn_17_32_kernelILj24EdllfddEEvT2_20rocsparse_direction_NS_24const_host_device_scalarIT0_EES1_PKS1_PKT1_SA_S7_PKT3_PKT4_S5_PT5_21rocsparse_index_base_b,comdat
.Lfunc_end519:
	.size	_ZN9rocsparseL20bsrxmvn_17_32_kernelILj24EdllfddEEvT2_20rocsparse_direction_NS_24const_host_device_scalarIT0_EES1_PKS1_PKT1_SA_S7_PKT3_PKT4_S5_PT5_21rocsparse_index_base_b, .Lfunc_end519-_ZN9rocsparseL20bsrxmvn_17_32_kernelILj24EdllfddEEvT2_20rocsparse_direction_NS_24const_host_device_scalarIT0_EES1_PKS1_PKT1_SA_S7_PKT3_PKT4_S5_PT5_21rocsparse_index_base_b
                                        ; -- End function
	.section	.AMDGPU.csdata,"",@progbits
; Kernel info:
; codeLenInByte = 1692
; NumSgprs: 22
; NumVgprs: 21
; ScratchSize: 0
; MemoryBound: 0
; FloatMode: 240
; IeeeMode: 1
; LDSByteSize: 4608 bytes/workgroup (compile time only)
; SGPRBlocks: 2
; VGPRBlocks: 2
; NumSGPRsForWavesPerEU: 22
; NumVGPRsForWavesPerEU: 21
; Occupancy: 14
; WaveLimiterHint : 1
; COMPUTE_PGM_RSRC2:SCRATCH_EN: 0
; COMPUTE_PGM_RSRC2:USER_SGPR: 15
; COMPUTE_PGM_RSRC2:TRAP_HANDLER: 0
; COMPUTE_PGM_RSRC2:TGID_X_EN: 1
; COMPUTE_PGM_RSRC2:TGID_Y_EN: 0
; COMPUTE_PGM_RSRC2:TGID_Z_EN: 0
; COMPUTE_PGM_RSRC2:TIDIG_COMP_CNT: 0
	.section	.text._ZN9rocsparseL20bsrxmvn_17_32_kernelILj25EdllfddEEvT2_20rocsparse_direction_NS_24const_host_device_scalarIT0_EES1_PKS1_PKT1_SA_S7_PKT3_PKT4_S5_PT5_21rocsparse_index_base_b,"axG",@progbits,_ZN9rocsparseL20bsrxmvn_17_32_kernelILj25EdllfddEEvT2_20rocsparse_direction_NS_24const_host_device_scalarIT0_EES1_PKS1_PKT1_SA_S7_PKT3_PKT4_S5_PT5_21rocsparse_index_base_b,comdat
	.globl	_ZN9rocsparseL20bsrxmvn_17_32_kernelILj25EdllfddEEvT2_20rocsparse_direction_NS_24const_host_device_scalarIT0_EES1_PKS1_PKT1_SA_S7_PKT3_PKT4_S5_PT5_21rocsparse_index_base_b ; -- Begin function _ZN9rocsparseL20bsrxmvn_17_32_kernelILj25EdllfddEEvT2_20rocsparse_direction_NS_24const_host_device_scalarIT0_EES1_PKS1_PKT1_SA_S7_PKT3_PKT4_S5_PT5_21rocsparse_index_base_b
	.p2align	8
	.type	_ZN9rocsparseL20bsrxmvn_17_32_kernelILj25EdllfddEEvT2_20rocsparse_direction_NS_24const_host_device_scalarIT0_EES1_PKS1_PKT1_SA_S7_PKT3_PKT4_S5_PT5_21rocsparse_index_base_b,@function
_ZN9rocsparseL20bsrxmvn_17_32_kernelILj25EdllfddEEvT2_20rocsparse_direction_NS_24const_host_device_scalarIT0_EES1_PKS1_PKT1_SA_S7_PKT3_PKT4_S5_PT5_21rocsparse_index_base_b: ; @_ZN9rocsparseL20bsrxmvn_17_32_kernelILj25EdllfddEEvT2_20rocsparse_direction_NS_24const_host_device_scalarIT0_EES1_PKS1_PKT1_SA_S7_PKT3_PKT4_S5_PT5_21rocsparse_index_base_b
; %bb.0:
	s_clause 0x2
	s_load_b64 s[12:13], s[0:1], 0x60
	s_load_b64 s[4:5], s[0:1], 0x10
	;; [unrolled: 1-line block ×3, first 2 shown]
	s_mov_b32 s8, s15
	s_waitcnt lgkmcnt(0)
	s_bitcmp1_b32 s13, 0
	v_dual_mov_b32 v3, s4 :: v_dual_mov_b32 v4, s5
	s_cselect_b32 s6, -1, 0
	s_delay_alu instid0(SALU_CYCLE_1)
	s_and_b32 vcc_lo, exec_lo, s6
	s_xor_b32 s6, s6, -1
	s_cbranch_vccnz .LBB520_2
; %bb.1:
	v_dual_mov_b32 v1, s4 :: v_dual_mov_b32 v2, s5
	flat_load_b64 v[3:4], v[1:2]
.LBB520_2:
	v_dual_mov_b32 v1, s2 :: v_dual_mov_b32 v2, s3
	s_and_not1_b32 vcc_lo, exec_lo, s6
	s_cbranch_vccnz .LBB520_4
; %bb.3:
	v_dual_mov_b32 v1, s2 :: v_dual_mov_b32 v2, s3
	flat_load_b64 v[1:2], v[1:2]
.LBB520_4:
	s_waitcnt vmcnt(0) lgkmcnt(0)
	v_cmp_neq_f64_e32 vcc_lo, 0, v[3:4]
	v_cmp_neq_f64_e64 s2, 1.0, v[1:2]
	s_delay_alu instid0(VALU_DEP_1) | instskip(NEXT) | instid1(SALU_CYCLE_1)
	s_or_b32 s2, vcc_lo, s2
	s_and_saveexec_b32 s3, s2
	s_cbranch_execz .LBB520_38
; %bb.5:
	s_clause 0x1
	s_load_b128 s[4:7], s[0:1], 0x20
	s_load_b64 s[10:11], s[0:1], 0x30
	s_mov_b32 s9, 0
	s_waitcnt lgkmcnt(0)
	s_cmp_eq_u64 s[4:5], 0
	s_cbranch_scc1 .LBB520_7
; %bb.6:
	s_lshl_b64 s[2:3], s[8:9], 3
	s_delay_alu instid0(SALU_CYCLE_1)
	s_add_u32 s2, s4, s2
	s_addc_u32 s3, s5, s3
	s_load_b64 s[2:3], s[2:3], 0x0
	s_waitcnt lgkmcnt(0)
	s_sub_u32 s8, s2, s12
	s_subb_u32 s9, s3, 0
.LBB520_7:
	s_load_b32 s3, s[0:1], 0x8
	v_mul_u32_u24_e32 v5, 0xa3e, v0
	s_delay_alu instid0(VALU_DEP_1) | instskip(NEXT) | instid1(VALU_DEP_1)
	v_lshrrev_b32_e32 v7, 16, v5
	v_mul_lo_u16 v5, v7, 25
	s_delay_alu instid0(VALU_DEP_1)
	v_sub_nc_u16 v13, v0, v5
	v_mov_b32_e32 v5, 0
	v_mov_b32_e32 v6, 0
	s_waitcnt lgkmcnt(0)
	s_cmp_eq_u32 s3, 1
	s_cselect_b32 s2, -1, 0
	s_cmp_lg_u32 s3, 1
	s_cselect_b32 s13, -1, 0
	s_lshl_b64 s[4:5], s[8:9], 3
	s_delay_alu instid0(SALU_CYCLE_1)
	s_add_u32 s6, s6, s4
	s_addc_u32 s7, s7, s5
	s_add_u32 s3, s6, 8
	s_addc_u32 s14, s7, 0
	;; [unrolled: 2-line block ×3, first 2 shown]
	s_cmp_eq_u64 s[10:11], 0
	s_load_b64 s[10:11], s[0:1], 0x58
	s_cselect_b32 s5, s14, s5
	s_cselect_b32 s4, s3, s4
	s_load_b64 s[14:15], s[6:7], 0x0
	s_load_b64 s[16:17], s[4:5], 0x0
	s_waitcnt lgkmcnt(0)
	v_cmp_ge_i64_e64 s3, s[14:15], s[16:17]
	s_delay_alu instid0(VALU_DEP_1)
	s_and_b32 vcc_lo, exec_lo, s3
	s_cbranch_vccnz .LBB520_12
; %bb.8:
	v_dual_mov_b32 v6, 0 :: v_dual_and_b32 v5, 0xffff, v7
	v_cmp_gt_u32_e32 vcc_lo, 0x271, v0
	s_clause 0x1
	s_load_b128 s[4:7], s[0:1], 0x38
	s_load_b64 s[18:19], s[0:1], 0x48
	v_and_b32_e32 v8, 0xffff, v13
	v_subrev_nc_u32_e32 v7, 25, v5
	s_sub_u32 s0, s16, s12
	s_subb_u32 s1, s17, 0
	s_delay_alu instid0(VALU_DEP_1) | instskip(SKIP_1) | instid1(VALU_DEP_2)
	v_cndmask_b32_e32 v5, v7, v5, vcc_lo
	v_cmp_lt_u32_e32 vcc_lo, 0x270, v0
	v_cndmask_b32_e64 v5, v8, v5, s2
	v_cndmask_b32_e64 v14, 0, 1, vcc_lo
	s_sub_u32 s2, s14, s12
	s_subb_u32 s3, s15, 0
	s_mul_hi_u32 s16, s2, 0x9c4
	v_lshlrev_b64 v[5:6], 3, v[5:6]
	v_add_co_u32 v9, s14, s14, v14
	s_delay_alu instid0(VALU_DEP_1) | instskip(SKIP_2) | instid1(VALU_DEP_3)
	v_add_co_ci_u32_e64 v10, null, s15, 0, s14
	s_mul_i32 s17, s3, 0x9c4
	s_waitcnt lgkmcnt(0)
	v_add_co_u32 v7, vcc_lo, s18, v5
	v_add_co_ci_u32_e32 v8, vcc_lo, s19, v6, vcc_lo
	v_sub_co_u32 v5, vcc_lo, v9, s12
	v_subrev_co_ci_u32_e32 v6, vcc_lo, 0, v10, vcc_lo
	v_lshlrev_b32_e32 v9, 2, v0
	s_mul_i32 s14, s2, 0x9c4
	s_add_i32 s16, s16, s17
	s_delay_alu instid0(VALU_DEP_2)
	v_lshlrev_b64 v[11:12], 3, v[5:6]
	s_add_u32 s6, s6, s14
	v_mov_b32_e32 v5, 0
	v_mov_b32_e32 v6, 0
	s_addc_u32 s7, s7, s16
	v_add_co_u32 v9, s6, s6, v9
	v_add_co_u32 v11, vcc_lo, s4, v11
	v_add_co_ci_u32_e64 v10, null, s7, 0, s6
	v_add_co_ci_u32_e32 v12, vcc_lo, s5, v12, vcc_lo
	s_set_inst_prefetch_distance 0x1
	s_branch .LBB520_10
	.p2align	6
.LBB520_9:                              ;   in Loop: Header=BB520_10 Depth=1
	s_or_b32 exec_lo, exec_lo, s4
	s_add_u32 s2, s2, 1
	s_addc_u32 s3, s3, 0
	v_add_co_u32 v11, vcc_lo, v11, 8
	v_cmp_lt_i64_e64 s4, s[2:3], s[0:1]
	v_add_co_ci_u32_e32 v12, vcc_lo, 0, v12, vcc_lo
	s_delay_alu instid0(VALU_DEP_2)
	s_and_b32 vcc_lo, exec_lo, s4
	s_cbranch_vccz .LBB520_12
.LBB520_10:                             ; =>This Inner Loop Header: Depth=1
	v_add_co_u32 v15, s4, v14, s2
	s_delay_alu instid0(VALU_DEP_1) | instskip(SKIP_1) | instid1(VALU_DEP_1)
	v_add_co_ci_u32_e64 v16, null, 0, s3, s4
	s_mov_b32 s4, exec_lo
	v_cmpx_gt_i64_e64 s[0:1], v[15:16]
	s_cbranch_execz .LBB520_9
; %bb.11:                               ;   in Loop: Header=BB520_10 Depth=1
	global_load_b64 v[15:16], v[11:12], off
	global_load_b32 v19, v[9:10], off
	s_waitcnt vmcnt(1)
	v_sub_co_u32 v17, vcc_lo, v15, s12
	v_subrev_co_ci_u32_e32 v20, vcc_lo, 0, v16, vcc_lo
	v_add_co_u32 v9, vcc_lo, 0x9c4, v9
	s_delay_alu instid0(VALU_DEP_3) | instskip(SKIP_1) | instid1(VALU_DEP_2)
	v_mad_u64_u32 v[15:16], null, 0xc8, v17, v[7:8]
	v_add_co_ci_u32_e32 v10, vcc_lo, 0, v10, vcc_lo
	v_mad_u64_u32 v[17:18], null, 0xc8, v20, v[16:17]
	s_delay_alu instid0(VALU_DEP_1)
	v_mov_b32_e32 v16, v17
	s_waitcnt vmcnt(0)
	v_cvt_f64_f32_e32 v[17:18], v19
	global_load_b64 v[15:16], v[15:16], off
	s_waitcnt vmcnt(0)
	v_fma_f64 v[5:6], v[17:18], v[15:16], v[5:6]
	s_branch .LBB520_9
.LBB520_12:
	s_set_inst_prefetch_distance 0x2
	v_lshlrev_b32_e32 v7, 3, v0
	s_and_b32 vcc_lo, exec_lo, s13
	ds_store_b64 v7, v[5:6]
	s_waitcnt lgkmcnt(0)
	s_barrier
	buffer_gl0_inv
	s_cbranch_vccz .LBB520_24
; %bb.13:
	s_mov_b32 s0, exec_lo
	v_cmpx_gt_u16_e32 9, v13
	s_cbranch_execz .LBB520_15
; %bb.14:
	ds_load_2addr_b64 v[8:11], v7 offset1:16
	s_waitcnt lgkmcnt(0)
	v_add_f64 v[8:9], v[10:11], v[8:9]
	ds_store_b64 v7, v[8:9]
.LBB520_15:
	s_or_b32 exec_lo, exec_lo, s0
	s_delay_alu instid0(SALU_CYCLE_1)
	s_mov_b32 s0, exec_lo
	s_waitcnt lgkmcnt(0)
	s_barrier
	buffer_gl0_inv
	v_cmpx_gt_u16_e32 8, v13
	s_cbranch_execz .LBB520_17
; %bb.16:
	ds_load_2addr_b64 v[8:11], v7 offset1:8
	s_waitcnt lgkmcnt(0)
	v_add_f64 v[8:9], v[10:11], v[8:9]
	ds_store_b64 v7, v[8:9]
.LBB520_17:
	s_or_b32 exec_lo, exec_lo, s0
	s_delay_alu instid0(SALU_CYCLE_1)
	s_mov_b32 s0, exec_lo
	s_waitcnt lgkmcnt(0)
	s_barrier
	buffer_gl0_inv
	v_cmpx_gt_u16_e32 4, v13
	s_cbranch_execz .LBB520_19
; %bb.18:
	ds_load_2addr_b64 v[8:11], v7 offset1:4
	s_waitcnt lgkmcnt(0)
	v_add_f64 v[8:9], v[10:11], v[8:9]
	ds_store_b64 v7, v[8:9]
.LBB520_19:
	s_or_b32 exec_lo, exec_lo, s0
	s_delay_alu instid0(SALU_CYCLE_1)
	s_mov_b32 s0, exec_lo
	s_waitcnt lgkmcnt(0)
	s_barrier
	buffer_gl0_inv
	v_cmpx_gt_u16_e32 2, v13
	s_cbranch_execz .LBB520_21
; %bb.20:
	ds_load_2addr_b64 v[8:11], v7 offset1:2
	s_waitcnt lgkmcnt(0)
	v_add_f64 v[8:9], v[10:11], v[8:9]
	ds_store_b64 v7, v[8:9]
.LBB520_21:
	s_or_b32 exec_lo, exec_lo, s0
	s_mov_b32 s1, 0
	s_mov_b32 s0, 0
	s_mov_b32 s2, exec_lo
	s_waitcnt lgkmcnt(0)
	s_barrier
	buffer_gl0_inv
                                        ; implicit-def: $vgpr8
                                        ; implicit-def: $vgpr9
	v_cmpx_gt_u32_e32 25, v0
	s_xor_b32 s2, exec_lo, s2
; %bb.22:
	v_mad_u32_u24 v8, v0, 25, 1
	v_mad_u32_u24 v9, 0xc0, v0, v7
	s_mov_b32 s0, exec_lo
; %bb.23:
	s_or_b32 exec_lo, exec_lo, s2
	s_delay_alu instid0(SALU_CYCLE_1)
	s_and_b32 vcc_lo, exec_lo, s1
	s_cbranch_vccnz .LBB520_25
	s_branch .LBB520_36
.LBB520_24:
	s_mov_b32 s0, 0
                                        ; implicit-def: $vgpr8
                                        ; implicit-def: $vgpr9
	s_cbranch_execz .LBB520_36
.LBB520_25:
	s_mov_b32 s1, exec_lo
	v_cmpx_gt_u32_e32 0xe1, v0
	s_cbranch_execz .LBB520_27
; %bb.26:
	ds_load_b64 v[8:9], v7 offset:3200
	ds_load_b64 v[10:11], v7
	s_waitcnt lgkmcnt(0)
	v_add_f64 v[8:9], v[8:9], v[10:11]
	ds_store_b64 v7, v[8:9]
.LBB520_27:
	s_or_b32 exec_lo, exec_lo, s1
	s_delay_alu instid0(SALU_CYCLE_1)
	s_mov_b32 s1, exec_lo
	s_waitcnt lgkmcnt(0)
	s_barrier
	buffer_gl0_inv
	v_cmpx_gt_u32_e32 0xc8, v0
	s_cbranch_execz .LBB520_29
; %bb.28:
	ds_load_2addr_b64 v[8:11], v7 offset1:200
	s_waitcnt lgkmcnt(0)
	v_add_f64 v[8:9], v[10:11], v[8:9]
	ds_store_b64 v7, v[8:9]
.LBB520_29:
	s_or_b32 exec_lo, exec_lo, s1
	s_delay_alu instid0(SALU_CYCLE_1)
	s_mov_b32 s1, exec_lo
	s_waitcnt lgkmcnt(0)
	s_barrier
	buffer_gl0_inv
	v_cmpx_gt_u32_e32 0x64, v0
	s_cbranch_execz .LBB520_31
; %bb.30:
	ds_load_2addr_b64 v[8:11], v7 offset1:100
	s_waitcnt lgkmcnt(0)
	v_add_f64 v[8:9], v[10:11], v[8:9]
	ds_store_b64 v7, v[8:9]
.LBB520_31:
	;; [unrolled: 14-line block ×3, first 2 shown]
	s_or_b32 exec_lo, exec_lo, s1
	s_delay_alu instid0(SALU_CYCLE_1)
	s_mov_b32 s1, exec_lo
	s_waitcnt lgkmcnt(0)
	buffer_gl0_inv
                                        ; implicit-def: $vgpr8
	v_cmpx_gt_u32_e32 25, v0
; %bb.34:
	v_add_nc_u32_e32 v8, 25, v0
	s_or_b32 s0, s0, exec_lo
                                        ; implicit-def: $vgpr5_vgpr6
; %bb.35:
	s_or_b32 exec_lo, exec_lo, s1
	v_mov_b32_e32 v9, v7
.LBB520_36:
	s_and_saveexec_b32 s1, s0
	s_cbranch_execnz .LBB520_39
; %bb.37:
	s_or_b32 exec_lo, exec_lo, s1
	v_cmp_gt_u32_e32 vcc_lo, 25, v0
	s_and_b32 exec_lo, exec_lo, vcc_lo
	s_cbranch_execnz .LBB520_40
.LBB520_38:
	s_nop 0
	s_sendmsg sendmsg(MSG_DEALLOC_VGPRS)
	s_endpgm
.LBB520_39:
	v_lshlrev_b32_e32 v7, 3, v8
	ds_load_b64 v[5:6], v9
	ds_load_b64 v[7:8], v7
	s_waitcnt lgkmcnt(0)
	v_add_f64 v[5:6], v[5:6], v[7:8]
	s_or_b32 exec_lo, exec_lo, s1
	v_cmp_gt_u32_e32 vcc_lo, 25, v0
	s_and_b32 exec_lo, exec_lo, vcc_lo
	s_cbranch_execz .LBB520_38
.LBB520_40:
	s_delay_alu instid0(VALU_DEP_2)
	v_mul_f64 v[3:4], v[3:4], v[5:6]
	s_mul_i32 s0, s9, 0xc8
	s_mul_hi_u32 s1, s8, 0xc8
	s_mul_i32 s2, s8, 0xc8
	s_mov_b32 s3, exec_lo
	v_cmpx_eq_f64_e32 0, v[1:2]
	s_xor_b32 s3, exec_lo, s3
	s_cbranch_execz .LBB520_42
; %bb.41:
	v_lshlrev_b32_e32 v0, 3, v0
	s_add_i32 s5, s1, s0
	s_add_u32 s4, s10, s2
	s_addc_u32 s5, s11, s5
                                        ; implicit-def: $vgpr1_vgpr2
	global_store_b64 v0, v[3:4], s[4:5]
                                        ; implicit-def: $vgpr0
                                        ; implicit-def: $vgpr3_vgpr4
.LBB520_42:
	s_and_not1_saveexec_b32 s3, s3
	s_cbranch_execz .LBB520_38
; %bb.43:
	v_lshlrev_b32_e32 v7, 3, v0
	s_add_i32 s1, s1, s0
	s_add_u32 s0, s10, s2
	s_addc_u32 s1, s11, s1
	global_load_b64 v[5:6], v7, s[0:1]
	s_waitcnt vmcnt(0)
	v_fma_f64 v[0:1], v[1:2], v[5:6], v[3:4]
	global_store_b64 v7, v[0:1], s[0:1]
	s_nop 0
	s_sendmsg sendmsg(MSG_DEALLOC_VGPRS)
	s_endpgm
	.section	.rodata,"a",@progbits
	.p2align	6, 0x0
	.amdhsa_kernel _ZN9rocsparseL20bsrxmvn_17_32_kernelILj25EdllfddEEvT2_20rocsparse_direction_NS_24const_host_device_scalarIT0_EES1_PKS1_PKT1_SA_S7_PKT3_PKT4_S5_PT5_21rocsparse_index_base_b
		.amdhsa_group_segment_fixed_size 5000
		.amdhsa_private_segment_fixed_size 0
		.amdhsa_kernarg_size 104
		.amdhsa_user_sgpr_count 15
		.amdhsa_user_sgpr_dispatch_ptr 0
		.amdhsa_user_sgpr_queue_ptr 0
		.amdhsa_user_sgpr_kernarg_segment_ptr 1
		.amdhsa_user_sgpr_dispatch_id 0
		.amdhsa_user_sgpr_private_segment_size 0
		.amdhsa_wavefront_size32 1
		.amdhsa_uses_dynamic_stack 0
		.amdhsa_enable_private_segment 0
		.amdhsa_system_sgpr_workgroup_id_x 1
		.amdhsa_system_sgpr_workgroup_id_y 0
		.amdhsa_system_sgpr_workgroup_id_z 0
		.amdhsa_system_sgpr_workgroup_info 0
		.amdhsa_system_vgpr_workitem_id 0
		.amdhsa_next_free_vgpr 21
		.amdhsa_next_free_sgpr 20
		.amdhsa_reserve_vcc 1
		.amdhsa_float_round_mode_32 0
		.amdhsa_float_round_mode_16_64 0
		.amdhsa_float_denorm_mode_32 3
		.amdhsa_float_denorm_mode_16_64 3
		.amdhsa_dx10_clamp 1
		.amdhsa_ieee_mode 1
		.amdhsa_fp16_overflow 0
		.amdhsa_workgroup_processor_mode 1
		.amdhsa_memory_ordered 1
		.amdhsa_forward_progress 0
		.amdhsa_shared_vgpr_count 0
		.amdhsa_exception_fp_ieee_invalid_op 0
		.amdhsa_exception_fp_denorm_src 0
		.amdhsa_exception_fp_ieee_div_zero 0
		.amdhsa_exception_fp_ieee_overflow 0
		.amdhsa_exception_fp_ieee_underflow 0
		.amdhsa_exception_fp_ieee_inexact 0
		.amdhsa_exception_int_div_zero 0
	.end_amdhsa_kernel
	.section	.text._ZN9rocsparseL20bsrxmvn_17_32_kernelILj25EdllfddEEvT2_20rocsparse_direction_NS_24const_host_device_scalarIT0_EES1_PKS1_PKT1_SA_S7_PKT3_PKT4_S5_PT5_21rocsparse_index_base_b,"axG",@progbits,_ZN9rocsparseL20bsrxmvn_17_32_kernelILj25EdllfddEEvT2_20rocsparse_direction_NS_24const_host_device_scalarIT0_EES1_PKS1_PKT1_SA_S7_PKT3_PKT4_S5_PT5_21rocsparse_index_base_b,comdat
.Lfunc_end520:
	.size	_ZN9rocsparseL20bsrxmvn_17_32_kernelILj25EdllfddEEvT2_20rocsparse_direction_NS_24const_host_device_scalarIT0_EES1_PKS1_PKT1_SA_S7_PKT3_PKT4_S5_PT5_21rocsparse_index_base_b, .Lfunc_end520-_ZN9rocsparseL20bsrxmvn_17_32_kernelILj25EdllfddEEvT2_20rocsparse_direction_NS_24const_host_device_scalarIT0_EES1_PKS1_PKT1_SA_S7_PKT3_PKT4_S5_PT5_21rocsparse_index_base_b
                                        ; -- End function
	.section	.AMDGPU.csdata,"",@progbits
; Kernel info:
; codeLenInByte = 1716
; NumSgprs: 22
; NumVgprs: 21
; ScratchSize: 0
; MemoryBound: 0
; FloatMode: 240
; IeeeMode: 1
; LDSByteSize: 5000 bytes/workgroup (compile time only)
; SGPRBlocks: 2
; VGPRBlocks: 2
; NumSGPRsForWavesPerEU: 22
; NumVGPRsForWavesPerEU: 21
; Occupancy: 15
; WaveLimiterHint : 1
; COMPUTE_PGM_RSRC2:SCRATCH_EN: 0
; COMPUTE_PGM_RSRC2:USER_SGPR: 15
; COMPUTE_PGM_RSRC2:TRAP_HANDLER: 0
; COMPUTE_PGM_RSRC2:TGID_X_EN: 1
; COMPUTE_PGM_RSRC2:TGID_Y_EN: 0
; COMPUTE_PGM_RSRC2:TGID_Z_EN: 0
; COMPUTE_PGM_RSRC2:TIDIG_COMP_CNT: 0
	.section	.text._ZN9rocsparseL20bsrxmvn_17_32_kernelILj26EdllfddEEvT2_20rocsparse_direction_NS_24const_host_device_scalarIT0_EES1_PKS1_PKT1_SA_S7_PKT3_PKT4_S5_PT5_21rocsparse_index_base_b,"axG",@progbits,_ZN9rocsparseL20bsrxmvn_17_32_kernelILj26EdllfddEEvT2_20rocsparse_direction_NS_24const_host_device_scalarIT0_EES1_PKS1_PKT1_SA_S7_PKT3_PKT4_S5_PT5_21rocsparse_index_base_b,comdat
	.globl	_ZN9rocsparseL20bsrxmvn_17_32_kernelILj26EdllfddEEvT2_20rocsparse_direction_NS_24const_host_device_scalarIT0_EES1_PKS1_PKT1_SA_S7_PKT3_PKT4_S5_PT5_21rocsparse_index_base_b ; -- Begin function _ZN9rocsparseL20bsrxmvn_17_32_kernelILj26EdllfddEEvT2_20rocsparse_direction_NS_24const_host_device_scalarIT0_EES1_PKS1_PKT1_SA_S7_PKT3_PKT4_S5_PT5_21rocsparse_index_base_b
	.p2align	8
	.type	_ZN9rocsparseL20bsrxmvn_17_32_kernelILj26EdllfddEEvT2_20rocsparse_direction_NS_24const_host_device_scalarIT0_EES1_PKS1_PKT1_SA_S7_PKT3_PKT4_S5_PT5_21rocsparse_index_base_b,@function
_ZN9rocsparseL20bsrxmvn_17_32_kernelILj26EdllfddEEvT2_20rocsparse_direction_NS_24const_host_device_scalarIT0_EES1_PKS1_PKT1_SA_S7_PKT3_PKT4_S5_PT5_21rocsparse_index_base_b: ; @_ZN9rocsparseL20bsrxmvn_17_32_kernelILj26EdllfddEEvT2_20rocsparse_direction_NS_24const_host_device_scalarIT0_EES1_PKS1_PKT1_SA_S7_PKT3_PKT4_S5_PT5_21rocsparse_index_base_b
; %bb.0:
	s_clause 0x2
	s_load_b64 s[12:13], s[0:1], 0x60
	s_load_b64 s[4:5], s[0:1], 0x10
	;; [unrolled: 1-line block ×3, first 2 shown]
	s_mov_b32 s8, s15
	s_waitcnt lgkmcnt(0)
	s_bitcmp1_b32 s13, 0
	v_dual_mov_b32 v3, s4 :: v_dual_mov_b32 v4, s5
	s_cselect_b32 s6, -1, 0
	s_delay_alu instid0(SALU_CYCLE_1)
	s_and_b32 vcc_lo, exec_lo, s6
	s_xor_b32 s6, s6, -1
	s_cbranch_vccnz .LBB521_2
; %bb.1:
	v_dual_mov_b32 v1, s4 :: v_dual_mov_b32 v2, s5
	flat_load_b64 v[3:4], v[1:2]
.LBB521_2:
	v_dual_mov_b32 v1, s2 :: v_dual_mov_b32 v2, s3
	s_and_not1_b32 vcc_lo, exec_lo, s6
	s_cbranch_vccnz .LBB521_4
; %bb.3:
	v_dual_mov_b32 v1, s2 :: v_dual_mov_b32 v2, s3
	flat_load_b64 v[1:2], v[1:2]
.LBB521_4:
	s_waitcnt vmcnt(0) lgkmcnt(0)
	v_cmp_neq_f64_e32 vcc_lo, 0, v[3:4]
	v_cmp_neq_f64_e64 s2, 1.0, v[1:2]
	s_delay_alu instid0(VALU_DEP_1) | instskip(NEXT) | instid1(SALU_CYCLE_1)
	s_or_b32 s2, vcc_lo, s2
	s_and_saveexec_b32 s3, s2
	s_cbranch_execz .LBB521_38
; %bb.5:
	s_clause 0x1
	s_load_b128 s[4:7], s[0:1], 0x20
	s_load_b64 s[10:11], s[0:1], 0x30
	s_mov_b32 s9, 0
	s_waitcnt lgkmcnt(0)
	s_cmp_eq_u64 s[4:5], 0
	s_cbranch_scc1 .LBB521_7
; %bb.6:
	s_lshl_b64 s[2:3], s[8:9], 3
	s_delay_alu instid0(SALU_CYCLE_1)
	s_add_u32 s2, s4, s2
	s_addc_u32 s3, s5, s3
	s_load_b64 s[2:3], s[2:3], 0x0
	s_waitcnt lgkmcnt(0)
	s_sub_u32 s8, s2, s12
	s_subb_u32 s9, s3, 0
.LBB521_7:
	s_load_b32 s3, s[0:1], 0x8
	v_mul_u32_u24_e32 v5, 0x9d9, v0
	s_delay_alu instid0(VALU_DEP_1) | instskip(NEXT) | instid1(VALU_DEP_1)
	v_lshrrev_b32_e32 v7, 16, v5
	v_mul_lo_u16 v5, v7, 26
	s_delay_alu instid0(VALU_DEP_1)
	v_sub_nc_u16 v13, v0, v5
	v_mov_b32_e32 v5, 0
	v_mov_b32_e32 v6, 0
	s_waitcnt lgkmcnt(0)
	s_cmp_eq_u32 s3, 1
	s_cselect_b32 s2, -1, 0
	s_cmp_lg_u32 s3, 1
	s_cselect_b32 s13, -1, 0
	s_lshl_b64 s[4:5], s[8:9], 3
	s_delay_alu instid0(SALU_CYCLE_1)
	s_add_u32 s6, s6, s4
	s_addc_u32 s7, s7, s5
	s_add_u32 s3, s6, 8
	s_addc_u32 s14, s7, 0
	s_add_u32 s4, s10, s4
	s_addc_u32 s5, s11, s5
	s_cmp_eq_u64 s[10:11], 0
	s_load_b64 s[10:11], s[0:1], 0x58
	s_cselect_b32 s5, s14, s5
	s_cselect_b32 s4, s3, s4
	s_load_b64 s[14:15], s[6:7], 0x0
	s_load_b64 s[16:17], s[4:5], 0x0
	s_waitcnt lgkmcnt(0)
	v_cmp_ge_i64_e64 s3, s[14:15], s[16:17]
	s_delay_alu instid0(VALU_DEP_1)
	s_and_b32 vcc_lo, exec_lo, s3
	s_cbranch_vccnz .LBB521_12
; %bb.8:
	v_dual_mov_b32 v6, 0 :: v_dual_and_b32 v5, 0xffff, v7
	v_cmp_gt_u32_e32 vcc_lo, 0x2a4, v0
	s_clause 0x1
	s_load_b128 s[4:7], s[0:1], 0x38
	s_load_b64 s[18:19], s[0:1], 0x48
	v_and_b32_e32 v8, 0xffff, v13
	v_subrev_nc_u32_e32 v7, 26, v5
	s_sub_u32 s0, s16, s12
	s_subb_u32 s1, s17, 0
	s_delay_alu instid0(VALU_DEP_1) | instskip(SKIP_1) | instid1(VALU_DEP_2)
	v_cndmask_b32_e32 v5, v7, v5, vcc_lo
	v_cmp_lt_u32_e32 vcc_lo, 0x2a3, v0
	v_cndmask_b32_e64 v5, v8, v5, s2
	v_cndmask_b32_e64 v14, 0, 1, vcc_lo
	s_sub_u32 s2, s14, s12
	s_subb_u32 s3, s15, 0
	s_mul_hi_u32 s16, s2, 0xa90
	v_lshlrev_b64 v[5:6], 3, v[5:6]
	v_add_co_u32 v9, s14, s14, v14
	s_delay_alu instid0(VALU_DEP_1) | instskip(SKIP_2) | instid1(VALU_DEP_3)
	v_add_co_ci_u32_e64 v10, null, s15, 0, s14
	s_mul_i32 s17, s3, 0xa90
	s_waitcnt lgkmcnt(0)
	v_add_co_u32 v7, vcc_lo, s18, v5
	v_add_co_ci_u32_e32 v8, vcc_lo, s19, v6, vcc_lo
	v_sub_co_u32 v5, vcc_lo, v9, s12
	v_subrev_co_ci_u32_e32 v6, vcc_lo, 0, v10, vcc_lo
	v_lshlrev_b32_e32 v9, 2, v0
	s_mul_i32 s14, s2, 0xa90
	s_add_i32 s16, s16, s17
	s_delay_alu instid0(VALU_DEP_2)
	v_lshlrev_b64 v[11:12], 3, v[5:6]
	s_add_u32 s6, s6, s14
	v_mov_b32_e32 v5, 0
	v_mov_b32_e32 v6, 0
	s_addc_u32 s7, s7, s16
	v_add_co_u32 v9, s6, s6, v9
	v_add_co_u32 v11, vcc_lo, s4, v11
	v_add_co_ci_u32_e64 v10, null, s7, 0, s6
	v_add_co_ci_u32_e32 v12, vcc_lo, s5, v12, vcc_lo
	s_set_inst_prefetch_distance 0x1
	s_branch .LBB521_10
	.p2align	6
.LBB521_9:                              ;   in Loop: Header=BB521_10 Depth=1
	s_or_b32 exec_lo, exec_lo, s4
	s_add_u32 s2, s2, 1
	s_addc_u32 s3, s3, 0
	v_add_co_u32 v11, vcc_lo, v11, 8
	v_cmp_lt_i64_e64 s4, s[2:3], s[0:1]
	v_add_co_ci_u32_e32 v12, vcc_lo, 0, v12, vcc_lo
	s_delay_alu instid0(VALU_DEP_2)
	s_and_b32 vcc_lo, exec_lo, s4
	s_cbranch_vccz .LBB521_12
.LBB521_10:                             ; =>This Inner Loop Header: Depth=1
	v_add_co_u32 v15, s4, v14, s2
	s_delay_alu instid0(VALU_DEP_1) | instskip(SKIP_1) | instid1(VALU_DEP_1)
	v_add_co_ci_u32_e64 v16, null, 0, s3, s4
	s_mov_b32 s4, exec_lo
	v_cmpx_gt_i64_e64 s[0:1], v[15:16]
	s_cbranch_execz .LBB521_9
; %bb.11:                               ;   in Loop: Header=BB521_10 Depth=1
	global_load_b64 v[15:16], v[11:12], off
	global_load_b32 v19, v[9:10], off
	s_waitcnt vmcnt(1)
	v_sub_co_u32 v17, vcc_lo, v15, s12
	v_subrev_co_ci_u32_e32 v20, vcc_lo, 0, v16, vcc_lo
	v_add_co_u32 v9, vcc_lo, 0xa90, v9
	s_delay_alu instid0(VALU_DEP_3) | instskip(SKIP_1) | instid1(VALU_DEP_2)
	v_mad_u64_u32 v[15:16], null, 0xd0, v17, v[7:8]
	v_add_co_ci_u32_e32 v10, vcc_lo, 0, v10, vcc_lo
	v_mad_u64_u32 v[17:18], null, 0xd0, v20, v[16:17]
	s_delay_alu instid0(VALU_DEP_1)
	v_mov_b32_e32 v16, v17
	s_waitcnt vmcnt(0)
	v_cvt_f64_f32_e32 v[17:18], v19
	global_load_b64 v[15:16], v[15:16], off
	s_waitcnt vmcnt(0)
	v_fma_f64 v[5:6], v[17:18], v[15:16], v[5:6]
	s_branch .LBB521_9
.LBB521_12:
	s_set_inst_prefetch_distance 0x2
	v_lshlrev_b32_e32 v7, 3, v0
	s_and_b32 vcc_lo, exec_lo, s13
	ds_store_b64 v7, v[5:6]
	s_waitcnt lgkmcnt(0)
	s_barrier
	buffer_gl0_inv
	s_cbranch_vccz .LBB521_24
; %bb.13:
	s_mov_b32 s0, exec_lo
	v_cmpx_gt_u16_e32 10, v13
	s_cbranch_execz .LBB521_15
; %bb.14:
	ds_load_2addr_b64 v[8:11], v7 offset1:16
	s_waitcnt lgkmcnt(0)
	v_add_f64 v[8:9], v[10:11], v[8:9]
	ds_store_b64 v7, v[8:9]
.LBB521_15:
	s_or_b32 exec_lo, exec_lo, s0
	s_delay_alu instid0(SALU_CYCLE_1)
	s_mov_b32 s0, exec_lo
	s_waitcnt lgkmcnt(0)
	s_barrier
	buffer_gl0_inv
	v_cmpx_gt_u16_e32 8, v13
	s_cbranch_execz .LBB521_17
; %bb.16:
	ds_load_2addr_b64 v[8:11], v7 offset1:8
	s_waitcnt lgkmcnt(0)
	v_add_f64 v[8:9], v[10:11], v[8:9]
	ds_store_b64 v7, v[8:9]
.LBB521_17:
	s_or_b32 exec_lo, exec_lo, s0
	s_delay_alu instid0(SALU_CYCLE_1)
	s_mov_b32 s0, exec_lo
	s_waitcnt lgkmcnt(0)
	s_barrier
	buffer_gl0_inv
	;; [unrolled: 14-line block ×3, first 2 shown]
	v_cmpx_gt_u16_e32 2, v13
	s_cbranch_execz .LBB521_21
; %bb.20:
	ds_load_2addr_b64 v[8:11], v7 offset1:2
	s_waitcnt lgkmcnt(0)
	v_add_f64 v[8:9], v[10:11], v[8:9]
	ds_store_b64 v7, v[8:9]
.LBB521_21:
	s_or_b32 exec_lo, exec_lo, s0
	s_mov_b32 s1, 0
	s_mov_b32 s0, 0
	s_mov_b32 s2, exec_lo
	s_waitcnt lgkmcnt(0)
	s_barrier
	buffer_gl0_inv
                                        ; implicit-def: $vgpr8
                                        ; implicit-def: $vgpr9
	v_cmpx_gt_u32_e32 26, v0
	s_xor_b32 s2, exec_lo, s2
; %bb.22:
	v_mul_u32_u24_e32 v8, 26, v0
	v_mad_u32_u24 v9, 0xc8, v0, v7
	s_mov_b32 s0, exec_lo
	s_delay_alu instid0(VALU_DEP_2)
	v_or_b32_e32 v8, 1, v8
; %bb.23:
	s_or_b32 exec_lo, exec_lo, s2
	s_delay_alu instid0(SALU_CYCLE_1)
	s_and_b32 vcc_lo, exec_lo, s1
	s_cbranch_vccnz .LBB521_25
	s_branch .LBB521_36
.LBB521_24:
	s_mov_b32 s0, 0
                                        ; implicit-def: $vgpr8
                                        ; implicit-def: $vgpr9
	s_cbranch_execz .LBB521_36
.LBB521_25:
	s_mov_b32 s1, exec_lo
	v_cmpx_gt_u32_e32 0x104, v0
	s_cbranch_execz .LBB521_27
; %bb.26:
	ds_load_b64 v[8:9], v7 offset:3328
	ds_load_b64 v[10:11], v7
	s_waitcnt lgkmcnt(0)
	v_add_f64 v[8:9], v[8:9], v[10:11]
	ds_store_b64 v7, v[8:9]
.LBB521_27:
	s_or_b32 exec_lo, exec_lo, s1
	s_delay_alu instid0(SALU_CYCLE_1)
	s_mov_b32 s1, exec_lo
	s_waitcnt lgkmcnt(0)
	s_barrier
	buffer_gl0_inv
	v_cmpx_gt_u32_e32 0xd0, v0
	s_cbranch_execz .LBB521_29
; %bb.28:
	ds_load_2addr_b64 v[8:11], v7 offset1:208
	s_waitcnt lgkmcnt(0)
	v_add_f64 v[8:9], v[10:11], v[8:9]
	ds_store_b64 v7, v[8:9]
.LBB521_29:
	s_or_b32 exec_lo, exec_lo, s1
	s_delay_alu instid0(SALU_CYCLE_1)
	s_mov_b32 s1, exec_lo
	s_waitcnt lgkmcnt(0)
	s_barrier
	buffer_gl0_inv
	v_cmpx_gt_u32_e32 0x68, v0
	s_cbranch_execz .LBB521_31
; %bb.30:
	ds_load_2addr_b64 v[8:11], v7 offset1:104
	s_waitcnt lgkmcnt(0)
	v_add_f64 v[8:9], v[10:11], v[8:9]
	ds_store_b64 v7, v[8:9]
.LBB521_31:
	;; [unrolled: 14-line block ×3, first 2 shown]
	s_or_b32 exec_lo, exec_lo, s1
	s_delay_alu instid0(SALU_CYCLE_1)
	s_mov_b32 s1, exec_lo
	s_waitcnt lgkmcnt(0)
	buffer_gl0_inv
                                        ; implicit-def: $vgpr8
	v_cmpx_gt_u32_e32 26, v0
; %bb.34:
	v_add_nc_u32_e32 v8, 26, v0
	s_or_b32 s0, s0, exec_lo
                                        ; implicit-def: $vgpr5_vgpr6
; %bb.35:
	s_or_b32 exec_lo, exec_lo, s1
	v_mov_b32_e32 v9, v7
.LBB521_36:
	s_and_saveexec_b32 s1, s0
	s_cbranch_execnz .LBB521_39
; %bb.37:
	s_or_b32 exec_lo, exec_lo, s1
	v_cmp_gt_u32_e32 vcc_lo, 26, v0
	s_and_b32 exec_lo, exec_lo, vcc_lo
	s_cbranch_execnz .LBB521_40
.LBB521_38:
	s_nop 0
	s_sendmsg sendmsg(MSG_DEALLOC_VGPRS)
	s_endpgm
.LBB521_39:
	v_lshlrev_b32_e32 v7, 3, v8
	ds_load_b64 v[5:6], v9
	ds_load_b64 v[7:8], v7
	s_waitcnt lgkmcnt(0)
	v_add_f64 v[5:6], v[5:6], v[7:8]
	s_or_b32 exec_lo, exec_lo, s1
	v_cmp_gt_u32_e32 vcc_lo, 26, v0
	s_and_b32 exec_lo, exec_lo, vcc_lo
	s_cbranch_execz .LBB521_38
.LBB521_40:
	s_delay_alu instid0(VALU_DEP_2)
	v_mul_f64 v[3:4], v[3:4], v[5:6]
	s_mul_i32 s0, s9, 0xd0
	s_mul_hi_u32 s1, s8, 0xd0
	s_mul_i32 s2, s8, 0xd0
	s_mov_b32 s3, exec_lo
	v_cmpx_eq_f64_e32 0, v[1:2]
	s_xor_b32 s3, exec_lo, s3
	s_cbranch_execz .LBB521_42
; %bb.41:
	v_lshlrev_b32_e32 v0, 3, v0
	s_add_i32 s5, s1, s0
	s_add_u32 s4, s10, s2
	s_addc_u32 s5, s11, s5
                                        ; implicit-def: $vgpr1_vgpr2
	global_store_b64 v0, v[3:4], s[4:5]
                                        ; implicit-def: $vgpr0
                                        ; implicit-def: $vgpr3_vgpr4
.LBB521_42:
	s_and_not1_saveexec_b32 s3, s3
	s_cbranch_execz .LBB521_38
; %bb.43:
	v_lshlrev_b32_e32 v7, 3, v0
	s_add_i32 s1, s1, s0
	s_add_u32 s0, s10, s2
	s_addc_u32 s1, s11, s1
	global_load_b64 v[5:6], v7, s[0:1]
	s_waitcnt vmcnt(0)
	v_fma_f64 v[0:1], v[1:2], v[5:6], v[3:4]
	global_store_b64 v7, v[0:1], s[0:1]
	s_nop 0
	s_sendmsg sendmsg(MSG_DEALLOC_VGPRS)
	s_endpgm
	.section	.rodata,"a",@progbits
	.p2align	6, 0x0
	.amdhsa_kernel _ZN9rocsparseL20bsrxmvn_17_32_kernelILj26EdllfddEEvT2_20rocsparse_direction_NS_24const_host_device_scalarIT0_EES1_PKS1_PKT1_SA_S7_PKT3_PKT4_S5_PT5_21rocsparse_index_base_b
		.amdhsa_group_segment_fixed_size 5408
		.amdhsa_private_segment_fixed_size 0
		.amdhsa_kernarg_size 104
		.amdhsa_user_sgpr_count 15
		.amdhsa_user_sgpr_dispatch_ptr 0
		.amdhsa_user_sgpr_queue_ptr 0
		.amdhsa_user_sgpr_kernarg_segment_ptr 1
		.amdhsa_user_sgpr_dispatch_id 0
		.amdhsa_user_sgpr_private_segment_size 0
		.amdhsa_wavefront_size32 1
		.amdhsa_uses_dynamic_stack 0
		.amdhsa_enable_private_segment 0
		.amdhsa_system_sgpr_workgroup_id_x 1
		.amdhsa_system_sgpr_workgroup_id_y 0
		.amdhsa_system_sgpr_workgroup_id_z 0
		.amdhsa_system_sgpr_workgroup_info 0
		.amdhsa_system_vgpr_workitem_id 0
		.amdhsa_next_free_vgpr 21
		.amdhsa_next_free_sgpr 20
		.amdhsa_reserve_vcc 1
		.amdhsa_float_round_mode_32 0
		.amdhsa_float_round_mode_16_64 0
		.amdhsa_float_denorm_mode_32 3
		.amdhsa_float_denorm_mode_16_64 3
		.amdhsa_dx10_clamp 1
		.amdhsa_ieee_mode 1
		.amdhsa_fp16_overflow 0
		.amdhsa_workgroup_processor_mode 1
		.amdhsa_memory_ordered 1
		.amdhsa_forward_progress 0
		.amdhsa_shared_vgpr_count 0
		.amdhsa_exception_fp_ieee_invalid_op 0
		.amdhsa_exception_fp_denorm_src 0
		.amdhsa_exception_fp_ieee_div_zero 0
		.amdhsa_exception_fp_ieee_overflow 0
		.amdhsa_exception_fp_ieee_underflow 0
		.amdhsa_exception_fp_ieee_inexact 0
		.amdhsa_exception_int_div_zero 0
	.end_amdhsa_kernel
	.section	.text._ZN9rocsparseL20bsrxmvn_17_32_kernelILj26EdllfddEEvT2_20rocsparse_direction_NS_24const_host_device_scalarIT0_EES1_PKS1_PKT1_SA_S7_PKT3_PKT4_S5_PT5_21rocsparse_index_base_b,"axG",@progbits,_ZN9rocsparseL20bsrxmvn_17_32_kernelILj26EdllfddEEvT2_20rocsparse_direction_NS_24const_host_device_scalarIT0_EES1_PKS1_PKT1_SA_S7_PKT3_PKT4_S5_PT5_21rocsparse_index_base_b,comdat
.Lfunc_end521:
	.size	_ZN9rocsparseL20bsrxmvn_17_32_kernelILj26EdllfddEEvT2_20rocsparse_direction_NS_24const_host_device_scalarIT0_EES1_PKS1_PKT1_SA_S7_PKT3_PKT4_S5_PT5_21rocsparse_index_base_b, .Lfunc_end521-_ZN9rocsparseL20bsrxmvn_17_32_kernelILj26EdllfddEEvT2_20rocsparse_direction_NS_24const_host_device_scalarIT0_EES1_PKS1_PKT1_SA_S7_PKT3_PKT4_S5_PT5_21rocsparse_index_base_b
                                        ; -- End function
	.section	.AMDGPU.csdata,"",@progbits
; Kernel info:
; codeLenInByte = 1720
; NumSgprs: 22
; NumVgprs: 21
; ScratchSize: 0
; MemoryBound: 0
; FloatMode: 240
; IeeeMode: 1
; LDSByteSize: 5408 bytes/workgroup (compile time only)
; SGPRBlocks: 2
; VGPRBlocks: 2
; NumSGPRsForWavesPerEU: 22
; NumVGPRsForWavesPerEU: 21
; Occupancy: 11
; WaveLimiterHint : 1
; COMPUTE_PGM_RSRC2:SCRATCH_EN: 0
; COMPUTE_PGM_RSRC2:USER_SGPR: 15
; COMPUTE_PGM_RSRC2:TRAP_HANDLER: 0
; COMPUTE_PGM_RSRC2:TGID_X_EN: 1
; COMPUTE_PGM_RSRC2:TGID_Y_EN: 0
; COMPUTE_PGM_RSRC2:TGID_Z_EN: 0
; COMPUTE_PGM_RSRC2:TIDIG_COMP_CNT: 0
	.section	.text._ZN9rocsparseL20bsrxmvn_17_32_kernelILj27EdllfddEEvT2_20rocsparse_direction_NS_24const_host_device_scalarIT0_EES1_PKS1_PKT1_SA_S7_PKT3_PKT4_S5_PT5_21rocsparse_index_base_b,"axG",@progbits,_ZN9rocsparseL20bsrxmvn_17_32_kernelILj27EdllfddEEvT2_20rocsparse_direction_NS_24const_host_device_scalarIT0_EES1_PKS1_PKT1_SA_S7_PKT3_PKT4_S5_PT5_21rocsparse_index_base_b,comdat
	.globl	_ZN9rocsparseL20bsrxmvn_17_32_kernelILj27EdllfddEEvT2_20rocsparse_direction_NS_24const_host_device_scalarIT0_EES1_PKS1_PKT1_SA_S7_PKT3_PKT4_S5_PT5_21rocsparse_index_base_b ; -- Begin function _ZN9rocsparseL20bsrxmvn_17_32_kernelILj27EdllfddEEvT2_20rocsparse_direction_NS_24const_host_device_scalarIT0_EES1_PKS1_PKT1_SA_S7_PKT3_PKT4_S5_PT5_21rocsparse_index_base_b
	.p2align	8
	.type	_ZN9rocsparseL20bsrxmvn_17_32_kernelILj27EdllfddEEvT2_20rocsparse_direction_NS_24const_host_device_scalarIT0_EES1_PKS1_PKT1_SA_S7_PKT3_PKT4_S5_PT5_21rocsparse_index_base_b,@function
_ZN9rocsparseL20bsrxmvn_17_32_kernelILj27EdllfddEEvT2_20rocsparse_direction_NS_24const_host_device_scalarIT0_EES1_PKS1_PKT1_SA_S7_PKT3_PKT4_S5_PT5_21rocsparse_index_base_b: ; @_ZN9rocsparseL20bsrxmvn_17_32_kernelILj27EdllfddEEvT2_20rocsparse_direction_NS_24const_host_device_scalarIT0_EES1_PKS1_PKT1_SA_S7_PKT3_PKT4_S5_PT5_21rocsparse_index_base_b
; %bb.0:
	s_clause 0x2
	s_load_b64 s[12:13], s[0:1], 0x60
	s_load_b64 s[4:5], s[0:1], 0x10
	;; [unrolled: 1-line block ×3, first 2 shown]
	s_mov_b32 s8, s15
	s_waitcnt lgkmcnt(0)
	s_bitcmp1_b32 s13, 0
	v_dual_mov_b32 v3, s4 :: v_dual_mov_b32 v4, s5
	s_cselect_b32 s6, -1, 0
	s_delay_alu instid0(SALU_CYCLE_1)
	s_and_b32 vcc_lo, exec_lo, s6
	s_xor_b32 s6, s6, -1
	s_cbranch_vccnz .LBB522_2
; %bb.1:
	v_dual_mov_b32 v1, s4 :: v_dual_mov_b32 v2, s5
	flat_load_b64 v[3:4], v[1:2]
.LBB522_2:
	v_dual_mov_b32 v1, s2 :: v_dual_mov_b32 v2, s3
	s_and_not1_b32 vcc_lo, exec_lo, s6
	s_cbranch_vccnz .LBB522_4
; %bb.3:
	v_dual_mov_b32 v1, s2 :: v_dual_mov_b32 v2, s3
	flat_load_b64 v[1:2], v[1:2]
.LBB522_4:
	s_waitcnt vmcnt(0) lgkmcnt(0)
	v_cmp_neq_f64_e32 vcc_lo, 0, v[3:4]
	v_cmp_neq_f64_e64 s2, 1.0, v[1:2]
	s_delay_alu instid0(VALU_DEP_1) | instskip(NEXT) | instid1(SALU_CYCLE_1)
	s_or_b32 s2, vcc_lo, s2
	s_and_saveexec_b32 s3, s2
	s_cbranch_execz .LBB522_38
; %bb.5:
	s_clause 0x1
	s_load_b128 s[4:7], s[0:1], 0x20
	s_load_b64 s[10:11], s[0:1], 0x30
	s_mov_b32 s9, 0
	s_waitcnt lgkmcnt(0)
	s_cmp_eq_u64 s[4:5], 0
	s_cbranch_scc1 .LBB522_7
; %bb.6:
	s_lshl_b64 s[2:3], s[8:9], 3
	s_delay_alu instid0(SALU_CYCLE_1)
	s_add_u32 s2, s4, s2
	s_addc_u32 s3, s5, s3
	s_load_b64 s[2:3], s[2:3], 0x0
	s_waitcnt lgkmcnt(0)
	s_sub_u32 s8, s2, s12
	s_subb_u32 s9, s3, 0
.LBB522_7:
	s_load_b32 s3, s[0:1], 0x8
	v_mul_u32_u24_e32 v5, 0x97c, v0
	s_delay_alu instid0(VALU_DEP_1) | instskip(NEXT) | instid1(VALU_DEP_1)
	v_lshrrev_b32_e32 v7, 16, v5
	v_mul_lo_u16 v5, v7, 27
	s_delay_alu instid0(VALU_DEP_1)
	v_sub_nc_u16 v13, v0, v5
	v_mov_b32_e32 v5, 0
	v_mov_b32_e32 v6, 0
	s_waitcnt lgkmcnt(0)
	s_cmp_eq_u32 s3, 1
	s_cselect_b32 s2, -1, 0
	s_cmp_lg_u32 s3, 1
	s_cselect_b32 s13, -1, 0
	s_lshl_b64 s[4:5], s[8:9], 3
	s_delay_alu instid0(SALU_CYCLE_1)
	s_add_u32 s6, s6, s4
	s_addc_u32 s7, s7, s5
	s_add_u32 s3, s6, 8
	s_addc_u32 s14, s7, 0
	;; [unrolled: 2-line block ×3, first 2 shown]
	s_cmp_eq_u64 s[10:11], 0
	s_load_b64 s[10:11], s[0:1], 0x58
	s_cselect_b32 s5, s14, s5
	s_cselect_b32 s4, s3, s4
	s_load_b64 s[14:15], s[6:7], 0x0
	s_load_b64 s[16:17], s[4:5], 0x0
	s_waitcnt lgkmcnt(0)
	v_cmp_ge_i64_e64 s3, s[14:15], s[16:17]
	s_delay_alu instid0(VALU_DEP_1)
	s_and_b32 vcc_lo, exec_lo, s3
	s_cbranch_vccnz .LBB522_12
; %bb.8:
	v_dual_mov_b32 v6, 0 :: v_dual_and_b32 v5, 0xffff, v7
	v_cmp_gt_u32_e32 vcc_lo, 0x2d9, v0
	s_clause 0x1
	s_load_b128 s[4:7], s[0:1], 0x38
	s_load_b64 s[18:19], s[0:1], 0x48
	v_and_b32_e32 v8, 0xffff, v13
	v_subrev_nc_u32_e32 v7, 27, v5
	s_sub_u32 s0, s16, s12
	s_subb_u32 s1, s17, 0
	s_delay_alu instid0(VALU_DEP_1) | instskip(SKIP_1) | instid1(VALU_DEP_2)
	v_cndmask_b32_e32 v5, v7, v5, vcc_lo
	v_cmp_lt_u32_e32 vcc_lo, 0x2d8, v0
	v_cndmask_b32_e64 v5, v8, v5, s2
	v_cndmask_b32_e64 v14, 0, 1, vcc_lo
	s_sub_u32 s2, s14, s12
	s_subb_u32 s3, s15, 0
	s_mul_hi_u32 s16, s2, 0xb64
	v_lshlrev_b64 v[5:6], 3, v[5:6]
	v_add_co_u32 v9, s14, s14, v14
	s_delay_alu instid0(VALU_DEP_1) | instskip(SKIP_2) | instid1(VALU_DEP_3)
	v_add_co_ci_u32_e64 v10, null, s15, 0, s14
	s_mul_i32 s17, s3, 0xb64
	s_waitcnt lgkmcnt(0)
	v_add_co_u32 v7, vcc_lo, s18, v5
	v_add_co_ci_u32_e32 v8, vcc_lo, s19, v6, vcc_lo
	v_sub_co_u32 v5, vcc_lo, v9, s12
	v_subrev_co_ci_u32_e32 v6, vcc_lo, 0, v10, vcc_lo
	v_lshlrev_b32_e32 v9, 2, v0
	s_mul_i32 s14, s2, 0xb64
	s_add_i32 s16, s16, s17
	s_delay_alu instid0(VALU_DEP_2)
	v_lshlrev_b64 v[11:12], 3, v[5:6]
	s_add_u32 s6, s6, s14
	v_mov_b32_e32 v5, 0
	v_mov_b32_e32 v6, 0
	s_addc_u32 s7, s7, s16
	v_add_co_u32 v9, s6, s6, v9
	v_add_co_u32 v11, vcc_lo, s4, v11
	v_add_co_ci_u32_e64 v10, null, s7, 0, s6
	v_add_co_ci_u32_e32 v12, vcc_lo, s5, v12, vcc_lo
	s_set_inst_prefetch_distance 0x1
	s_branch .LBB522_10
	.p2align	6
.LBB522_9:                              ;   in Loop: Header=BB522_10 Depth=1
	s_or_b32 exec_lo, exec_lo, s4
	s_add_u32 s2, s2, 1
	s_addc_u32 s3, s3, 0
	v_add_co_u32 v11, vcc_lo, v11, 8
	v_cmp_lt_i64_e64 s4, s[2:3], s[0:1]
	v_add_co_ci_u32_e32 v12, vcc_lo, 0, v12, vcc_lo
	s_delay_alu instid0(VALU_DEP_2)
	s_and_b32 vcc_lo, exec_lo, s4
	s_cbranch_vccz .LBB522_12
.LBB522_10:                             ; =>This Inner Loop Header: Depth=1
	v_add_co_u32 v15, s4, v14, s2
	s_delay_alu instid0(VALU_DEP_1) | instskip(SKIP_1) | instid1(VALU_DEP_1)
	v_add_co_ci_u32_e64 v16, null, 0, s3, s4
	s_mov_b32 s4, exec_lo
	v_cmpx_gt_i64_e64 s[0:1], v[15:16]
	s_cbranch_execz .LBB522_9
; %bb.11:                               ;   in Loop: Header=BB522_10 Depth=1
	global_load_b64 v[15:16], v[11:12], off
	global_load_b32 v19, v[9:10], off
	s_waitcnt vmcnt(1)
	v_sub_co_u32 v17, vcc_lo, v15, s12
	v_subrev_co_ci_u32_e32 v20, vcc_lo, 0, v16, vcc_lo
	v_add_co_u32 v9, vcc_lo, 0xb64, v9
	s_delay_alu instid0(VALU_DEP_3) | instskip(SKIP_1) | instid1(VALU_DEP_2)
	v_mad_u64_u32 v[15:16], null, 0xd8, v17, v[7:8]
	v_add_co_ci_u32_e32 v10, vcc_lo, 0, v10, vcc_lo
	v_mad_u64_u32 v[17:18], null, 0xd8, v20, v[16:17]
	s_delay_alu instid0(VALU_DEP_1)
	v_mov_b32_e32 v16, v17
	s_waitcnt vmcnt(0)
	v_cvt_f64_f32_e32 v[17:18], v19
	global_load_b64 v[15:16], v[15:16], off
	s_waitcnt vmcnt(0)
	v_fma_f64 v[5:6], v[17:18], v[15:16], v[5:6]
	s_branch .LBB522_9
.LBB522_12:
	s_set_inst_prefetch_distance 0x2
	v_lshlrev_b32_e32 v7, 3, v0
	s_and_b32 vcc_lo, exec_lo, s13
	ds_store_b64 v7, v[5:6]
	s_waitcnt lgkmcnt(0)
	s_barrier
	buffer_gl0_inv
	s_cbranch_vccz .LBB522_24
; %bb.13:
	s_mov_b32 s0, exec_lo
	v_cmpx_gt_u16_e32 11, v13
	s_cbranch_execz .LBB522_15
; %bb.14:
	ds_load_2addr_b64 v[8:11], v7 offset1:16
	s_waitcnt lgkmcnt(0)
	v_add_f64 v[8:9], v[10:11], v[8:9]
	ds_store_b64 v7, v[8:9]
.LBB522_15:
	s_or_b32 exec_lo, exec_lo, s0
	s_delay_alu instid0(SALU_CYCLE_1)
	s_mov_b32 s0, exec_lo
	s_waitcnt lgkmcnt(0)
	s_barrier
	buffer_gl0_inv
	v_cmpx_gt_u16_e32 8, v13
	s_cbranch_execz .LBB522_17
; %bb.16:
	ds_load_2addr_b64 v[8:11], v7 offset1:8
	s_waitcnt lgkmcnt(0)
	v_add_f64 v[8:9], v[10:11], v[8:9]
	ds_store_b64 v7, v[8:9]
.LBB522_17:
	s_or_b32 exec_lo, exec_lo, s0
	s_delay_alu instid0(SALU_CYCLE_1)
	s_mov_b32 s0, exec_lo
	s_waitcnt lgkmcnt(0)
	s_barrier
	buffer_gl0_inv
	;; [unrolled: 14-line block ×3, first 2 shown]
	v_cmpx_gt_u16_e32 2, v13
	s_cbranch_execz .LBB522_21
; %bb.20:
	ds_load_2addr_b64 v[8:11], v7 offset1:2
	s_waitcnt lgkmcnt(0)
	v_add_f64 v[8:9], v[10:11], v[8:9]
	ds_store_b64 v7, v[8:9]
.LBB522_21:
	s_or_b32 exec_lo, exec_lo, s0
	s_mov_b32 s1, 0
	s_mov_b32 s0, 0
	s_mov_b32 s2, exec_lo
	s_waitcnt lgkmcnt(0)
	s_barrier
	buffer_gl0_inv
                                        ; implicit-def: $vgpr8
                                        ; implicit-def: $vgpr9
	v_cmpx_gt_u32_e32 27, v0
	s_xor_b32 s2, exec_lo, s2
; %bb.22:
	v_mad_u32_u24 v8, v0, 27, 1
	v_mad_u32_u24 v9, 0xd0, v0, v7
	s_mov_b32 s0, exec_lo
; %bb.23:
	s_or_b32 exec_lo, exec_lo, s2
	s_delay_alu instid0(SALU_CYCLE_1)
	s_and_b32 vcc_lo, exec_lo, s1
	s_cbranch_vccnz .LBB522_25
	s_branch .LBB522_36
.LBB522_24:
	s_mov_b32 s0, 0
                                        ; implicit-def: $vgpr8
                                        ; implicit-def: $vgpr9
	s_cbranch_execz .LBB522_36
.LBB522_25:
	s_mov_b32 s1, exec_lo
	v_cmpx_gt_u32_e32 0x129, v0
	s_cbranch_execz .LBB522_27
; %bb.26:
	ds_load_b64 v[8:9], v7 offset:3456
	ds_load_b64 v[10:11], v7
	s_waitcnt lgkmcnt(0)
	v_add_f64 v[8:9], v[8:9], v[10:11]
	ds_store_b64 v7, v[8:9]
.LBB522_27:
	s_or_b32 exec_lo, exec_lo, s1
	s_delay_alu instid0(SALU_CYCLE_1)
	s_mov_b32 s1, exec_lo
	s_waitcnt lgkmcnt(0)
	s_barrier
	buffer_gl0_inv
	v_cmpx_gt_u32_e32 0xd8, v0
	s_cbranch_execz .LBB522_29
; %bb.28:
	ds_load_2addr_b64 v[8:11], v7 offset1:216
	s_waitcnt lgkmcnt(0)
	v_add_f64 v[8:9], v[10:11], v[8:9]
	ds_store_b64 v7, v[8:9]
.LBB522_29:
	s_or_b32 exec_lo, exec_lo, s1
	s_delay_alu instid0(SALU_CYCLE_1)
	s_mov_b32 s1, exec_lo
	s_waitcnt lgkmcnt(0)
	s_barrier
	buffer_gl0_inv
	v_cmpx_gt_u32_e32 0x6c, v0
	s_cbranch_execz .LBB522_31
; %bb.30:
	ds_load_2addr_b64 v[8:11], v7 offset1:108
	s_waitcnt lgkmcnt(0)
	v_add_f64 v[8:9], v[10:11], v[8:9]
	ds_store_b64 v7, v[8:9]
.LBB522_31:
	;; [unrolled: 14-line block ×3, first 2 shown]
	s_or_b32 exec_lo, exec_lo, s1
	s_delay_alu instid0(SALU_CYCLE_1)
	s_mov_b32 s1, exec_lo
	s_waitcnt lgkmcnt(0)
	buffer_gl0_inv
                                        ; implicit-def: $vgpr8
	v_cmpx_gt_u32_e32 27, v0
; %bb.34:
	v_add_nc_u32_e32 v8, 27, v0
	s_or_b32 s0, s0, exec_lo
                                        ; implicit-def: $vgpr5_vgpr6
; %bb.35:
	s_or_b32 exec_lo, exec_lo, s1
	v_mov_b32_e32 v9, v7
.LBB522_36:
	s_and_saveexec_b32 s1, s0
	s_cbranch_execnz .LBB522_39
; %bb.37:
	s_or_b32 exec_lo, exec_lo, s1
	v_cmp_gt_u32_e32 vcc_lo, 27, v0
	s_and_b32 exec_lo, exec_lo, vcc_lo
	s_cbranch_execnz .LBB522_40
.LBB522_38:
	s_nop 0
	s_sendmsg sendmsg(MSG_DEALLOC_VGPRS)
	s_endpgm
.LBB522_39:
	v_lshlrev_b32_e32 v7, 3, v8
	ds_load_b64 v[5:6], v9
	ds_load_b64 v[7:8], v7
	s_waitcnt lgkmcnt(0)
	v_add_f64 v[5:6], v[5:6], v[7:8]
	s_or_b32 exec_lo, exec_lo, s1
	v_cmp_gt_u32_e32 vcc_lo, 27, v0
	s_and_b32 exec_lo, exec_lo, vcc_lo
	s_cbranch_execz .LBB522_38
.LBB522_40:
	s_delay_alu instid0(VALU_DEP_2)
	v_mul_f64 v[3:4], v[3:4], v[5:6]
	s_mul_i32 s0, s9, 0xd8
	s_mul_hi_u32 s1, s8, 0xd8
	s_mul_i32 s2, s8, 0xd8
	s_mov_b32 s3, exec_lo
	v_cmpx_eq_f64_e32 0, v[1:2]
	s_xor_b32 s3, exec_lo, s3
	s_cbranch_execz .LBB522_42
; %bb.41:
	v_lshlrev_b32_e32 v0, 3, v0
	s_add_i32 s5, s1, s0
	s_add_u32 s4, s10, s2
	s_addc_u32 s5, s11, s5
                                        ; implicit-def: $vgpr1_vgpr2
	global_store_b64 v0, v[3:4], s[4:5]
                                        ; implicit-def: $vgpr0
                                        ; implicit-def: $vgpr3_vgpr4
.LBB522_42:
	s_and_not1_saveexec_b32 s3, s3
	s_cbranch_execz .LBB522_38
; %bb.43:
	v_lshlrev_b32_e32 v7, 3, v0
	s_add_i32 s1, s1, s0
	s_add_u32 s0, s10, s2
	s_addc_u32 s1, s11, s1
	global_load_b64 v[5:6], v7, s[0:1]
	s_waitcnt vmcnt(0)
	v_fma_f64 v[0:1], v[1:2], v[5:6], v[3:4]
	global_store_b64 v7, v[0:1], s[0:1]
	s_nop 0
	s_sendmsg sendmsg(MSG_DEALLOC_VGPRS)
	s_endpgm
	.section	.rodata,"a",@progbits
	.p2align	6, 0x0
	.amdhsa_kernel _ZN9rocsparseL20bsrxmvn_17_32_kernelILj27EdllfddEEvT2_20rocsparse_direction_NS_24const_host_device_scalarIT0_EES1_PKS1_PKT1_SA_S7_PKT3_PKT4_S5_PT5_21rocsparse_index_base_b
		.amdhsa_group_segment_fixed_size 5832
		.amdhsa_private_segment_fixed_size 0
		.amdhsa_kernarg_size 104
		.amdhsa_user_sgpr_count 15
		.amdhsa_user_sgpr_dispatch_ptr 0
		.amdhsa_user_sgpr_queue_ptr 0
		.amdhsa_user_sgpr_kernarg_segment_ptr 1
		.amdhsa_user_sgpr_dispatch_id 0
		.amdhsa_user_sgpr_private_segment_size 0
		.amdhsa_wavefront_size32 1
		.amdhsa_uses_dynamic_stack 0
		.amdhsa_enable_private_segment 0
		.amdhsa_system_sgpr_workgroup_id_x 1
		.amdhsa_system_sgpr_workgroup_id_y 0
		.amdhsa_system_sgpr_workgroup_id_z 0
		.amdhsa_system_sgpr_workgroup_info 0
		.amdhsa_system_vgpr_workitem_id 0
		.amdhsa_next_free_vgpr 21
		.amdhsa_next_free_sgpr 20
		.amdhsa_reserve_vcc 1
		.amdhsa_float_round_mode_32 0
		.amdhsa_float_round_mode_16_64 0
		.amdhsa_float_denorm_mode_32 3
		.amdhsa_float_denorm_mode_16_64 3
		.amdhsa_dx10_clamp 1
		.amdhsa_ieee_mode 1
		.amdhsa_fp16_overflow 0
		.amdhsa_workgroup_processor_mode 1
		.amdhsa_memory_ordered 1
		.amdhsa_forward_progress 0
		.amdhsa_shared_vgpr_count 0
		.amdhsa_exception_fp_ieee_invalid_op 0
		.amdhsa_exception_fp_denorm_src 0
		.amdhsa_exception_fp_ieee_div_zero 0
		.amdhsa_exception_fp_ieee_overflow 0
		.amdhsa_exception_fp_ieee_underflow 0
		.amdhsa_exception_fp_ieee_inexact 0
		.amdhsa_exception_int_div_zero 0
	.end_amdhsa_kernel
	.section	.text._ZN9rocsparseL20bsrxmvn_17_32_kernelILj27EdllfddEEvT2_20rocsparse_direction_NS_24const_host_device_scalarIT0_EES1_PKS1_PKT1_SA_S7_PKT3_PKT4_S5_PT5_21rocsparse_index_base_b,"axG",@progbits,_ZN9rocsparseL20bsrxmvn_17_32_kernelILj27EdllfddEEvT2_20rocsparse_direction_NS_24const_host_device_scalarIT0_EES1_PKS1_PKT1_SA_S7_PKT3_PKT4_S5_PT5_21rocsparse_index_base_b,comdat
.Lfunc_end522:
	.size	_ZN9rocsparseL20bsrxmvn_17_32_kernelILj27EdllfddEEvT2_20rocsparse_direction_NS_24const_host_device_scalarIT0_EES1_PKS1_PKT1_SA_S7_PKT3_PKT4_S5_PT5_21rocsparse_index_base_b, .Lfunc_end522-_ZN9rocsparseL20bsrxmvn_17_32_kernelILj27EdllfddEEvT2_20rocsparse_direction_NS_24const_host_device_scalarIT0_EES1_PKS1_PKT1_SA_S7_PKT3_PKT4_S5_PT5_21rocsparse_index_base_b
                                        ; -- End function
	.section	.AMDGPU.csdata,"",@progbits
; Kernel info:
; codeLenInByte = 1716
; NumSgprs: 22
; NumVgprs: 21
; ScratchSize: 0
; MemoryBound: 0
; FloatMode: 240
; IeeeMode: 1
; LDSByteSize: 5832 bytes/workgroup (compile time only)
; SGPRBlocks: 2
; VGPRBlocks: 2
; NumSGPRsForWavesPerEU: 22
; NumVGPRsForWavesPerEU: 21
; Occupancy: 12
; WaveLimiterHint : 1
; COMPUTE_PGM_RSRC2:SCRATCH_EN: 0
; COMPUTE_PGM_RSRC2:USER_SGPR: 15
; COMPUTE_PGM_RSRC2:TRAP_HANDLER: 0
; COMPUTE_PGM_RSRC2:TGID_X_EN: 1
; COMPUTE_PGM_RSRC2:TGID_Y_EN: 0
; COMPUTE_PGM_RSRC2:TGID_Z_EN: 0
; COMPUTE_PGM_RSRC2:TIDIG_COMP_CNT: 0
	.section	.text._ZN9rocsparseL20bsrxmvn_17_32_kernelILj28EdllfddEEvT2_20rocsparse_direction_NS_24const_host_device_scalarIT0_EES1_PKS1_PKT1_SA_S7_PKT3_PKT4_S5_PT5_21rocsparse_index_base_b,"axG",@progbits,_ZN9rocsparseL20bsrxmvn_17_32_kernelILj28EdllfddEEvT2_20rocsparse_direction_NS_24const_host_device_scalarIT0_EES1_PKS1_PKT1_SA_S7_PKT3_PKT4_S5_PT5_21rocsparse_index_base_b,comdat
	.globl	_ZN9rocsparseL20bsrxmvn_17_32_kernelILj28EdllfddEEvT2_20rocsparse_direction_NS_24const_host_device_scalarIT0_EES1_PKS1_PKT1_SA_S7_PKT3_PKT4_S5_PT5_21rocsparse_index_base_b ; -- Begin function _ZN9rocsparseL20bsrxmvn_17_32_kernelILj28EdllfddEEvT2_20rocsparse_direction_NS_24const_host_device_scalarIT0_EES1_PKS1_PKT1_SA_S7_PKT3_PKT4_S5_PT5_21rocsparse_index_base_b
	.p2align	8
	.type	_ZN9rocsparseL20bsrxmvn_17_32_kernelILj28EdllfddEEvT2_20rocsparse_direction_NS_24const_host_device_scalarIT0_EES1_PKS1_PKT1_SA_S7_PKT3_PKT4_S5_PT5_21rocsparse_index_base_b,@function
_ZN9rocsparseL20bsrxmvn_17_32_kernelILj28EdllfddEEvT2_20rocsparse_direction_NS_24const_host_device_scalarIT0_EES1_PKS1_PKT1_SA_S7_PKT3_PKT4_S5_PT5_21rocsparse_index_base_b: ; @_ZN9rocsparseL20bsrxmvn_17_32_kernelILj28EdllfddEEvT2_20rocsparse_direction_NS_24const_host_device_scalarIT0_EES1_PKS1_PKT1_SA_S7_PKT3_PKT4_S5_PT5_21rocsparse_index_base_b
; %bb.0:
	s_clause 0x2
	s_load_b64 s[12:13], s[0:1], 0x60
	s_load_b64 s[4:5], s[0:1], 0x10
	;; [unrolled: 1-line block ×3, first 2 shown]
	s_mov_b32 s8, s15
	s_waitcnt lgkmcnt(0)
	s_bitcmp1_b32 s13, 0
	v_dual_mov_b32 v3, s4 :: v_dual_mov_b32 v4, s5
	s_cselect_b32 s6, -1, 0
	s_delay_alu instid0(SALU_CYCLE_1)
	s_and_b32 vcc_lo, exec_lo, s6
	s_xor_b32 s6, s6, -1
	s_cbranch_vccnz .LBB523_2
; %bb.1:
	v_dual_mov_b32 v1, s4 :: v_dual_mov_b32 v2, s5
	flat_load_b64 v[3:4], v[1:2]
.LBB523_2:
	v_dual_mov_b32 v1, s2 :: v_dual_mov_b32 v2, s3
	s_and_not1_b32 vcc_lo, exec_lo, s6
	s_cbranch_vccnz .LBB523_4
; %bb.3:
	v_dual_mov_b32 v1, s2 :: v_dual_mov_b32 v2, s3
	flat_load_b64 v[1:2], v[1:2]
.LBB523_4:
	s_waitcnt vmcnt(0) lgkmcnt(0)
	v_cmp_neq_f64_e32 vcc_lo, 0, v[3:4]
	v_cmp_neq_f64_e64 s2, 1.0, v[1:2]
	s_delay_alu instid0(VALU_DEP_1) | instskip(NEXT) | instid1(SALU_CYCLE_1)
	s_or_b32 s2, vcc_lo, s2
	s_and_saveexec_b32 s3, s2
	s_cbranch_execz .LBB523_38
; %bb.5:
	s_clause 0x1
	s_load_b128 s[4:7], s[0:1], 0x20
	s_load_b64 s[10:11], s[0:1], 0x30
	s_mov_b32 s9, 0
	s_waitcnt lgkmcnt(0)
	s_cmp_eq_u64 s[4:5], 0
	s_cbranch_scc1 .LBB523_7
; %bb.6:
	s_lshl_b64 s[2:3], s[8:9], 3
	s_delay_alu instid0(SALU_CYCLE_1)
	s_add_u32 s2, s4, s2
	s_addc_u32 s3, s5, s3
	s_load_b64 s[2:3], s[2:3], 0x0
	s_waitcnt lgkmcnt(0)
	s_sub_u32 s8, s2, s12
	s_subb_u32 s9, s3, 0
.LBB523_7:
	s_load_b32 s3, s[0:1], 0x8
	v_mul_u32_u24_e32 v5, 0x925, v0
	s_delay_alu instid0(VALU_DEP_1) | instskip(NEXT) | instid1(VALU_DEP_1)
	v_lshrrev_b32_e32 v7, 16, v5
	v_mul_lo_u16 v5, v7, 28
	s_delay_alu instid0(VALU_DEP_1)
	v_sub_nc_u16 v13, v0, v5
	v_mov_b32_e32 v5, 0
	v_mov_b32_e32 v6, 0
	s_waitcnt lgkmcnt(0)
	s_cmp_eq_u32 s3, 1
	s_cselect_b32 s2, -1, 0
	s_cmp_lg_u32 s3, 1
	s_cselect_b32 s13, -1, 0
	s_lshl_b64 s[4:5], s[8:9], 3
	s_delay_alu instid0(SALU_CYCLE_1)
	s_add_u32 s6, s6, s4
	s_addc_u32 s7, s7, s5
	s_add_u32 s3, s6, 8
	s_addc_u32 s14, s7, 0
	;; [unrolled: 2-line block ×3, first 2 shown]
	s_cmp_eq_u64 s[10:11], 0
	s_load_b64 s[10:11], s[0:1], 0x58
	s_cselect_b32 s5, s14, s5
	s_cselect_b32 s4, s3, s4
	s_load_b64 s[14:15], s[6:7], 0x0
	s_load_b64 s[16:17], s[4:5], 0x0
	s_waitcnt lgkmcnt(0)
	v_cmp_ge_i64_e64 s3, s[14:15], s[16:17]
	s_delay_alu instid0(VALU_DEP_1)
	s_and_b32 vcc_lo, exec_lo, s3
	s_cbranch_vccnz .LBB523_12
; %bb.8:
	v_dual_mov_b32 v6, 0 :: v_dual_and_b32 v5, 0xffff, v7
	v_cmp_gt_u32_e32 vcc_lo, 0x310, v0
	s_clause 0x1
	s_load_b128 s[4:7], s[0:1], 0x38
	s_load_b64 s[18:19], s[0:1], 0x48
	v_and_b32_e32 v8, 0xffff, v13
	v_subrev_nc_u32_e32 v7, 28, v5
	s_sub_u32 s0, s16, s12
	s_subb_u32 s1, s17, 0
	s_delay_alu instid0(VALU_DEP_1) | instskip(SKIP_1) | instid1(VALU_DEP_2)
	v_cndmask_b32_e32 v5, v7, v5, vcc_lo
	v_cmp_lt_u32_e32 vcc_lo, 0x30f, v0
	v_cndmask_b32_e64 v5, v8, v5, s2
	v_cndmask_b32_e64 v14, 0, 1, vcc_lo
	s_sub_u32 s2, s14, s12
	s_subb_u32 s3, s15, 0
	s_mul_hi_u32 s16, s2, 0xc40
	v_lshlrev_b64 v[5:6], 3, v[5:6]
	v_add_co_u32 v9, s14, s14, v14
	s_delay_alu instid0(VALU_DEP_1) | instskip(SKIP_2) | instid1(VALU_DEP_3)
	v_add_co_ci_u32_e64 v10, null, s15, 0, s14
	s_mul_i32 s17, s3, 0xc40
	s_waitcnt lgkmcnt(0)
	v_add_co_u32 v7, vcc_lo, s18, v5
	v_add_co_ci_u32_e32 v8, vcc_lo, s19, v6, vcc_lo
	v_sub_co_u32 v5, vcc_lo, v9, s12
	v_subrev_co_ci_u32_e32 v6, vcc_lo, 0, v10, vcc_lo
	v_lshlrev_b32_e32 v9, 2, v0
	s_mul_i32 s14, s2, 0xc40
	s_add_i32 s16, s16, s17
	s_delay_alu instid0(VALU_DEP_2)
	v_lshlrev_b64 v[11:12], 3, v[5:6]
	s_add_u32 s6, s6, s14
	v_mov_b32_e32 v5, 0
	v_mov_b32_e32 v6, 0
	s_addc_u32 s7, s7, s16
	v_add_co_u32 v9, s6, s6, v9
	v_add_co_u32 v11, vcc_lo, s4, v11
	v_add_co_ci_u32_e64 v10, null, s7, 0, s6
	v_add_co_ci_u32_e32 v12, vcc_lo, s5, v12, vcc_lo
	s_set_inst_prefetch_distance 0x1
	s_branch .LBB523_10
	.p2align	6
.LBB523_9:                              ;   in Loop: Header=BB523_10 Depth=1
	s_or_b32 exec_lo, exec_lo, s4
	s_add_u32 s2, s2, 1
	s_addc_u32 s3, s3, 0
	v_add_co_u32 v11, vcc_lo, v11, 8
	v_cmp_lt_i64_e64 s4, s[2:3], s[0:1]
	v_add_co_ci_u32_e32 v12, vcc_lo, 0, v12, vcc_lo
	s_delay_alu instid0(VALU_DEP_2)
	s_and_b32 vcc_lo, exec_lo, s4
	s_cbranch_vccz .LBB523_12
.LBB523_10:                             ; =>This Inner Loop Header: Depth=1
	v_add_co_u32 v15, s4, v14, s2
	s_delay_alu instid0(VALU_DEP_1) | instskip(SKIP_1) | instid1(VALU_DEP_1)
	v_add_co_ci_u32_e64 v16, null, 0, s3, s4
	s_mov_b32 s4, exec_lo
	v_cmpx_gt_i64_e64 s[0:1], v[15:16]
	s_cbranch_execz .LBB523_9
; %bb.11:                               ;   in Loop: Header=BB523_10 Depth=1
	global_load_b64 v[15:16], v[11:12], off
	global_load_b32 v19, v[9:10], off
	s_waitcnt vmcnt(1)
	v_sub_co_u32 v17, vcc_lo, v15, s12
	v_subrev_co_ci_u32_e32 v20, vcc_lo, 0, v16, vcc_lo
	v_add_co_u32 v9, vcc_lo, 0xc40, v9
	s_delay_alu instid0(VALU_DEP_3) | instskip(SKIP_1) | instid1(VALU_DEP_2)
	v_mad_u64_u32 v[15:16], null, 0xe0, v17, v[7:8]
	v_add_co_ci_u32_e32 v10, vcc_lo, 0, v10, vcc_lo
	v_mad_u64_u32 v[17:18], null, 0xe0, v20, v[16:17]
	s_delay_alu instid0(VALU_DEP_1)
	v_mov_b32_e32 v16, v17
	s_waitcnt vmcnt(0)
	v_cvt_f64_f32_e32 v[17:18], v19
	global_load_b64 v[15:16], v[15:16], off
	s_waitcnt vmcnt(0)
	v_fma_f64 v[5:6], v[17:18], v[15:16], v[5:6]
	s_branch .LBB523_9
.LBB523_12:
	s_set_inst_prefetch_distance 0x2
	v_lshlrev_b32_e32 v7, 3, v0
	s_and_b32 vcc_lo, exec_lo, s13
	ds_store_b64 v7, v[5:6]
	s_waitcnt lgkmcnt(0)
	s_barrier
	buffer_gl0_inv
	s_cbranch_vccz .LBB523_24
; %bb.13:
	s_mov_b32 s0, exec_lo
	v_cmpx_gt_u16_e32 12, v13
	s_cbranch_execz .LBB523_15
; %bb.14:
	ds_load_2addr_b64 v[8:11], v7 offset1:16
	s_waitcnt lgkmcnt(0)
	v_add_f64 v[8:9], v[10:11], v[8:9]
	ds_store_b64 v7, v[8:9]
.LBB523_15:
	s_or_b32 exec_lo, exec_lo, s0
	s_delay_alu instid0(SALU_CYCLE_1)
	s_mov_b32 s0, exec_lo
	s_waitcnt lgkmcnt(0)
	s_barrier
	buffer_gl0_inv
	v_cmpx_gt_u16_e32 8, v13
	s_cbranch_execz .LBB523_17
; %bb.16:
	ds_load_2addr_b64 v[8:11], v7 offset1:8
	s_waitcnt lgkmcnt(0)
	v_add_f64 v[8:9], v[10:11], v[8:9]
	ds_store_b64 v7, v[8:9]
.LBB523_17:
	s_or_b32 exec_lo, exec_lo, s0
	s_delay_alu instid0(SALU_CYCLE_1)
	s_mov_b32 s0, exec_lo
	s_waitcnt lgkmcnt(0)
	s_barrier
	buffer_gl0_inv
	;; [unrolled: 14-line block ×3, first 2 shown]
	v_cmpx_gt_u16_e32 2, v13
	s_cbranch_execz .LBB523_21
; %bb.20:
	ds_load_2addr_b64 v[8:11], v7 offset1:2
	s_waitcnt lgkmcnt(0)
	v_add_f64 v[8:9], v[10:11], v[8:9]
	ds_store_b64 v7, v[8:9]
.LBB523_21:
	s_or_b32 exec_lo, exec_lo, s0
	s_mov_b32 s1, 0
	s_mov_b32 s0, 0
	s_mov_b32 s2, exec_lo
	s_waitcnt lgkmcnt(0)
	s_barrier
	buffer_gl0_inv
                                        ; implicit-def: $vgpr8
                                        ; implicit-def: $vgpr9
	v_cmpx_gt_u32_e32 28, v0
	s_xor_b32 s2, exec_lo, s2
; %bb.22:
	v_mul_u32_u24_e32 v8, 28, v0
	v_mad_u32_u24 v9, 0xd8, v0, v7
	s_mov_b32 s0, exec_lo
	s_delay_alu instid0(VALU_DEP_2)
	v_or_b32_e32 v8, 1, v8
; %bb.23:
	s_or_b32 exec_lo, exec_lo, s2
	s_delay_alu instid0(SALU_CYCLE_1)
	s_and_b32 vcc_lo, exec_lo, s1
	s_cbranch_vccnz .LBB523_25
	s_branch .LBB523_36
.LBB523_24:
	s_mov_b32 s0, 0
                                        ; implicit-def: $vgpr8
                                        ; implicit-def: $vgpr9
	s_cbranch_execz .LBB523_36
.LBB523_25:
	s_mov_b32 s1, exec_lo
	v_cmpx_gt_u32_e32 0x150, v0
	s_cbranch_execz .LBB523_27
; %bb.26:
	ds_load_2addr_stride64_b64 v[8:11], v7 offset1:7
	s_waitcnt lgkmcnt(0)
	v_add_f64 v[8:9], v[10:11], v[8:9]
	ds_store_b64 v7, v[8:9]
.LBB523_27:
	s_or_b32 exec_lo, exec_lo, s1
	s_delay_alu instid0(SALU_CYCLE_1)
	s_mov_b32 s1, exec_lo
	s_waitcnt lgkmcnt(0)
	s_barrier
	buffer_gl0_inv
	v_cmpx_gt_u32_e32 0xe0, v0
	s_cbranch_execz .LBB523_29
; %bb.28:
	ds_load_2addr_b64 v[8:11], v7 offset1:224
	s_waitcnt lgkmcnt(0)
	v_add_f64 v[8:9], v[10:11], v[8:9]
	ds_store_b64 v7, v[8:9]
.LBB523_29:
	s_or_b32 exec_lo, exec_lo, s1
	s_delay_alu instid0(SALU_CYCLE_1)
	s_mov_b32 s1, exec_lo
	s_waitcnt lgkmcnt(0)
	s_barrier
	buffer_gl0_inv
	v_cmpx_gt_u32_e32 0x70, v0
	s_cbranch_execz .LBB523_31
; %bb.30:
	ds_load_2addr_b64 v[8:11], v7 offset1:112
	s_waitcnt lgkmcnt(0)
	v_add_f64 v[8:9], v[10:11], v[8:9]
	ds_store_b64 v7, v[8:9]
.LBB523_31:
	;; [unrolled: 14-line block ×3, first 2 shown]
	s_or_b32 exec_lo, exec_lo, s1
	s_delay_alu instid0(SALU_CYCLE_1)
	s_mov_b32 s1, exec_lo
	s_waitcnt lgkmcnt(0)
	buffer_gl0_inv
                                        ; implicit-def: $vgpr8
	v_cmpx_gt_u32_e32 28, v0
; %bb.34:
	v_add_nc_u32_e32 v8, 28, v0
	s_or_b32 s0, s0, exec_lo
                                        ; implicit-def: $vgpr5_vgpr6
; %bb.35:
	s_or_b32 exec_lo, exec_lo, s1
	v_mov_b32_e32 v9, v7
.LBB523_36:
	s_and_saveexec_b32 s1, s0
	s_cbranch_execnz .LBB523_39
; %bb.37:
	s_or_b32 exec_lo, exec_lo, s1
	v_cmp_gt_u32_e32 vcc_lo, 28, v0
	s_and_b32 exec_lo, exec_lo, vcc_lo
	s_cbranch_execnz .LBB523_40
.LBB523_38:
	s_nop 0
	s_sendmsg sendmsg(MSG_DEALLOC_VGPRS)
	s_endpgm
.LBB523_39:
	v_lshlrev_b32_e32 v7, 3, v8
	ds_load_b64 v[5:6], v9
	ds_load_b64 v[7:8], v7
	s_waitcnt lgkmcnt(0)
	v_add_f64 v[5:6], v[5:6], v[7:8]
	s_or_b32 exec_lo, exec_lo, s1
	v_cmp_gt_u32_e32 vcc_lo, 28, v0
	s_and_b32 exec_lo, exec_lo, vcc_lo
	s_cbranch_execz .LBB523_38
.LBB523_40:
	s_delay_alu instid0(VALU_DEP_2)
	v_mul_f64 v[3:4], v[3:4], v[5:6]
	s_mul_i32 s0, s9, 0xe0
	s_mul_hi_u32 s1, s8, 0xe0
	s_mul_i32 s2, s8, 0xe0
	s_mov_b32 s3, exec_lo
	v_cmpx_eq_f64_e32 0, v[1:2]
	s_xor_b32 s3, exec_lo, s3
	s_cbranch_execz .LBB523_42
; %bb.41:
	v_lshlrev_b32_e32 v0, 3, v0
	s_add_i32 s5, s1, s0
	s_add_u32 s4, s10, s2
	s_addc_u32 s5, s11, s5
                                        ; implicit-def: $vgpr1_vgpr2
	global_store_b64 v0, v[3:4], s[4:5]
                                        ; implicit-def: $vgpr0
                                        ; implicit-def: $vgpr3_vgpr4
.LBB523_42:
	s_and_not1_saveexec_b32 s3, s3
	s_cbranch_execz .LBB523_38
; %bb.43:
	v_lshlrev_b32_e32 v7, 3, v0
	s_add_i32 s1, s1, s0
	s_add_u32 s0, s10, s2
	s_addc_u32 s1, s11, s1
	global_load_b64 v[5:6], v7, s[0:1]
	s_waitcnt vmcnt(0)
	v_fma_f64 v[0:1], v[1:2], v[5:6], v[3:4]
	global_store_b64 v7, v[0:1], s[0:1]
	s_nop 0
	s_sendmsg sendmsg(MSG_DEALLOC_VGPRS)
	s_endpgm
	.section	.rodata,"a",@progbits
	.p2align	6, 0x0
	.amdhsa_kernel _ZN9rocsparseL20bsrxmvn_17_32_kernelILj28EdllfddEEvT2_20rocsparse_direction_NS_24const_host_device_scalarIT0_EES1_PKS1_PKT1_SA_S7_PKT3_PKT4_S5_PT5_21rocsparse_index_base_b
		.amdhsa_group_segment_fixed_size 6272
		.amdhsa_private_segment_fixed_size 0
		.amdhsa_kernarg_size 104
		.amdhsa_user_sgpr_count 15
		.amdhsa_user_sgpr_dispatch_ptr 0
		.amdhsa_user_sgpr_queue_ptr 0
		.amdhsa_user_sgpr_kernarg_segment_ptr 1
		.amdhsa_user_sgpr_dispatch_id 0
		.amdhsa_user_sgpr_private_segment_size 0
		.amdhsa_wavefront_size32 1
		.amdhsa_uses_dynamic_stack 0
		.amdhsa_enable_private_segment 0
		.amdhsa_system_sgpr_workgroup_id_x 1
		.amdhsa_system_sgpr_workgroup_id_y 0
		.amdhsa_system_sgpr_workgroup_id_z 0
		.amdhsa_system_sgpr_workgroup_info 0
		.amdhsa_system_vgpr_workitem_id 0
		.amdhsa_next_free_vgpr 21
		.amdhsa_next_free_sgpr 20
		.amdhsa_reserve_vcc 1
		.amdhsa_float_round_mode_32 0
		.amdhsa_float_round_mode_16_64 0
		.amdhsa_float_denorm_mode_32 3
		.amdhsa_float_denorm_mode_16_64 3
		.amdhsa_dx10_clamp 1
		.amdhsa_ieee_mode 1
		.amdhsa_fp16_overflow 0
		.amdhsa_workgroup_processor_mode 1
		.amdhsa_memory_ordered 1
		.amdhsa_forward_progress 0
		.amdhsa_shared_vgpr_count 0
		.amdhsa_exception_fp_ieee_invalid_op 0
		.amdhsa_exception_fp_denorm_src 0
		.amdhsa_exception_fp_ieee_div_zero 0
		.amdhsa_exception_fp_ieee_overflow 0
		.amdhsa_exception_fp_ieee_underflow 0
		.amdhsa_exception_fp_ieee_inexact 0
		.amdhsa_exception_int_div_zero 0
	.end_amdhsa_kernel
	.section	.text._ZN9rocsparseL20bsrxmvn_17_32_kernelILj28EdllfddEEvT2_20rocsparse_direction_NS_24const_host_device_scalarIT0_EES1_PKS1_PKT1_SA_S7_PKT3_PKT4_S5_PT5_21rocsparse_index_base_b,"axG",@progbits,_ZN9rocsparseL20bsrxmvn_17_32_kernelILj28EdllfddEEvT2_20rocsparse_direction_NS_24const_host_device_scalarIT0_EES1_PKS1_PKT1_SA_S7_PKT3_PKT4_S5_PT5_21rocsparse_index_base_b,comdat
.Lfunc_end523:
	.size	_ZN9rocsparseL20bsrxmvn_17_32_kernelILj28EdllfddEEvT2_20rocsparse_direction_NS_24const_host_device_scalarIT0_EES1_PKS1_PKT1_SA_S7_PKT3_PKT4_S5_PT5_21rocsparse_index_base_b, .Lfunc_end523-_ZN9rocsparseL20bsrxmvn_17_32_kernelILj28EdllfddEEvT2_20rocsparse_direction_NS_24const_host_device_scalarIT0_EES1_PKS1_PKT1_SA_S7_PKT3_PKT4_S5_PT5_21rocsparse_index_base_b
                                        ; -- End function
	.section	.AMDGPU.csdata,"",@progbits
; Kernel info:
; codeLenInByte = 1712
; NumSgprs: 22
; NumVgprs: 21
; ScratchSize: 0
; MemoryBound: 0
; FloatMode: 240
; IeeeMode: 1
; LDSByteSize: 6272 bytes/workgroup (compile time only)
; SGPRBlocks: 2
; VGPRBlocks: 2
; NumSGPRsForWavesPerEU: 22
; NumVGPRsForWavesPerEU: 21
; Occupancy: 13
; WaveLimiterHint : 1
; COMPUTE_PGM_RSRC2:SCRATCH_EN: 0
; COMPUTE_PGM_RSRC2:USER_SGPR: 15
; COMPUTE_PGM_RSRC2:TRAP_HANDLER: 0
; COMPUTE_PGM_RSRC2:TGID_X_EN: 1
; COMPUTE_PGM_RSRC2:TGID_Y_EN: 0
; COMPUTE_PGM_RSRC2:TGID_Z_EN: 0
; COMPUTE_PGM_RSRC2:TIDIG_COMP_CNT: 0
	.section	.text._ZN9rocsparseL20bsrxmvn_17_32_kernelILj29EdllfddEEvT2_20rocsparse_direction_NS_24const_host_device_scalarIT0_EES1_PKS1_PKT1_SA_S7_PKT3_PKT4_S5_PT5_21rocsparse_index_base_b,"axG",@progbits,_ZN9rocsparseL20bsrxmvn_17_32_kernelILj29EdllfddEEvT2_20rocsparse_direction_NS_24const_host_device_scalarIT0_EES1_PKS1_PKT1_SA_S7_PKT3_PKT4_S5_PT5_21rocsparse_index_base_b,comdat
	.globl	_ZN9rocsparseL20bsrxmvn_17_32_kernelILj29EdllfddEEvT2_20rocsparse_direction_NS_24const_host_device_scalarIT0_EES1_PKS1_PKT1_SA_S7_PKT3_PKT4_S5_PT5_21rocsparse_index_base_b ; -- Begin function _ZN9rocsparseL20bsrxmvn_17_32_kernelILj29EdllfddEEvT2_20rocsparse_direction_NS_24const_host_device_scalarIT0_EES1_PKS1_PKT1_SA_S7_PKT3_PKT4_S5_PT5_21rocsparse_index_base_b
	.p2align	8
	.type	_ZN9rocsparseL20bsrxmvn_17_32_kernelILj29EdllfddEEvT2_20rocsparse_direction_NS_24const_host_device_scalarIT0_EES1_PKS1_PKT1_SA_S7_PKT3_PKT4_S5_PT5_21rocsparse_index_base_b,@function
_ZN9rocsparseL20bsrxmvn_17_32_kernelILj29EdllfddEEvT2_20rocsparse_direction_NS_24const_host_device_scalarIT0_EES1_PKS1_PKT1_SA_S7_PKT3_PKT4_S5_PT5_21rocsparse_index_base_b: ; @_ZN9rocsparseL20bsrxmvn_17_32_kernelILj29EdllfddEEvT2_20rocsparse_direction_NS_24const_host_device_scalarIT0_EES1_PKS1_PKT1_SA_S7_PKT3_PKT4_S5_PT5_21rocsparse_index_base_b
; %bb.0:
	s_clause 0x2
	s_load_b64 s[12:13], s[0:1], 0x60
	s_load_b64 s[4:5], s[0:1], 0x10
	s_load_b64 s[2:3], s[0:1], 0x50
	s_mov_b32 s8, s15
	s_waitcnt lgkmcnt(0)
	s_bitcmp1_b32 s13, 0
	v_dual_mov_b32 v3, s4 :: v_dual_mov_b32 v4, s5
	s_cselect_b32 s6, -1, 0
	s_delay_alu instid0(SALU_CYCLE_1)
	s_and_b32 vcc_lo, exec_lo, s6
	s_xor_b32 s6, s6, -1
	s_cbranch_vccnz .LBB524_2
; %bb.1:
	v_dual_mov_b32 v1, s4 :: v_dual_mov_b32 v2, s5
	flat_load_b64 v[3:4], v[1:2]
.LBB524_2:
	v_dual_mov_b32 v1, s2 :: v_dual_mov_b32 v2, s3
	s_and_not1_b32 vcc_lo, exec_lo, s6
	s_cbranch_vccnz .LBB524_4
; %bb.3:
	v_dual_mov_b32 v1, s2 :: v_dual_mov_b32 v2, s3
	flat_load_b64 v[1:2], v[1:2]
.LBB524_4:
	s_waitcnt vmcnt(0) lgkmcnt(0)
	v_cmp_neq_f64_e32 vcc_lo, 0, v[3:4]
	v_cmp_neq_f64_e64 s2, 1.0, v[1:2]
	s_delay_alu instid0(VALU_DEP_1) | instskip(NEXT) | instid1(SALU_CYCLE_1)
	s_or_b32 s2, vcc_lo, s2
	s_and_saveexec_b32 s3, s2
	s_cbranch_execz .LBB524_38
; %bb.5:
	s_clause 0x1
	s_load_b128 s[4:7], s[0:1], 0x20
	s_load_b64 s[10:11], s[0:1], 0x30
	s_mov_b32 s9, 0
	s_waitcnt lgkmcnt(0)
	s_cmp_eq_u64 s[4:5], 0
	s_cbranch_scc1 .LBB524_7
; %bb.6:
	s_lshl_b64 s[2:3], s[8:9], 3
	s_delay_alu instid0(SALU_CYCLE_1)
	s_add_u32 s2, s4, s2
	s_addc_u32 s3, s5, s3
	s_load_b64 s[2:3], s[2:3], 0x0
	s_waitcnt lgkmcnt(0)
	s_sub_u32 s8, s2, s12
	s_subb_u32 s9, s3, 0
.LBB524_7:
	s_load_b32 s3, s[0:1], 0x8
	v_mul_u32_u24_e32 v5, 0x8d4, v0
	s_delay_alu instid0(VALU_DEP_1) | instskip(NEXT) | instid1(VALU_DEP_1)
	v_lshrrev_b32_e32 v7, 16, v5
	v_mul_lo_u16 v5, v7, 29
	s_delay_alu instid0(VALU_DEP_1)
	v_sub_nc_u16 v13, v0, v5
	v_mov_b32_e32 v5, 0
	v_mov_b32_e32 v6, 0
	s_waitcnt lgkmcnt(0)
	s_cmp_eq_u32 s3, 1
	s_cselect_b32 s2, -1, 0
	s_cmp_lg_u32 s3, 1
	s_cselect_b32 s13, -1, 0
	s_lshl_b64 s[4:5], s[8:9], 3
	s_delay_alu instid0(SALU_CYCLE_1)
	s_add_u32 s6, s6, s4
	s_addc_u32 s7, s7, s5
	s_add_u32 s3, s6, 8
	s_addc_u32 s14, s7, 0
	;; [unrolled: 2-line block ×3, first 2 shown]
	s_cmp_eq_u64 s[10:11], 0
	s_load_b64 s[10:11], s[0:1], 0x58
	s_cselect_b32 s5, s14, s5
	s_cselect_b32 s4, s3, s4
	s_load_b64 s[14:15], s[6:7], 0x0
	s_load_b64 s[16:17], s[4:5], 0x0
	s_waitcnt lgkmcnt(0)
	v_cmp_ge_i64_e64 s3, s[14:15], s[16:17]
	s_delay_alu instid0(VALU_DEP_1)
	s_and_b32 vcc_lo, exec_lo, s3
	s_cbranch_vccnz .LBB524_12
; %bb.8:
	v_dual_mov_b32 v6, 0 :: v_dual_and_b32 v5, 0xffff, v7
	v_cmp_gt_u32_e32 vcc_lo, 0x349, v0
	s_clause 0x1
	s_load_b128 s[4:7], s[0:1], 0x38
	s_load_b64 s[18:19], s[0:1], 0x48
	v_and_b32_e32 v8, 0xffff, v13
	v_subrev_nc_u32_e32 v7, 29, v5
	s_sub_u32 s0, s16, s12
	s_subb_u32 s1, s17, 0
	s_delay_alu instid0(VALU_DEP_1) | instskip(SKIP_1) | instid1(VALU_DEP_2)
	v_cndmask_b32_e32 v5, v7, v5, vcc_lo
	v_cmp_lt_u32_e32 vcc_lo, 0x348, v0
	v_cndmask_b32_e64 v5, v8, v5, s2
	v_cndmask_b32_e64 v14, 0, 1, vcc_lo
	s_sub_u32 s2, s14, s12
	s_subb_u32 s3, s15, 0
	s_mul_hi_u32 s16, s2, 0xd24
	v_lshlrev_b64 v[5:6], 3, v[5:6]
	v_add_co_u32 v9, s14, s14, v14
	s_delay_alu instid0(VALU_DEP_1) | instskip(SKIP_2) | instid1(VALU_DEP_3)
	v_add_co_ci_u32_e64 v10, null, s15, 0, s14
	s_mul_i32 s17, s3, 0xd24
	s_waitcnt lgkmcnt(0)
	v_add_co_u32 v7, vcc_lo, s18, v5
	v_add_co_ci_u32_e32 v8, vcc_lo, s19, v6, vcc_lo
	v_sub_co_u32 v5, vcc_lo, v9, s12
	v_subrev_co_ci_u32_e32 v6, vcc_lo, 0, v10, vcc_lo
	v_lshlrev_b32_e32 v9, 2, v0
	s_mul_i32 s14, s2, 0xd24
	s_add_i32 s16, s16, s17
	s_delay_alu instid0(VALU_DEP_2)
	v_lshlrev_b64 v[11:12], 3, v[5:6]
	s_add_u32 s6, s6, s14
	v_mov_b32_e32 v5, 0
	v_mov_b32_e32 v6, 0
	s_addc_u32 s7, s7, s16
	v_add_co_u32 v9, s6, s6, v9
	v_add_co_u32 v11, vcc_lo, s4, v11
	v_add_co_ci_u32_e64 v10, null, s7, 0, s6
	v_add_co_ci_u32_e32 v12, vcc_lo, s5, v12, vcc_lo
	s_set_inst_prefetch_distance 0x1
	s_branch .LBB524_10
	.p2align	6
.LBB524_9:                              ;   in Loop: Header=BB524_10 Depth=1
	s_or_b32 exec_lo, exec_lo, s4
	s_add_u32 s2, s2, 1
	s_addc_u32 s3, s3, 0
	v_add_co_u32 v11, vcc_lo, v11, 8
	v_cmp_lt_i64_e64 s4, s[2:3], s[0:1]
	v_add_co_ci_u32_e32 v12, vcc_lo, 0, v12, vcc_lo
	s_delay_alu instid0(VALU_DEP_2)
	s_and_b32 vcc_lo, exec_lo, s4
	s_cbranch_vccz .LBB524_12
.LBB524_10:                             ; =>This Inner Loop Header: Depth=1
	v_add_co_u32 v15, s4, v14, s2
	s_delay_alu instid0(VALU_DEP_1) | instskip(SKIP_1) | instid1(VALU_DEP_1)
	v_add_co_ci_u32_e64 v16, null, 0, s3, s4
	s_mov_b32 s4, exec_lo
	v_cmpx_gt_i64_e64 s[0:1], v[15:16]
	s_cbranch_execz .LBB524_9
; %bb.11:                               ;   in Loop: Header=BB524_10 Depth=1
	global_load_b64 v[15:16], v[11:12], off
	global_load_b32 v19, v[9:10], off
	s_waitcnt vmcnt(1)
	v_sub_co_u32 v17, vcc_lo, v15, s12
	v_subrev_co_ci_u32_e32 v20, vcc_lo, 0, v16, vcc_lo
	v_add_co_u32 v9, vcc_lo, 0xd24, v9
	s_delay_alu instid0(VALU_DEP_3) | instskip(SKIP_1) | instid1(VALU_DEP_2)
	v_mad_u64_u32 v[15:16], null, 0xe8, v17, v[7:8]
	v_add_co_ci_u32_e32 v10, vcc_lo, 0, v10, vcc_lo
	v_mad_u64_u32 v[17:18], null, 0xe8, v20, v[16:17]
	s_delay_alu instid0(VALU_DEP_1)
	v_mov_b32_e32 v16, v17
	s_waitcnt vmcnt(0)
	v_cvt_f64_f32_e32 v[17:18], v19
	global_load_b64 v[15:16], v[15:16], off
	s_waitcnt vmcnt(0)
	v_fma_f64 v[5:6], v[17:18], v[15:16], v[5:6]
	s_branch .LBB524_9
.LBB524_12:
	s_set_inst_prefetch_distance 0x2
	v_lshlrev_b32_e32 v7, 3, v0
	s_and_b32 vcc_lo, exec_lo, s13
	ds_store_b64 v7, v[5:6]
	s_waitcnt lgkmcnt(0)
	s_barrier
	buffer_gl0_inv
	s_cbranch_vccz .LBB524_24
; %bb.13:
	s_mov_b32 s0, exec_lo
	v_cmpx_gt_u16_e32 13, v13
	s_cbranch_execz .LBB524_15
; %bb.14:
	ds_load_2addr_b64 v[8:11], v7 offset1:16
	s_waitcnt lgkmcnt(0)
	v_add_f64 v[8:9], v[10:11], v[8:9]
	ds_store_b64 v7, v[8:9]
.LBB524_15:
	s_or_b32 exec_lo, exec_lo, s0
	s_delay_alu instid0(SALU_CYCLE_1)
	s_mov_b32 s0, exec_lo
	s_waitcnt lgkmcnt(0)
	s_barrier
	buffer_gl0_inv
	v_cmpx_gt_u16_e32 8, v13
	s_cbranch_execz .LBB524_17
; %bb.16:
	ds_load_2addr_b64 v[8:11], v7 offset1:8
	s_waitcnt lgkmcnt(0)
	v_add_f64 v[8:9], v[10:11], v[8:9]
	ds_store_b64 v7, v[8:9]
.LBB524_17:
	s_or_b32 exec_lo, exec_lo, s0
	s_delay_alu instid0(SALU_CYCLE_1)
	s_mov_b32 s0, exec_lo
	s_waitcnt lgkmcnt(0)
	s_barrier
	buffer_gl0_inv
	;; [unrolled: 14-line block ×3, first 2 shown]
	v_cmpx_gt_u16_e32 2, v13
	s_cbranch_execz .LBB524_21
; %bb.20:
	ds_load_2addr_b64 v[8:11], v7 offset1:2
	s_waitcnt lgkmcnt(0)
	v_add_f64 v[8:9], v[10:11], v[8:9]
	ds_store_b64 v7, v[8:9]
.LBB524_21:
	s_or_b32 exec_lo, exec_lo, s0
	s_mov_b32 s1, 0
	s_mov_b32 s0, 0
	s_mov_b32 s2, exec_lo
	s_waitcnt lgkmcnt(0)
	s_barrier
	buffer_gl0_inv
                                        ; implicit-def: $vgpr8
                                        ; implicit-def: $vgpr9
	v_cmpx_gt_u32_e32 29, v0
	s_xor_b32 s2, exec_lo, s2
; %bb.22:
	v_mad_u32_u24 v8, v0, 29, 1
	v_mad_u32_u24 v9, 0xe0, v0, v7
	s_mov_b32 s0, exec_lo
; %bb.23:
	s_or_b32 exec_lo, exec_lo, s2
	s_delay_alu instid0(SALU_CYCLE_1)
	s_and_b32 vcc_lo, exec_lo, s1
	s_cbranch_vccnz .LBB524_25
	s_branch .LBB524_36
.LBB524_24:
	s_mov_b32 s0, 0
                                        ; implicit-def: $vgpr8
                                        ; implicit-def: $vgpr9
	s_cbranch_execz .LBB524_36
.LBB524_25:
	s_mov_b32 s1, exec_lo
	v_cmpx_gt_u32_e32 0x179, v0
	s_cbranch_execz .LBB524_27
; %bb.26:
	ds_load_b64 v[8:9], v7 offset:3712
	ds_load_b64 v[10:11], v7
	s_waitcnt lgkmcnt(0)
	v_add_f64 v[8:9], v[8:9], v[10:11]
	ds_store_b64 v7, v[8:9]
.LBB524_27:
	s_or_b32 exec_lo, exec_lo, s1
	s_delay_alu instid0(SALU_CYCLE_1)
	s_mov_b32 s1, exec_lo
	s_waitcnt lgkmcnt(0)
	s_barrier
	buffer_gl0_inv
	v_cmpx_gt_u32_e32 0xe8, v0
	s_cbranch_execz .LBB524_29
; %bb.28:
	ds_load_2addr_b64 v[8:11], v7 offset1:232
	s_waitcnt lgkmcnt(0)
	v_add_f64 v[8:9], v[10:11], v[8:9]
	ds_store_b64 v7, v[8:9]
.LBB524_29:
	s_or_b32 exec_lo, exec_lo, s1
	s_delay_alu instid0(SALU_CYCLE_1)
	s_mov_b32 s1, exec_lo
	s_waitcnt lgkmcnt(0)
	s_barrier
	buffer_gl0_inv
	v_cmpx_gt_u32_e32 0x74, v0
	s_cbranch_execz .LBB524_31
; %bb.30:
	ds_load_2addr_b64 v[8:11], v7 offset1:116
	s_waitcnt lgkmcnt(0)
	v_add_f64 v[8:9], v[10:11], v[8:9]
	ds_store_b64 v7, v[8:9]
.LBB524_31:
	s_or_b32 exec_lo, exec_lo, s1
	s_delay_alu instid0(SALU_CYCLE_1)
	s_mov_b32 s1, exec_lo
	s_waitcnt lgkmcnt(0)
	s_barrier
	buffer_gl0_inv
	v_cmpx_gt_u32_e32 58, v0
	s_cbranch_execz .LBB524_33
; %bb.32:
	ds_load_2addr_b64 v[8:11], v7 offset1:58
	s_waitcnt lgkmcnt(0)
	v_add_f64 v[8:9], v[10:11], v[8:9]
	ds_store_b64 v7, v[8:9]
.LBB524_33:
	s_or_b32 exec_lo, exec_lo, s1
	s_delay_alu instid0(SALU_CYCLE_1)
	s_mov_b32 s1, exec_lo
	s_waitcnt lgkmcnt(0)
	buffer_gl0_inv
                                        ; implicit-def: $vgpr8
	v_cmpx_gt_u32_e32 29, v0
; %bb.34:
	v_add_nc_u32_e32 v8, 29, v0
	s_or_b32 s0, s0, exec_lo
                                        ; implicit-def: $vgpr5_vgpr6
; %bb.35:
	s_or_b32 exec_lo, exec_lo, s1
	v_mov_b32_e32 v9, v7
.LBB524_36:
	s_and_saveexec_b32 s1, s0
	s_cbranch_execnz .LBB524_39
; %bb.37:
	s_or_b32 exec_lo, exec_lo, s1
	v_cmp_gt_u32_e32 vcc_lo, 29, v0
	s_and_b32 exec_lo, exec_lo, vcc_lo
	s_cbranch_execnz .LBB524_40
.LBB524_38:
	s_nop 0
	s_sendmsg sendmsg(MSG_DEALLOC_VGPRS)
	s_endpgm
.LBB524_39:
	v_lshlrev_b32_e32 v7, 3, v8
	ds_load_b64 v[5:6], v9
	ds_load_b64 v[7:8], v7
	s_waitcnt lgkmcnt(0)
	v_add_f64 v[5:6], v[5:6], v[7:8]
	s_or_b32 exec_lo, exec_lo, s1
	v_cmp_gt_u32_e32 vcc_lo, 29, v0
	s_and_b32 exec_lo, exec_lo, vcc_lo
	s_cbranch_execz .LBB524_38
.LBB524_40:
	s_delay_alu instid0(VALU_DEP_2)
	v_mul_f64 v[3:4], v[3:4], v[5:6]
	s_mul_i32 s0, s9, 0xe8
	s_mul_hi_u32 s1, s8, 0xe8
	s_mul_i32 s2, s8, 0xe8
	s_mov_b32 s3, exec_lo
	v_cmpx_eq_f64_e32 0, v[1:2]
	s_xor_b32 s3, exec_lo, s3
	s_cbranch_execz .LBB524_42
; %bb.41:
	v_lshlrev_b32_e32 v0, 3, v0
	s_add_i32 s5, s1, s0
	s_add_u32 s4, s10, s2
	s_addc_u32 s5, s11, s5
                                        ; implicit-def: $vgpr1_vgpr2
	global_store_b64 v0, v[3:4], s[4:5]
                                        ; implicit-def: $vgpr0
                                        ; implicit-def: $vgpr3_vgpr4
.LBB524_42:
	s_and_not1_saveexec_b32 s3, s3
	s_cbranch_execz .LBB524_38
; %bb.43:
	v_lshlrev_b32_e32 v7, 3, v0
	s_add_i32 s1, s1, s0
	s_add_u32 s0, s10, s2
	s_addc_u32 s1, s11, s1
	global_load_b64 v[5:6], v7, s[0:1]
	s_waitcnt vmcnt(0)
	v_fma_f64 v[0:1], v[1:2], v[5:6], v[3:4]
	global_store_b64 v7, v[0:1], s[0:1]
	s_nop 0
	s_sendmsg sendmsg(MSG_DEALLOC_VGPRS)
	s_endpgm
	.section	.rodata,"a",@progbits
	.p2align	6, 0x0
	.amdhsa_kernel _ZN9rocsparseL20bsrxmvn_17_32_kernelILj29EdllfddEEvT2_20rocsparse_direction_NS_24const_host_device_scalarIT0_EES1_PKS1_PKT1_SA_S7_PKT3_PKT4_S5_PT5_21rocsparse_index_base_b
		.amdhsa_group_segment_fixed_size 6728
		.amdhsa_private_segment_fixed_size 0
		.amdhsa_kernarg_size 104
		.amdhsa_user_sgpr_count 15
		.amdhsa_user_sgpr_dispatch_ptr 0
		.amdhsa_user_sgpr_queue_ptr 0
		.amdhsa_user_sgpr_kernarg_segment_ptr 1
		.amdhsa_user_sgpr_dispatch_id 0
		.amdhsa_user_sgpr_private_segment_size 0
		.amdhsa_wavefront_size32 1
		.amdhsa_uses_dynamic_stack 0
		.amdhsa_enable_private_segment 0
		.amdhsa_system_sgpr_workgroup_id_x 1
		.amdhsa_system_sgpr_workgroup_id_y 0
		.amdhsa_system_sgpr_workgroup_id_z 0
		.amdhsa_system_sgpr_workgroup_info 0
		.amdhsa_system_vgpr_workitem_id 0
		.amdhsa_next_free_vgpr 21
		.amdhsa_next_free_sgpr 20
		.amdhsa_reserve_vcc 1
		.amdhsa_float_round_mode_32 0
		.amdhsa_float_round_mode_16_64 0
		.amdhsa_float_denorm_mode_32 3
		.amdhsa_float_denorm_mode_16_64 3
		.amdhsa_dx10_clamp 1
		.amdhsa_ieee_mode 1
		.amdhsa_fp16_overflow 0
		.amdhsa_workgroup_processor_mode 1
		.amdhsa_memory_ordered 1
		.amdhsa_forward_progress 0
		.amdhsa_shared_vgpr_count 0
		.amdhsa_exception_fp_ieee_invalid_op 0
		.amdhsa_exception_fp_denorm_src 0
		.amdhsa_exception_fp_ieee_div_zero 0
		.amdhsa_exception_fp_ieee_overflow 0
		.amdhsa_exception_fp_ieee_underflow 0
		.amdhsa_exception_fp_ieee_inexact 0
		.amdhsa_exception_int_div_zero 0
	.end_amdhsa_kernel
	.section	.text._ZN9rocsparseL20bsrxmvn_17_32_kernelILj29EdllfddEEvT2_20rocsparse_direction_NS_24const_host_device_scalarIT0_EES1_PKS1_PKT1_SA_S7_PKT3_PKT4_S5_PT5_21rocsparse_index_base_b,"axG",@progbits,_ZN9rocsparseL20bsrxmvn_17_32_kernelILj29EdllfddEEvT2_20rocsparse_direction_NS_24const_host_device_scalarIT0_EES1_PKS1_PKT1_SA_S7_PKT3_PKT4_S5_PT5_21rocsparse_index_base_b,comdat
.Lfunc_end524:
	.size	_ZN9rocsparseL20bsrxmvn_17_32_kernelILj29EdllfddEEvT2_20rocsparse_direction_NS_24const_host_device_scalarIT0_EES1_PKS1_PKT1_SA_S7_PKT3_PKT4_S5_PT5_21rocsparse_index_base_b, .Lfunc_end524-_ZN9rocsparseL20bsrxmvn_17_32_kernelILj29EdllfddEEvT2_20rocsparse_direction_NS_24const_host_device_scalarIT0_EES1_PKS1_PKT1_SA_S7_PKT3_PKT4_S5_PT5_21rocsparse_index_base_b
                                        ; -- End function
	.section	.AMDGPU.csdata,"",@progbits
; Kernel info:
; codeLenInByte = 1716
; NumSgprs: 22
; NumVgprs: 21
; ScratchSize: 0
; MemoryBound: 0
; FloatMode: 240
; IeeeMode: 1
; LDSByteSize: 6728 bytes/workgroup (compile time only)
; SGPRBlocks: 2
; VGPRBlocks: 2
; NumSGPRsForWavesPerEU: 22
; NumVGPRsForWavesPerEU: 21
; Occupancy: 14
; WaveLimiterHint : 1
; COMPUTE_PGM_RSRC2:SCRATCH_EN: 0
; COMPUTE_PGM_RSRC2:USER_SGPR: 15
; COMPUTE_PGM_RSRC2:TRAP_HANDLER: 0
; COMPUTE_PGM_RSRC2:TGID_X_EN: 1
; COMPUTE_PGM_RSRC2:TGID_Y_EN: 0
; COMPUTE_PGM_RSRC2:TGID_Z_EN: 0
; COMPUTE_PGM_RSRC2:TIDIG_COMP_CNT: 0
	.section	.text._ZN9rocsparseL20bsrxmvn_17_32_kernelILj30EdllfddEEvT2_20rocsparse_direction_NS_24const_host_device_scalarIT0_EES1_PKS1_PKT1_SA_S7_PKT3_PKT4_S5_PT5_21rocsparse_index_base_b,"axG",@progbits,_ZN9rocsparseL20bsrxmvn_17_32_kernelILj30EdllfddEEvT2_20rocsparse_direction_NS_24const_host_device_scalarIT0_EES1_PKS1_PKT1_SA_S7_PKT3_PKT4_S5_PT5_21rocsparse_index_base_b,comdat
	.globl	_ZN9rocsparseL20bsrxmvn_17_32_kernelILj30EdllfddEEvT2_20rocsparse_direction_NS_24const_host_device_scalarIT0_EES1_PKS1_PKT1_SA_S7_PKT3_PKT4_S5_PT5_21rocsparse_index_base_b ; -- Begin function _ZN9rocsparseL20bsrxmvn_17_32_kernelILj30EdllfddEEvT2_20rocsparse_direction_NS_24const_host_device_scalarIT0_EES1_PKS1_PKT1_SA_S7_PKT3_PKT4_S5_PT5_21rocsparse_index_base_b
	.p2align	8
	.type	_ZN9rocsparseL20bsrxmvn_17_32_kernelILj30EdllfddEEvT2_20rocsparse_direction_NS_24const_host_device_scalarIT0_EES1_PKS1_PKT1_SA_S7_PKT3_PKT4_S5_PT5_21rocsparse_index_base_b,@function
_ZN9rocsparseL20bsrxmvn_17_32_kernelILj30EdllfddEEvT2_20rocsparse_direction_NS_24const_host_device_scalarIT0_EES1_PKS1_PKT1_SA_S7_PKT3_PKT4_S5_PT5_21rocsparse_index_base_b: ; @_ZN9rocsparseL20bsrxmvn_17_32_kernelILj30EdllfddEEvT2_20rocsparse_direction_NS_24const_host_device_scalarIT0_EES1_PKS1_PKT1_SA_S7_PKT3_PKT4_S5_PT5_21rocsparse_index_base_b
; %bb.0:
	s_clause 0x2
	s_load_b64 s[12:13], s[0:1], 0x60
	s_load_b64 s[4:5], s[0:1], 0x10
	;; [unrolled: 1-line block ×3, first 2 shown]
	s_mov_b32 s8, s15
	s_waitcnt lgkmcnt(0)
	s_bitcmp1_b32 s13, 0
	v_dual_mov_b32 v3, s4 :: v_dual_mov_b32 v4, s5
	s_cselect_b32 s6, -1, 0
	s_delay_alu instid0(SALU_CYCLE_1)
	s_and_b32 vcc_lo, exec_lo, s6
	s_xor_b32 s6, s6, -1
	s_cbranch_vccnz .LBB525_2
; %bb.1:
	v_dual_mov_b32 v1, s4 :: v_dual_mov_b32 v2, s5
	flat_load_b64 v[3:4], v[1:2]
.LBB525_2:
	v_dual_mov_b32 v1, s2 :: v_dual_mov_b32 v2, s3
	s_and_not1_b32 vcc_lo, exec_lo, s6
	s_cbranch_vccnz .LBB525_4
; %bb.3:
	v_dual_mov_b32 v1, s2 :: v_dual_mov_b32 v2, s3
	flat_load_b64 v[1:2], v[1:2]
.LBB525_4:
	s_waitcnt vmcnt(0) lgkmcnt(0)
	v_cmp_neq_f64_e32 vcc_lo, 0, v[3:4]
	v_cmp_neq_f64_e64 s2, 1.0, v[1:2]
	s_delay_alu instid0(VALU_DEP_1) | instskip(NEXT) | instid1(SALU_CYCLE_1)
	s_or_b32 s2, vcc_lo, s2
	s_and_saveexec_b32 s3, s2
	s_cbranch_execz .LBB525_38
; %bb.5:
	s_clause 0x1
	s_load_b128 s[4:7], s[0:1], 0x20
	s_load_b64 s[10:11], s[0:1], 0x30
	s_mov_b32 s9, 0
	s_waitcnt lgkmcnt(0)
	s_cmp_eq_u64 s[4:5], 0
	s_cbranch_scc1 .LBB525_7
; %bb.6:
	s_lshl_b64 s[2:3], s[8:9], 3
	s_delay_alu instid0(SALU_CYCLE_1)
	s_add_u32 s2, s4, s2
	s_addc_u32 s3, s5, s3
	s_load_b64 s[2:3], s[2:3], 0x0
	s_waitcnt lgkmcnt(0)
	s_sub_u32 s8, s2, s12
	s_subb_u32 s9, s3, 0
.LBB525_7:
	s_load_b32 s3, s[0:1], 0x8
	v_mul_u32_u24_e32 v5, 0x889, v0
	s_delay_alu instid0(VALU_DEP_1) | instskip(NEXT) | instid1(VALU_DEP_1)
	v_lshrrev_b32_e32 v7, 16, v5
	v_mul_lo_u16 v5, v7, 30
	s_delay_alu instid0(VALU_DEP_1)
	v_sub_nc_u16 v13, v0, v5
	v_mov_b32_e32 v5, 0
	v_mov_b32_e32 v6, 0
	s_waitcnt lgkmcnt(0)
	s_cmp_eq_u32 s3, 1
	s_cselect_b32 s2, -1, 0
	s_cmp_lg_u32 s3, 1
	s_cselect_b32 s13, -1, 0
	s_lshl_b64 s[4:5], s[8:9], 3
	s_delay_alu instid0(SALU_CYCLE_1)
	s_add_u32 s6, s6, s4
	s_addc_u32 s7, s7, s5
	s_add_u32 s3, s6, 8
	s_addc_u32 s14, s7, 0
	;; [unrolled: 2-line block ×3, first 2 shown]
	s_cmp_eq_u64 s[10:11], 0
	s_load_b64 s[10:11], s[0:1], 0x58
	s_cselect_b32 s5, s14, s5
	s_cselect_b32 s4, s3, s4
	s_load_b64 s[14:15], s[6:7], 0x0
	s_load_b64 s[16:17], s[4:5], 0x0
	s_waitcnt lgkmcnt(0)
	v_cmp_ge_i64_e64 s3, s[14:15], s[16:17]
	s_delay_alu instid0(VALU_DEP_1)
	s_and_b32 vcc_lo, exec_lo, s3
	s_cbranch_vccnz .LBB525_12
; %bb.8:
	v_dual_mov_b32 v6, 0 :: v_dual_and_b32 v5, 0xffff, v7
	v_cmp_gt_u32_e32 vcc_lo, 0x384, v0
	s_clause 0x1
	s_load_b128 s[4:7], s[0:1], 0x38
	s_load_b64 s[18:19], s[0:1], 0x48
	v_and_b32_e32 v8, 0xffff, v13
	v_subrev_nc_u32_e32 v7, 30, v5
	s_sub_u32 s0, s16, s12
	s_subb_u32 s1, s17, 0
	s_delay_alu instid0(VALU_DEP_1) | instskip(SKIP_1) | instid1(VALU_DEP_2)
	v_cndmask_b32_e32 v5, v7, v5, vcc_lo
	v_cmp_lt_u32_e32 vcc_lo, 0x383, v0
	v_cndmask_b32_e64 v5, v8, v5, s2
	v_cndmask_b32_e64 v14, 0, 1, vcc_lo
	s_sub_u32 s2, s14, s12
	s_subb_u32 s3, s15, 0
	s_mul_hi_u32 s16, s2, 0xe10
	v_lshlrev_b64 v[5:6], 3, v[5:6]
	v_add_co_u32 v9, s14, s14, v14
	s_delay_alu instid0(VALU_DEP_1) | instskip(SKIP_2) | instid1(VALU_DEP_3)
	v_add_co_ci_u32_e64 v10, null, s15, 0, s14
	s_mul_i32 s17, s3, 0xe10
	s_waitcnt lgkmcnt(0)
	v_add_co_u32 v7, vcc_lo, s18, v5
	v_add_co_ci_u32_e32 v8, vcc_lo, s19, v6, vcc_lo
	v_sub_co_u32 v5, vcc_lo, v9, s12
	v_subrev_co_ci_u32_e32 v6, vcc_lo, 0, v10, vcc_lo
	v_lshlrev_b32_e32 v9, 2, v0
	s_mul_i32 s14, s2, 0xe10
	s_add_i32 s16, s16, s17
	s_delay_alu instid0(VALU_DEP_2)
	v_lshlrev_b64 v[11:12], 3, v[5:6]
	s_add_u32 s6, s6, s14
	v_mov_b32_e32 v5, 0
	v_mov_b32_e32 v6, 0
	s_addc_u32 s7, s7, s16
	v_add_co_u32 v9, s6, s6, v9
	v_add_co_u32 v11, vcc_lo, s4, v11
	v_add_co_ci_u32_e64 v10, null, s7, 0, s6
	v_add_co_ci_u32_e32 v12, vcc_lo, s5, v12, vcc_lo
	s_set_inst_prefetch_distance 0x1
	s_branch .LBB525_10
	.p2align	6
.LBB525_9:                              ;   in Loop: Header=BB525_10 Depth=1
	s_or_b32 exec_lo, exec_lo, s4
	s_add_u32 s2, s2, 1
	s_addc_u32 s3, s3, 0
	v_add_co_u32 v11, vcc_lo, v11, 8
	v_cmp_lt_i64_e64 s4, s[2:3], s[0:1]
	v_add_co_ci_u32_e32 v12, vcc_lo, 0, v12, vcc_lo
	s_delay_alu instid0(VALU_DEP_2)
	s_and_b32 vcc_lo, exec_lo, s4
	s_cbranch_vccz .LBB525_12
.LBB525_10:                             ; =>This Inner Loop Header: Depth=1
	v_add_co_u32 v15, s4, v14, s2
	s_delay_alu instid0(VALU_DEP_1) | instskip(SKIP_1) | instid1(VALU_DEP_1)
	v_add_co_ci_u32_e64 v16, null, 0, s3, s4
	s_mov_b32 s4, exec_lo
	v_cmpx_gt_i64_e64 s[0:1], v[15:16]
	s_cbranch_execz .LBB525_9
; %bb.11:                               ;   in Loop: Header=BB525_10 Depth=1
	global_load_b64 v[15:16], v[11:12], off
	global_load_b32 v19, v[9:10], off
	s_waitcnt vmcnt(1)
	v_sub_co_u32 v17, vcc_lo, v15, s12
	v_subrev_co_ci_u32_e32 v20, vcc_lo, 0, v16, vcc_lo
	v_add_co_u32 v9, vcc_lo, 0xe10, v9
	s_delay_alu instid0(VALU_DEP_3) | instskip(SKIP_1) | instid1(VALU_DEP_2)
	v_mad_u64_u32 v[15:16], null, 0xf0, v17, v[7:8]
	v_add_co_ci_u32_e32 v10, vcc_lo, 0, v10, vcc_lo
	v_mad_u64_u32 v[17:18], null, 0xf0, v20, v[16:17]
	s_delay_alu instid0(VALU_DEP_1)
	v_mov_b32_e32 v16, v17
	s_waitcnt vmcnt(0)
	v_cvt_f64_f32_e32 v[17:18], v19
	global_load_b64 v[15:16], v[15:16], off
	s_waitcnt vmcnt(0)
	v_fma_f64 v[5:6], v[17:18], v[15:16], v[5:6]
	s_branch .LBB525_9
.LBB525_12:
	s_set_inst_prefetch_distance 0x2
	v_lshlrev_b32_e32 v7, 3, v0
	s_and_b32 vcc_lo, exec_lo, s13
	ds_store_b64 v7, v[5:6]
	s_waitcnt lgkmcnt(0)
	s_barrier
	buffer_gl0_inv
	s_cbranch_vccz .LBB525_24
; %bb.13:
	s_mov_b32 s0, exec_lo
	v_cmpx_gt_u16_e32 14, v13
	s_cbranch_execz .LBB525_15
; %bb.14:
	ds_load_2addr_b64 v[8:11], v7 offset1:16
	s_waitcnt lgkmcnt(0)
	v_add_f64 v[8:9], v[10:11], v[8:9]
	ds_store_b64 v7, v[8:9]
.LBB525_15:
	s_or_b32 exec_lo, exec_lo, s0
	s_delay_alu instid0(SALU_CYCLE_1)
	s_mov_b32 s0, exec_lo
	s_waitcnt lgkmcnt(0)
	s_barrier
	buffer_gl0_inv
	v_cmpx_gt_u16_e32 8, v13
	s_cbranch_execz .LBB525_17
; %bb.16:
	ds_load_2addr_b64 v[8:11], v7 offset1:8
	s_waitcnt lgkmcnt(0)
	v_add_f64 v[8:9], v[10:11], v[8:9]
	ds_store_b64 v7, v[8:9]
.LBB525_17:
	s_or_b32 exec_lo, exec_lo, s0
	s_delay_alu instid0(SALU_CYCLE_1)
	s_mov_b32 s0, exec_lo
	s_waitcnt lgkmcnt(0)
	s_barrier
	buffer_gl0_inv
	;; [unrolled: 14-line block ×3, first 2 shown]
	v_cmpx_gt_u16_e32 2, v13
	s_cbranch_execz .LBB525_21
; %bb.20:
	ds_load_2addr_b64 v[8:11], v7 offset1:2
	s_waitcnt lgkmcnt(0)
	v_add_f64 v[8:9], v[10:11], v[8:9]
	ds_store_b64 v7, v[8:9]
.LBB525_21:
	s_or_b32 exec_lo, exec_lo, s0
	s_mov_b32 s1, 0
	s_mov_b32 s0, 0
	s_mov_b32 s2, exec_lo
	s_waitcnt lgkmcnt(0)
	s_barrier
	buffer_gl0_inv
                                        ; implicit-def: $vgpr8
                                        ; implicit-def: $vgpr9
	v_cmpx_gt_u32_e32 30, v0
	s_xor_b32 s2, exec_lo, s2
; %bb.22:
	v_mul_u32_u24_e32 v8, 30, v0
	v_mad_u32_u24 v9, 0xe8, v0, v7
	s_mov_b32 s0, exec_lo
	s_delay_alu instid0(VALU_DEP_2)
	v_or_b32_e32 v8, 1, v8
; %bb.23:
	s_or_b32 exec_lo, exec_lo, s2
	s_delay_alu instid0(SALU_CYCLE_1)
	s_and_b32 vcc_lo, exec_lo, s1
	s_cbranch_vccnz .LBB525_25
	s_branch .LBB525_36
.LBB525_24:
	s_mov_b32 s0, 0
                                        ; implicit-def: $vgpr8
                                        ; implicit-def: $vgpr9
	s_cbranch_execz .LBB525_36
.LBB525_25:
	s_mov_b32 s1, exec_lo
	v_cmpx_gt_u32_e32 0x1a4, v0
	s_cbranch_execz .LBB525_27
; %bb.26:
	ds_load_b64 v[8:9], v7 offset:3840
	ds_load_b64 v[10:11], v7
	s_waitcnt lgkmcnt(0)
	v_add_f64 v[8:9], v[8:9], v[10:11]
	ds_store_b64 v7, v[8:9]
.LBB525_27:
	s_or_b32 exec_lo, exec_lo, s1
	s_delay_alu instid0(SALU_CYCLE_1)
	s_mov_b32 s1, exec_lo
	s_waitcnt lgkmcnt(0)
	s_barrier
	buffer_gl0_inv
	v_cmpx_gt_u32_e32 0xf0, v0
	s_cbranch_execz .LBB525_29
; %bb.28:
	ds_load_2addr_b64 v[8:11], v7 offset1:240
	s_waitcnt lgkmcnt(0)
	v_add_f64 v[8:9], v[10:11], v[8:9]
	ds_store_b64 v7, v[8:9]
.LBB525_29:
	s_or_b32 exec_lo, exec_lo, s1
	s_delay_alu instid0(SALU_CYCLE_1)
	s_mov_b32 s1, exec_lo
	s_waitcnt lgkmcnt(0)
	s_barrier
	buffer_gl0_inv
	v_cmpx_gt_u32_e32 0x78, v0
	s_cbranch_execz .LBB525_31
; %bb.30:
	ds_load_2addr_b64 v[8:11], v7 offset1:120
	s_waitcnt lgkmcnt(0)
	v_add_f64 v[8:9], v[10:11], v[8:9]
	ds_store_b64 v7, v[8:9]
.LBB525_31:
	;; [unrolled: 14-line block ×3, first 2 shown]
	s_or_b32 exec_lo, exec_lo, s1
	s_delay_alu instid0(SALU_CYCLE_1)
	s_mov_b32 s1, exec_lo
	s_waitcnt lgkmcnt(0)
	buffer_gl0_inv
                                        ; implicit-def: $vgpr8
	v_cmpx_gt_u32_e32 30, v0
; %bb.34:
	v_add_nc_u32_e32 v8, 30, v0
	s_or_b32 s0, s0, exec_lo
                                        ; implicit-def: $vgpr5_vgpr6
; %bb.35:
	s_or_b32 exec_lo, exec_lo, s1
	v_mov_b32_e32 v9, v7
.LBB525_36:
	s_and_saveexec_b32 s1, s0
	s_cbranch_execnz .LBB525_39
; %bb.37:
	s_or_b32 exec_lo, exec_lo, s1
	v_cmp_gt_u32_e32 vcc_lo, 30, v0
	s_and_b32 exec_lo, exec_lo, vcc_lo
	s_cbranch_execnz .LBB525_40
.LBB525_38:
	s_nop 0
	s_sendmsg sendmsg(MSG_DEALLOC_VGPRS)
	s_endpgm
.LBB525_39:
	v_lshlrev_b32_e32 v7, 3, v8
	ds_load_b64 v[5:6], v9
	ds_load_b64 v[7:8], v7
	s_waitcnt lgkmcnt(0)
	v_add_f64 v[5:6], v[5:6], v[7:8]
	s_or_b32 exec_lo, exec_lo, s1
	v_cmp_gt_u32_e32 vcc_lo, 30, v0
	s_and_b32 exec_lo, exec_lo, vcc_lo
	s_cbranch_execz .LBB525_38
.LBB525_40:
	s_delay_alu instid0(VALU_DEP_2)
	v_mul_f64 v[3:4], v[3:4], v[5:6]
	s_mul_i32 s0, s9, 0xf0
	s_mul_hi_u32 s1, s8, 0xf0
	s_mul_i32 s2, s8, 0xf0
	s_mov_b32 s3, exec_lo
	v_cmpx_eq_f64_e32 0, v[1:2]
	s_xor_b32 s3, exec_lo, s3
	s_cbranch_execz .LBB525_42
; %bb.41:
	v_lshlrev_b32_e32 v0, 3, v0
	s_add_i32 s5, s1, s0
	s_add_u32 s4, s10, s2
	s_addc_u32 s5, s11, s5
                                        ; implicit-def: $vgpr1_vgpr2
	global_store_b64 v0, v[3:4], s[4:5]
                                        ; implicit-def: $vgpr0
                                        ; implicit-def: $vgpr3_vgpr4
.LBB525_42:
	s_and_not1_saveexec_b32 s3, s3
	s_cbranch_execz .LBB525_38
; %bb.43:
	v_lshlrev_b32_e32 v7, 3, v0
	s_add_i32 s1, s1, s0
	s_add_u32 s0, s10, s2
	s_addc_u32 s1, s11, s1
	global_load_b64 v[5:6], v7, s[0:1]
	s_waitcnt vmcnt(0)
	v_fma_f64 v[0:1], v[1:2], v[5:6], v[3:4]
	global_store_b64 v7, v[0:1], s[0:1]
	s_nop 0
	s_sendmsg sendmsg(MSG_DEALLOC_VGPRS)
	s_endpgm
	.section	.rodata,"a",@progbits
	.p2align	6, 0x0
	.amdhsa_kernel _ZN9rocsparseL20bsrxmvn_17_32_kernelILj30EdllfddEEvT2_20rocsparse_direction_NS_24const_host_device_scalarIT0_EES1_PKS1_PKT1_SA_S7_PKT3_PKT4_S5_PT5_21rocsparse_index_base_b
		.amdhsa_group_segment_fixed_size 7200
		.amdhsa_private_segment_fixed_size 0
		.amdhsa_kernarg_size 104
		.amdhsa_user_sgpr_count 15
		.amdhsa_user_sgpr_dispatch_ptr 0
		.amdhsa_user_sgpr_queue_ptr 0
		.amdhsa_user_sgpr_kernarg_segment_ptr 1
		.amdhsa_user_sgpr_dispatch_id 0
		.amdhsa_user_sgpr_private_segment_size 0
		.amdhsa_wavefront_size32 1
		.amdhsa_uses_dynamic_stack 0
		.amdhsa_enable_private_segment 0
		.amdhsa_system_sgpr_workgroup_id_x 1
		.amdhsa_system_sgpr_workgroup_id_y 0
		.amdhsa_system_sgpr_workgroup_id_z 0
		.amdhsa_system_sgpr_workgroup_info 0
		.amdhsa_system_vgpr_workitem_id 0
		.amdhsa_next_free_vgpr 21
		.amdhsa_next_free_sgpr 20
		.amdhsa_reserve_vcc 1
		.amdhsa_float_round_mode_32 0
		.amdhsa_float_round_mode_16_64 0
		.amdhsa_float_denorm_mode_32 3
		.amdhsa_float_denorm_mode_16_64 3
		.amdhsa_dx10_clamp 1
		.amdhsa_ieee_mode 1
		.amdhsa_fp16_overflow 0
		.amdhsa_workgroup_processor_mode 1
		.amdhsa_memory_ordered 1
		.amdhsa_forward_progress 0
		.amdhsa_shared_vgpr_count 0
		.amdhsa_exception_fp_ieee_invalid_op 0
		.amdhsa_exception_fp_denorm_src 0
		.amdhsa_exception_fp_ieee_div_zero 0
		.amdhsa_exception_fp_ieee_overflow 0
		.amdhsa_exception_fp_ieee_underflow 0
		.amdhsa_exception_fp_ieee_inexact 0
		.amdhsa_exception_int_div_zero 0
	.end_amdhsa_kernel
	.section	.text._ZN9rocsparseL20bsrxmvn_17_32_kernelILj30EdllfddEEvT2_20rocsparse_direction_NS_24const_host_device_scalarIT0_EES1_PKS1_PKT1_SA_S7_PKT3_PKT4_S5_PT5_21rocsparse_index_base_b,"axG",@progbits,_ZN9rocsparseL20bsrxmvn_17_32_kernelILj30EdllfddEEvT2_20rocsparse_direction_NS_24const_host_device_scalarIT0_EES1_PKS1_PKT1_SA_S7_PKT3_PKT4_S5_PT5_21rocsparse_index_base_b,comdat
.Lfunc_end525:
	.size	_ZN9rocsparseL20bsrxmvn_17_32_kernelILj30EdllfddEEvT2_20rocsparse_direction_NS_24const_host_device_scalarIT0_EES1_PKS1_PKT1_SA_S7_PKT3_PKT4_S5_PT5_21rocsparse_index_base_b, .Lfunc_end525-_ZN9rocsparseL20bsrxmvn_17_32_kernelILj30EdllfddEEvT2_20rocsparse_direction_NS_24const_host_device_scalarIT0_EES1_PKS1_PKT1_SA_S7_PKT3_PKT4_S5_PT5_21rocsparse_index_base_b
                                        ; -- End function
	.section	.AMDGPU.csdata,"",@progbits
; Kernel info:
; codeLenInByte = 1720
; NumSgprs: 22
; NumVgprs: 21
; ScratchSize: 0
; MemoryBound: 0
; FloatMode: 240
; IeeeMode: 1
; LDSByteSize: 7200 bytes/workgroup (compile time only)
; SGPRBlocks: 2
; VGPRBlocks: 2
; NumSGPRsForWavesPerEU: 22
; NumVGPRsForWavesPerEU: 21
; Occupancy: 15
; WaveLimiterHint : 1
; COMPUTE_PGM_RSRC2:SCRATCH_EN: 0
; COMPUTE_PGM_RSRC2:USER_SGPR: 15
; COMPUTE_PGM_RSRC2:TRAP_HANDLER: 0
; COMPUTE_PGM_RSRC2:TGID_X_EN: 1
; COMPUTE_PGM_RSRC2:TGID_Y_EN: 0
; COMPUTE_PGM_RSRC2:TGID_Z_EN: 0
; COMPUTE_PGM_RSRC2:TIDIG_COMP_CNT: 0
	.section	.text._ZN9rocsparseL20bsrxmvn_17_32_kernelILj31EdllfddEEvT2_20rocsparse_direction_NS_24const_host_device_scalarIT0_EES1_PKS1_PKT1_SA_S7_PKT3_PKT4_S5_PT5_21rocsparse_index_base_b,"axG",@progbits,_ZN9rocsparseL20bsrxmvn_17_32_kernelILj31EdllfddEEvT2_20rocsparse_direction_NS_24const_host_device_scalarIT0_EES1_PKS1_PKT1_SA_S7_PKT3_PKT4_S5_PT5_21rocsparse_index_base_b,comdat
	.globl	_ZN9rocsparseL20bsrxmvn_17_32_kernelILj31EdllfddEEvT2_20rocsparse_direction_NS_24const_host_device_scalarIT0_EES1_PKS1_PKT1_SA_S7_PKT3_PKT4_S5_PT5_21rocsparse_index_base_b ; -- Begin function _ZN9rocsparseL20bsrxmvn_17_32_kernelILj31EdllfddEEvT2_20rocsparse_direction_NS_24const_host_device_scalarIT0_EES1_PKS1_PKT1_SA_S7_PKT3_PKT4_S5_PT5_21rocsparse_index_base_b
	.p2align	8
	.type	_ZN9rocsparseL20bsrxmvn_17_32_kernelILj31EdllfddEEvT2_20rocsparse_direction_NS_24const_host_device_scalarIT0_EES1_PKS1_PKT1_SA_S7_PKT3_PKT4_S5_PT5_21rocsparse_index_base_b,@function
_ZN9rocsparseL20bsrxmvn_17_32_kernelILj31EdllfddEEvT2_20rocsparse_direction_NS_24const_host_device_scalarIT0_EES1_PKS1_PKT1_SA_S7_PKT3_PKT4_S5_PT5_21rocsparse_index_base_b: ; @_ZN9rocsparseL20bsrxmvn_17_32_kernelILj31EdllfddEEvT2_20rocsparse_direction_NS_24const_host_device_scalarIT0_EES1_PKS1_PKT1_SA_S7_PKT3_PKT4_S5_PT5_21rocsparse_index_base_b
; %bb.0:
	s_clause 0x2
	s_load_b64 s[12:13], s[0:1], 0x60
	s_load_b64 s[4:5], s[0:1], 0x10
	s_load_b64 s[2:3], s[0:1], 0x50
	s_mov_b32 s8, s15
	s_waitcnt lgkmcnt(0)
	s_bitcmp1_b32 s13, 0
	v_dual_mov_b32 v3, s4 :: v_dual_mov_b32 v4, s5
	s_cselect_b32 s6, -1, 0
	s_delay_alu instid0(SALU_CYCLE_1)
	s_and_b32 vcc_lo, exec_lo, s6
	s_xor_b32 s6, s6, -1
	s_cbranch_vccnz .LBB526_2
; %bb.1:
	v_dual_mov_b32 v1, s4 :: v_dual_mov_b32 v2, s5
	flat_load_b64 v[3:4], v[1:2]
.LBB526_2:
	v_dual_mov_b32 v1, s2 :: v_dual_mov_b32 v2, s3
	s_and_not1_b32 vcc_lo, exec_lo, s6
	s_cbranch_vccnz .LBB526_4
; %bb.3:
	v_dual_mov_b32 v1, s2 :: v_dual_mov_b32 v2, s3
	flat_load_b64 v[1:2], v[1:2]
.LBB526_4:
	s_waitcnt vmcnt(0) lgkmcnt(0)
	v_cmp_neq_f64_e32 vcc_lo, 0, v[3:4]
	v_cmp_neq_f64_e64 s2, 1.0, v[1:2]
	s_delay_alu instid0(VALU_DEP_1) | instskip(NEXT) | instid1(SALU_CYCLE_1)
	s_or_b32 s2, vcc_lo, s2
	s_and_saveexec_b32 s3, s2
	s_cbranch_execz .LBB526_38
; %bb.5:
	s_clause 0x1
	s_load_b128 s[4:7], s[0:1], 0x20
	s_load_b64 s[10:11], s[0:1], 0x30
	s_mov_b32 s9, 0
	s_waitcnt lgkmcnt(0)
	s_cmp_eq_u64 s[4:5], 0
	s_cbranch_scc1 .LBB526_7
; %bb.6:
	s_lshl_b64 s[2:3], s[8:9], 3
	s_delay_alu instid0(SALU_CYCLE_1)
	s_add_u32 s2, s4, s2
	s_addc_u32 s3, s5, s3
	s_load_b64 s[2:3], s[2:3], 0x0
	s_waitcnt lgkmcnt(0)
	s_sub_u32 s8, s2, s12
	s_subb_u32 s9, s3, 0
.LBB526_7:
	s_load_b32 s3, s[0:1], 0x8
	v_mul_u32_u24_e32 v5, 0x843, v0
	s_delay_alu instid0(VALU_DEP_1) | instskip(NEXT) | instid1(VALU_DEP_1)
	v_lshrrev_b32_e32 v7, 16, v5
	v_mul_lo_u16 v5, v7, 31
	s_delay_alu instid0(VALU_DEP_1)
	v_sub_nc_u16 v13, v0, v5
	v_mov_b32_e32 v5, 0
	v_mov_b32_e32 v6, 0
	s_waitcnt lgkmcnt(0)
	s_cmp_eq_u32 s3, 1
	s_cselect_b32 s2, -1, 0
	s_cmp_lg_u32 s3, 1
	s_cselect_b32 s13, -1, 0
	s_lshl_b64 s[4:5], s[8:9], 3
	s_delay_alu instid0(SALU_CYCLE_1)
	s_add_u32 s6, s6, s4
	s_addc_u32 s7, s7, s5
	s_add_u32 s3, s6, 8
	s_addc_u32 s14, s7, 0
	;; [unrolled: 2-line block ×3, first 2 shown]
	s_cmp_eq_u64 s[10:11], 0
	s_load_b64 s[10:11], s[0:1], 0x58
	s_cselect_b32 s5, s14, s5
	s_cselect_b32 s4, s3, s4
	s_load_b64 s[14:15], s[6:7], 0x0
	s_load_b64 s[16:17], s[4:5], 0x0
	s_waitcnt lgkmcnt(0)
	v_cmp_ge_i64_e64 s3, s[14:15], s[16:17]
	s_delay_alu instid0(VALU_DEP_1)
	s_and_b32 vcc_lo, exec_lo, s3
	s_cbranch_vccnz .LBB526_12
; %bb.8:
	v_dual_mov_b32 v6, 0 :: v_dual_and_b32 v5, 0xffff, v7
	v_cmp_gt_u32_e32 vcc_lo, 0x3c1, v0
	s_clause 0x1
	s_load_b128 s[4:7], s[0:1], 0x38
	s_load_b64 s[18:19], s[0:1], 0x48
	v_and_b32_e32 v8, 0xffff, v13
	v_subrev_nc_u32_e32 v7, 31, v5
	s_sub_u32 s0, s16, s12
	s_subb_u32 s1, s17, 0
	s_delay_alu instid0(VALU_DEP_1) | instskip(SKIP_1) | instid1(VALU_DEP_2)
	v_cndmask_b32_e32 v5, v7, v5, vcc_lo
	v_cmp_lt_u32_e32 vcc_lo, 0x3c0, v0
	v_cndmask_b32_e64 v5, v8, v5, s2
	v_cndmask_b32_e64 v14, 0, 1, vcc_lo
	s_sub_u32 s2, s14, s12
	s_subb_u32 s3, s15, 0
	s_mul_hi_u32 s16, s2, 0xf04
	v_lshlrev_b64 v[5:6], 3, v[5:6]
	v_add_co_u32 v9, s14, s14, v14
	s_delay_alu instid0(VALU_DEP_1) | instskip(SKIP_2) | instid1(VALU_DEP_3)
	v_add_co_ci_u32_e64 v10, null, s15, 0, s14
	s_mul_i32 s17, s3, 0xf04
	s_waitcnt lgkmcnt(0)
	v_add_co_u32 v7, vcc_lo, s18, v5
	v_add_co_ci_u32_e32 v8, vcc_lo, s19, v6, vcc_lo
	v_sub_co_u32 v5, vcc_lo, v9, s12
	v_subrev_co_ci_u32_e32 v6, vcc_lo, 0, v10, vcc_lo
	v_lshlrev_b32_e32 v9, 2, v0
	s_mul_i32 s14, s2, 0xf04
	s_add_i32 s16, s16, s17
	s_delay_alu instid0(VALU_DEP_2)
	v_lshlrev_b64 v[11:12], 3, v[5:6]
	s_add_u32 s6, s6, s14
	v_mov_b32_e32 v5, 0
	v_mov_b32_e32 v6, 0
	s_addc_u32 s7, s7, s16
	v_add_co_u32 v9, s6, s6, v9
	v_add_co_u32 v11, vcc_lo, s4, v11
	v_add_co_ci_u32_e64 v10, null, s7, 0, s6
	v_add_co_ci_u32_e32 v12, vcc_lo, s5, v12, vcc_lo
	s_set_inst_prefetch_distance 0x1
	s_branch .LBB526_10
	.p2align	6
.LBB526_9:                              ;   in Loop: Header=BB526_10 Depth=1
	s_or_b32 exec_lo, exec_lo, s4
	s_add_u32 s2, s2, 1
	s_addc_u32 s3, s3, 0
	v_add_co_u32 v11, vcc_lo, v11, 8
	v_cmp_lt_i64_e64 s4, s[2:3], s[0:1]
	v_add_co_ci_u32_e32 v12, vcc_lo, 0, v12, vcc_lo
	s_delay_alu instid0(VALU_DEP_2)
	s_and_b32 vcc_lo, exec_lo, s4
	s_cbranch_vccz .LBB526_12
.LBB526_10:                             ; =>This Inner Loop Header: Depth=1
	v_add_co_u32 v15, s4, v14, s2
	s_delay_alu instid0(VALU_DEP_1) | instskip(SKIP_1) | instid1(VALU_DEP_1)
	v_add_co_ci_u32_e64 v16, null, 0, s3, s4
	s_mov_b32 s4, exec_lo
	v_cmpx_gt_i64_e64 s[0:1], v[15:16]
	s_cbranch_execz .LBB526_9
; %bb.11:                               ;   in Loop: Header=BB526_10 Depth=1
	global_load_b64 v[15:16], v[11:12], off
	global_load_b32 v19, v[9:10], off
	s_waitcnt vmcnt(1)
	v_sub_co_u32 v17, vcc_lo, v15, s12
	v_subrev_co_ci_u32_e32 v20, vcc_lo, 0, v16, vcc_lo
	v_add_co_u32 v9, vcc_lo, 0xf04, v9
	s_delay_alu instid0(VALU_DEP_3) | instskip(SKIP_1) | instid1(VALU_DEP_2)
	v_mad_u64_u32 v[15:16], null, 0xf8, v17, v[7:8]
	v_add_co_ci_u32_e32 v10, vcc_lo, 0, v10, vcc_lo
	v_mad_u64_u32 v[17:18], null, 0xf8, v20, v[16:17]
	s_delay_alu instid0(VALU_DEP_1)
	v_mov_b32_e32 v16, v17
	s_waitcnt vmcnt(0)
	v_cvt_f64_f32_e32 v[17:18], v19
	global_load_b64 v[15:16], v[15:16], off
	s_waitcnt vmcnt(0)
	v_fma_f64 v[5:6], v[17:18], v[15:16], v[5:6]
	s_branch .LBB526_9
.LBB526_12:
	s_set_inst_prefetch_distance 0x2
	v_lshlrev_b32_e32 v7, 3, v0
	s_and_b32 vcc_lo, exec_lo, s13
	ds_store_b64 v7, v[5:6]
	s_waitcnt lgkmcnt(0)
	s_barrier
	buffer_gl0_inv
	s_cbranch_vccz .LBB526_24
; %bb.13:
	s_mov_b32 s0, exec_lo
	v_cmpx_gt_u16_e32 15, v13
	s_cbranch_execz .LBB526_15
; %bb.14:
	ds_load_2addr_b64 v[8:11], v7 offset1:16
	s_waitcnt lgkmcnt(0)
	v_add_f64 v[8:9], v[10:11], v[8:9]
	ds_store_b64 v7, v[8:9]
.LBB526_15:
	s_or_b32 exec_lo, exec_lo, s0
	s_delay_alu instid0(SALU_CYCLE_1)
	s_mov_b32 s0, exec_lo
	s_waitcnt lgkmcnt(0)
	s_barrier
	buffer_gl0_inv
	v_cmpx_gt_u16_e32 8, v13
	s_cbranch_execz .LBB526_17
; %bb.16:
	ds_load_2addr_b64 v[8:11], v7 offset1:8
	s_waitcnt lgkmcnt(0)
	v_add_f64 v[8:9], v[10:11], v[8:9]
	ds_store_b64 v7, v[8:9]
.LBB526_17:
	s_or_b32 exec_lo, exec_lo, s0
	s_delay_alu instid0(SALU_CYCLE_1)
	s_mov_b32 s0, exec_lo
	s_waitcnt lgkmcnt(0)
	s_barrier
	buffer_gl0_inv
	;; [unrolled: 14-line block ×3, first 2 shown]
	v_cmpx_gt_u16_e32 2, v13
	s_cbranch_execz .LBB526_21
; %bb.20:
	ds_load_2addr_b64 v[8:11], v7 offset1:2
	s_waitcnt lgkmcnt(0)
	v_add_f64 v[8:9], v[10:11], v[8:9]
	ds_store_b64 v7, v[8:9]
.LBB526_21:
	s_or_b32 exec_lo, exec_lo, s0
	s_mov_b32 s1, 0
	s_mov_b32 s0, 0
	s_mov_b32 s2, exec_lo
	s_waitcnt lgkmcnt(0)
	s_barrier
	buffer_gl0_inv
                                        ; implicit-def: $vgpr8
                                        ; implicit-def: $vgpr9
	v_cmpx_gt_u32_e32 31, v0
	s_xor_b32 s2, exec_lo, s2
; %bb.22:
	v_mad_u32_u24 v8, v0, 31, 1
	v_mad_u32_u24 v9, 0xf0, v0, v7
	s_mov_b32 s0, exec_lo
; %bb.23:
	s_or_b32 exec_lo, exec_lo, s2
	s_delay_alu instid0(SALU_CYCLE_1)
	s_and_b32 vcc_lo, exec_lo, s1
	s_cbranch_vccnz .LBB526_25
	s_branch .LBB526_36
.LBB526_24:
	s_mov_b32 s0, 0
                                        ; implicit-def: $vgpr8
                                        ; implicit-def: $vgpr9
	s_cbranch_execz .LBB526_36
.LBB526_25:
	s_mov_b32 s1, exec_lo
	v_cmpx_gt_u32_e32 0x1d1, v0
	s_cbranch_execz .LBB526_27
; %bb.26:
	ds_load_b64 v[8:9], v7 offset:3968
	ds_load_b64 v[10:11], v7
	s_waitcnt lgkmcnt(0)
	v_add_f64 v[8:9], v[8:9], v[10:11]
	ds_store_b64 v7, v[8:9]
.LBB526_27:
	s_or_b32 exec_lo, exec_lo, s1
	s_delay_alu instid0(SALU_CYCLE_1)
	s_mov_b32 s1, exec_lo
	s_waitcnt lgkmcnt(0)
	s_barrier
	buffer_gl0_inv
	v_cmpx_gt_u32_e32 0xf8, v0
	s_cbranch_execz .LBB526_29
; %bb.28:
	ds_load_2addr_b64 v[8:11], v7 offset1:248
	s_waitcnt lgkmcnt(0)
	v_add_f64 v[8:9], v[10:11], v[8:9]
	ds_store_b64 v7, v[8:9]
.LBB526_29:
	s_or_b32 exec_lo, exec_lo, s1
	s_delay_alu instid0(SALU_CYCLE_1)
	s_mov_b32 s1, exec_lo
	s_waitcnt lgkmcnt(0)
	s_barrier
	buffer_gl0_inv
	v_cmpx_gt_u32_e32 0x7c, v0
	s_cbranch_execz .LBB526_31
; %bb.30:
	ds_load_2addr_b64 v[8:11], v7 offset1:124
	s_waitcnt lgkmcnt(0)
	v_add_f64 v[8:9], v[10:11], v[8:9]
	ds_store_b64 v7, v[8:9]
.LBB526_31:
	;; [unrolled: 14-line block ×3, first 2 shown]
	s_or_b32 exec_lo, exec_lo, s1
	s_delay_alu instid0(SALU_CYCLE_1)
	s_mov_b32 s1, exec_lo
	s_waitcnt lgkmcnt(0)
	buffer_gl0_inv
                                        ; implicit-def: $vgpr8
	v_cmpx_gt_u32_e32 31, v0
; %bb.34:
	v_add_nc_u32_e32 v8, 31, v0
	s_or_b32 s0, s0, exec_lo
                                        ; implicit-def: $vgpr5_vgpr6
; %bb.35:
	s_or_b32 exec_lo, exec_lo, s1
	v_mov_b32_e32 v9, v7
.LBB526_36:
	s_and_saveexec_b32 s1, s0
	s_cbranch_execnz .LBB526_39
; %bb.37:
	s_or_b32 exec_lo, exec_lo, s1
	v_cmp_gt_u32_e32 vcc_lo, 31, v0
	s_and_b32 exec_lo, exec_lo, vcc_lo
	s_cbranch_execnz .LBB526_40
.LBB526_38:
	s_nop 0
	s_sendmsg sendmsg(MSG_DEALLOC_VGPRS)
	s_endpgm
.LBB526_39:
	v_lshlrev_b32_e32 v7, 3, v8
	ds_load_b64 v[5:6], v9
	ds_load_b64 v[7:8], v7
	s_waitcnt lgkmcnt(0)
	v_add_f64 v[5:6], v[5:6], v[7:8]
	s_or_b32 exec_lo, exec_lo, s1
	v_cmp_gt_u32_e32 vcc_lo, 31, v0
	s_and_b32 exec_lo, exec_lo, vcc_lo
	s_cbranch_execz .LBB526_38
.LBB526_40:
	s_delay_alu instid0(VALU_DEP_2)
	v_mul_f64 v[3:4], v[3:4], v[5:6]
	s_mul_i32 s0, s9, 0xf8
	s_mul_hi_u32 s1, s8, 0xf8
	s_mul_i32 s2, s8, 0xf8
	s_mov_b32 s3, exec_lo
	v_cmpx_eq_f64_e32 0, v[1:2]
	s_xor_b32 s3, exec_lo, s3
	s_cbranch_execz .LBB526_42
; %bb.41:
	v_lshlrev_b32_e32 v0, 3, v0
	s_add_i32 s5, s1, s0
	s_add_u32 s4, s10, s2
	s_addc_u32 s5, s11, s5
                                        ; implicit-def: $vgpr1_vgpr2
	global_store_b64 v0, v[3:4], s[4:5]
                                        ; implicit-def: $vgpr0
                                        ; implicit-def: $vgpr3_vgpr4
.LBB526_42:
	s_and_not1_saveexec_b32 s3, s3
	s_cbranch_execz .LBB526_38
; %bb.43:
	v_lshlrev_b32_e32 v7, 3, v0
	s_add_i32 s1, s1, s0
	s_add_u32 s0, s10, s2
	s_addc_u32 s1, s11, s1
	global_load_b64 v[5:6], v7, s[0:1]
	s_waitcnt vmcnt(0)
	v_fma_f64 v[0:1], v[1:2], v[5:6], v[3:4]
	global_store_b64 v7, v[0:1], s[0:1]
	s_nop 0
	s_sendmsg sendmsg(MSG_DEALLOC_VGPRS)
	s_endpgm
	.section	.rodata,"a",@progbits
	.p2align	6, 0x0
	.amdhsa_kernel _ZN9rocsparseL20bsrxmvn_17_32_kernelILj31EdllfddEEvT2_20rocsparse_direction_NS_24const_host_device_scalarIT0_EES1_PKS1_PKT1_SA_S7_PKT3_PKT4_S5_PT5_21rocsparse_index_base_b
		.amdhsa_group_segment_fixed_size 7688
		.amdhsa_private_segment_fixed_size 0
		.amdhsa_kernarg_size 104
		.amdhsa_user_sgpr_count 15
		.amdhsa_user_sgpr_dispatch_ptr 0
		.amdhsa_user_sgpr_queue_ptr 0
		.amdhsa_user_sgpr_kernarg_segment_ptr 1
		.amdhsa_user_sgpr_dispatch_id 0
		.amdhsa_user_sgpr_private_segment_size 0
		.amdhsa_wavefront_size32 1
		.amdhsa_uses_dynamic_stack 0
		.amdhsa_enable_private_segment 0
		.amdhsa_system_sgpr_workgroup_id_x 1
		.amdhsa_system_sgpr_workgroup_id_y 0
		.amdhsa_system_sgpr_workgroup_id_z 0
		.amdhsa_system_sgpr_workgroup_info 0
		.amdhsa_system_vgpr_workitem_id 0
		.amdhsa_next_free_vgpr 21
		.amdhsa_next_free_sgpr 20
		.amdhsa_reserve_vcc 1
		.amdhsa_float_round_mode_32 0
		.amdhsa_float_round_mode_16_64 0
		.amdhsa_float_denorm_mode_32 3
		.amdhsa_float_denorm_mode_16_64 3
		.amdhsa_dx10_clamp 1
		.amdhsa_ieee_mode 1
		.amdhsa_fp16_overflow 0
		.amdhsa_workgroup_processor_mode 1
		.amdhsa_memory_ordered 1
		.amdhsa_forward_progress 0
		.amdhsa_shared_vgpr_count 0
		.amdhsa_exception_fp_ieee_invalid_op 0
		.amdhsa_exception_fp_denorm_src 0
		.amdhsa_exception_fp_ieee_div_zero 0
		.amdhsa_exception_fp_ieee_overflow 0
		.amdhsa_exception_fp_ieee_underflow 0
		.amdhsa_exception_fp_ieee_inexact 0
		.amdhsa_exception_int_div_zero 0
	.end_amdhsa_kernel
	.section	.text._ZN9rocsparseL20bsrxmvn_17_32_kernelILj31EdllfddEEvT2_20rocsparse_direction_NS_24const_host_device_scalarIT0_EES1_PKS1_PKT1_SA_S7_PKT3_PKT4_S5_PT5_21rocsparse_index_base_b,"axG",@progbits,_ZN9rocsparseL20bsrxmvn_17_32_kernelILj31EdllfddEEvT2_20rocsparse_direction_NS_24const_host_device_scalarIT0_EES1_PKS1_PKT1_SA_S7_PKT3_PKT4_S5_PT5_21rocsparse_index_base_b,comdat
.Lfunc_end526:
	.size	_ZN9rocsparseL20bsrxmvn_17_32_kernelILj31EdllfddEEvT2_20rocsparse_direction_NS_24const_host_device_scalarIT0_EES1_PKS1_PKT1_SA_S7_PKT3_PKT4_S5_PT5_21rocsparse_index_base_b, .Lfunc_end526-_ZN9rocsparseL20bsrxmvn_17_32_kernelILj31EdllfddEEvT2_20rocsparse_direction_NS_24const_host_device_scalarIT0_EES1_PKS1_PKT1_SA_S7_PKT3_PKT4_S5_PT5_21rocsparse_index_base_b
                                        ; -- End function
	.section	.AMDGPU.csdata,"",@progbits
; Kernel info:
; codeLenInByte = 1716
; NumSgprs: 22
; NumVgprs: 21
; ScratchSize: 0
; MemoryBound: 0
; FloatMode: 240
; IeeeMode: 1
; LDSByteSize: 7688 bytes/workgroup (compile time only)
; SGPRBlocks: 2
; VGPRBlocks: 2
; NumSGPRsForWavesPerEU: 22
; NumVGPRsForWavesPerEU: 21
; Occupancy: 16
; WaveLimiterHint : 1
; COMPUTE_PGM_RSRC2:SCRATCH_EN: 0
; COMPUTE_PGM_RSRC2:USER_SGPR: 15
; COMPUTE_PGM_RSRC2:TRAP_HANDLER: 0
; COMPUTE_PGM_RSRC2:TGID_X_EN: 1
; COMPUTE_PGM_RSRC2:TGID_Y_EN: 0
; COMPUTE_PGM_RSRC2:TGID_Z_EN: 0
; COMPUTE_PGM_RSRC2:TIDIG_COMP_CNT: 0
	.section	.text._ZN9rocsparseL20bsrxmvn_17_32_kernelILj32EdllfddEEvT2_20rocsparse_direction_NS_24const_host_device_scalarIT0_EES1_PKS1_PKT1_SA_S7_PKT3_PKT4_S5_PT5_21rocsparse_index_base_b,"axG",@progbits,_ZN9rocsparseL20bsrxmvn_17_32_kernelILj32EdllfddEEvT2_20rocsparse_direction_NS_24const_host_device_scalarIT0_EES1_PKS1_PKT1_SA_S7_PKT3_PKT4_S5_PT5_21rocsparse_index_base_b,comdat
	.globl	_ZN9rocsparseL20bsrxmvn_17_32_kernelILj32EdllfddEEvT2_20rocsparse_direction_NS_24const_host_device_scalarIT0_EES1_PKS1_PKT1_SA_S7_PKT3_PKT4_S5_PT5_21rocsparse_index_base_b ; -- Begin function _ZN9rocsparseL20bsrxmvn_17_32_kernelILj32EdllfddEEvT2_20rocsparse_direction_NS_24const_host_device_scalarIT0_EES1_PKS1_PKT1_SA_S7_PKT3_PKT4_S5_PT5_21rocsparse_index_base_b
	.p2align	8
	.type	_ZN9rocsparseL20bsrxmvn_17_32_kernelILj32EdllfddEEvT2_20rocsparse_direction_NS_24const_host_device_scalarIT0_EES1_PKS1_PKT1_SA_S7_PKT3_PKT4_S5_PT5_21rocsparse_index_base_b,@function
_ZN9rocsparseL20bsrxmvn_17_32_kernelILj32EdllfddEEvT2_20rocsparse_direction_NS_24const_host_device_scalarIT0_EES1_PKS1_PKT1_SA_S7_PKT3_PKT4_S5_PT5_21rocsparse_index_base_b: ; @_ZN9rocsparseL20bsrxmvn_17_32_kernelILj32EdllfddEEvT2_20rocsparse_direction_NS_24const_host_device_scalarIT0_EES1_PKS1_PKT1_SA_S7_PKT3_PKT4_S5_PT5_21rocsparse_index_base_b
; %bb.0:
	s_clause 0x2
	s_load_b64 s[10:11], s[0:1], 0x60
	s_load_b64 s[4:5], s[0:1], 0x10
	;; [unrolled: 1-line block ×3, first 2 shown]
	s_mov_b32 s8, s15
	s_waitcnt lgkmcnt(0)
	s_bitcmp1_b32 s11, 0
	v_dual_mov_b32 v3, s4 :: v_dual_mov_b32 v4, s5
	s_cselect_b32 s6, -1, 0
	s_delay_alu instid0(SALU_CYCLE_1)
	s_and_b32 vcc_lo, exec_lo, s6
	s_xor_b32 s6, s6, -1
	s_cbranch_vccnz .LBB527_2
; %bb.1:
	v_dual_mov_b32 v1, s4 :: v_dual_mov_b32 v2, s5
	flat_load_b64 v[3:4], v[1:2]
.LBB527_2:
	v_dual_mov_b32 v1, s2 :: v_dual_mov_b32 v2, s3
	s_and_not1_b32 vcc_lo, exec_lo, s6
	s_cbranch_vccnz .LBB527_4
; %bb.3:
	v_dual_mov_b32 v1, s2 :: v_dual_mov_b32 v2, s3
	flat_load_b64 v[1:2], v[1:2]
.LBB527_4:
	s_waitcnt vmcnt(0) lgkmcnt(0)
	v_cmp_neq_f64_e32 vcc_lo, 0, v[3:4]
	v_cmp_neq_f64_e64 s2, 1.0, v[1:2]
	s_delay_alu instid0(VALU_DEP_1) | instskip(NEXT) | instid1(SALU_CYCLE_1)
	s_or_b32 s2, vcc_lo, s2
	s_and_saveexec_b32 s3, s2
	s_cbranch_execz .LBB527_36
; %bb.5:
	s_clause 0x1
	s_load_b128 s[4:7], s[0:1], 0x20
	s_load_b64 s[12:13], s[0:1], 0x30
	s_mov_b32 s9, 0
	s_delay_alu instid0(SALU_CYCLE_1)
	s_mov_b32 s11, s9
	s_waitcnt lgkmcnt(0)
	s_cmp_eq_u64 s[4:5], 0
	s_cbranch_scc1 .LBB527_7
; %bb.6:
	s_lshl_b64 s[2:3], s[8:9], 3
	s_delay_alu instid0(SALU_CYCLE_1)
	s_add_u32 s2, s4, s2
	s_addc_u32 s3, s5, s3
	s_load_b64 s[2:3], s[2:3], 0x0
	s_waitcnt lgkmcnt(0)
	s_sub_u32 s8, s2, s10
	s_subb_u32 s9, s3, 0
.LBB527_7:
	s_load_b32 s3, s[0:1], 0x8
	v_mov_b32_e32 v5, 0
	v_dual_mov_b32 v6, 0 :: v_dual_and_b32 v9, 31, v0
	s_waitcnt lgkmcnt(0)
	s_cmp_eq_u32 s3, 1
	s_cselect_b32 s2, -1, 0
	s_cmp_lg_u32 s3, 1
	s_cselect_b32 s14, -1, 0
	s_lshl_b64 s[4:5], s[8:9], 3
	s_delay_alu instid0(SALU_CYCLE_1)
	s_add_u32 s6, s6, s4
	s_addc_u32 s7, s7, s5
	s_add_u32 s3, s6, 8
	s_addc_u32 s15, s7, 0
	;; [unrolled: 2-line block ×3, first 2 shown]
	s_cmp_eq_u64 s[12:13], 0
	s_cselect_b32 s5, s15, s5
	s_cselect_b32 s4, s3, s4
	s_load_b64 s[6:7], s[6:7], 0x0
	s_load_b64 s[12:13], s[4:5], 0x0
	s_load_b64 s[4:5], s[0:1], 0x58
	s_waitcnt lgkmcnt(0)
	v_cmp_ge_i64_e64 s3, s[6:7], s[12:13]
	s_delay_alu instid0(VALU_DEP_1)
	s_and_b32 vcc_lo, exec_lo, s3
	s_cbranch_vccnz .LBB527_10
; %bb.8:
	s_clause 0x1
	s_load_b64 s[20:21], s[0:1], 0x48
	s_load_b128 s[16:19], s[0:1], 0x38
	v_lshrrev_b32_e32 v5, 5, v0
	s_sub_u32 s0, s12, s10
	s_subb_u32 s1, s13, 0
	s_delay_alu instid0(VALU_DEP_1) | instskip(SKIP_4) | instid1(SALU_CYCLE_1)
	v_cndmask_b32_e64 v5, v9, v5, s2
	s_sub_u32 s2, s6, s10
	s_subb_u32 s3, s7, 0
	s_lshl_b64 s[6:7], s[6:7], 3
	s_lshl_b64 s[12:13], s[2:3], 12
	v_dual_mov_b32 v8, s13 :: v_dual_lshlrev_b32 v5, 3, v5
	v_lshl_or_b32 v6, v0, 2, s12
	s_waitcnt lgkmcnt(0)
	s_delay_alu instid0(VALU_DEP_2) | instskip(NEXT) | instid1(VALU_DEP_1)
	v_add_co_u32 v10, s12, s20, v5
	v_add_co_ci_u32_e64 v11, null, s21, 0, s12
	s_delay_alu instid0(VALU_DEP_3)
	v_add_co_u32 v7, vcc_lo, s18, v6
	s_lshl_b64 s[12:13], s[10:11], 3
	v_mov_b32_e32 v5, 0
	v_add_co_ci_u32_e32 v8, vcc_lo, s19, v8, vcc_lo
	v_mov_b32_e32 v6, 0
	s_sub_u32 s6, s6, s12
	s_subb_u32 s7, s7, s13
	s_add_u32 s6, s16, s6
	s_addc_u32 s7, s17, s7
	.p2align	6
.LBB527_9:                              ; =>This Inner Loop Header: Depth=1
	global_load_b32 v14, v[7:8], off
	s_load_b64 s[12:13], s[6:7], 0x0
	s_waitcnt lgkmcnt(0)
	s_sub_u32 s12, s12, s10
	s_subb_u32 s13, s13, 0
	s_delay_alu instid0(SALU_CYCLE_1)
	s_lshl_b64 s[12:13], s[12:13], 8
	s_add_u32 s2, s2, 1
	v_add_co_u32 v12, vcc_lo, v10, s12
	v_add_co_ci_u32_e32 v13, vcc_lo, s13, v11, vcc_lo
	s_addc_u32 s3, s3, 0
	v_add_co_u32 v7, vcc_lo, 0x1000, v7
	global_load_b64 v[12:13], v[12:13], off
	v_cmp_lt_i64_e64 s11, s[2:3], s[0:1]
	v_add_co_ci_u32_e32 v8, vcc_lo, 0, v8, vcc_lo
	s_add_u32 s6, s6, 8
	s_addc_u32 s7, s7, 0
	s_delay_alu instid0(VALU_DEP_2) | instskip(SKIP_3) | instid1(VALU_DEP_1)
	s_and_b32 vcc_lo, exec_lo, s11
	s_waitcnt vmcnt(1)
	v_cvt_f64_f32_e32 v[14:15], v14
	s_waitcnt vmcnt(0)
	v_fma_f64 v[5:6], v[14:15], v[12:13], v[5:6]
	s_cbranch_vccnz .LBB527_9
.LBB527_10:
	v_lshlrev_b32_e32 v7, 3, v0
	s_and_b32 vcc_lo, exec_lo, s14
	ds_store_b64 v7, v[5:6]
	s_waitcnt lgkmcnt(0)
	s_barrier
	buffer_gl0_inv
	s_cbranch_vccz .LBB527_22
; %bb.11:
	s_mov_b32 s0, exec_lo
	v_cmpx_gt_u32_e32 16, v9
	s_cbranch_execz .LBB527_13
; %bb.12:
	ds_load_2addr_b64 v[10:13], v7 offset1:16
	s_waitcnt lgkmcnt(0)
	v_add_f64 v[10:11], v[12:13], v[10:11]
	ds_store_b64 v7, v[10:11]
.LBB527_13:
	s_or_b32 exec_lo, exec_lo, s0
	s_delay_alu instid0(SALU_CYCLE_1)
	s_mov_b32 s0, exec_lo
	s_waitcnt lgkmcnt(0)
	s_barrier
	buffer_gl0_inv
	v_cmpx_gt_u32_e32 8, v9
	s_cbranch_execz .LBB527_15
; %bb.14:
	ds_load_2addr_b64 v[10:13], v7 offset1:8
	s_waitcnt lgkmcnt(0)
	v_add_f64 v[10:11], v[12:13], v[10:11]
	ds_store_b64 v7, v[10:11]
.LBB527_15:
	s_or_b32 exec_lo, exec_lo, s0
	s_delay_alu instid0(SALU_CYCLE_1)
	s_mov_b32 s0, exec_lo
	s_waitcnt lgkmcnt(0)
	s_barrier
	buffer_gl0_inv
	;; [unrolled: 14-line block ×3, first 2 shown]
	v_cmpx_gt_u32_e32 2, v9
	s_cbranch_execz .LBB527_19
; %bb.18:
	ds_load_2addr_b64 v[8:11], v7 offset1:2
	s_waitcnt lgkmcnt(0)
	v_add_f64 v[8:9], v[10:11], v[8:9]
	ds_store_b64 v7, v[8:9]
.LBB527_19:
	s_or_b32 exec_lo, exec_lo, s0
	s_mov_b32 s1, 0
	s_mov_b32 s0, 0
	s_mov_b32 s2, exec_lo
	s_waitcnt lgkmcnt(0)
	s_barrier
	buffer_gl0_inv
                                        ; implicit-def: $vgpr8
                                        ; implicit-def: $vgpr9
	v_cmpx_gt_u32_e32 32, v0
	s_xor_b32 s2, exec_lo, s2
; %bb.20:
	v_lshl_or_b32 v8, v0, 5, 1
	v_mad_u32_u24 v9, 0xf8, v0, v7
	s_mov_b32 s0, exec_lo
; %bb.21:
	s_or_b32 exec_lo, exec_lo, s2
	s_delay_alu instid0(SALU_CYCLE_1)
	s_and_b32 vcc_lo, exec_lo, s1
	s_cbranch_vccnz .LBB527_23
	s_branch .LBB527_34
.LBB527_22:
	s_mov_b32 s0, 0
                                        ; implicit-def: $vgpr8
                                        ; implicit-def: $vgpr9
	s_cbranch_execz .LBB527_34
.LBB527_23:
	s_mov_b32 s1, exec_lo
	v_cmpx_gt_u32_e32 0x200, v0
	s_cbranch_execz .LBB527_25
; %bb.24:
	ds_load_2addr_stride64_b64 v[8:11], v7 offset1:8
	s_waitcnt lgkmcnt(0)
	v_add_f64 v[8:9], v[10:11], v[8:9]
	ds_store_b64 v7, v[8:9]
.LBB527_25:
	s_or_b32 exec_lo, exec_lo, s1
	s_delay_alu instid0(SALU_CYCLE_1)
	s_mov_b32 s1, exec_lo
	s_waitcnt lgkmcnt(0)
	s_barrier
	buffer_gl0_inv
	v_cmpx_gt_u32_e32 0x100, v0
	s_cbranch_execz .LBB527_27
; %bb.26:
	ds_load_2addr_stride64_b64 v[8:11], v7 offset1:4
	s_waitcnt lgkmcnt(0)
	v_add_f64 v[8:9], v[10:11], v[8:9]
	ds_store_b64 v7, v[8:9]
.LBB527_27:
	s_or_b32 exec_lo, exec_lo, s1
	s_delay_alu instid0(SALU_CYCLE_1)
	s_mov_b32 s1, exec_lo
	s_waitcnt lgkmcnt(0)
	s_barrier
	buffer_gl0_inv
	;; [unrolled: 14-line block ×3, first 2 shown]
	v_cmpx_gt_u32_e32 64, v0
	s_cbranch_execz .LBB527_31
; %bb.30:
	ds_load_2addr_stride64_b64 v[8:11], v7 offset1:1
	s_waitcnt lgkmcnt(0)
	v_add_f64 v[8:9], v[10:11], v[8:9]
	ds_store_b64 v7, v[8:9]
.LBB527_31:
	s_or_b32 exec_lo, exec_lo, s1
	s_delay_alu instid0(SALU_CYCLE_1)
	s_mov_b32 s1, exec_lo
	s_waitcnt lgkmcnt(0)
	buffer_gl0_inv
                                        ; implicit-def: $vgpr8
	v_cmpx_gt_u32_e32 32, v0
; %bb.32:
	v_or_b32_e32 v8, 32, v0
	s_or_b32 s0, s0, exec_lo
                                        ; implicit-def: $vgpr5_vgpr6
; %bb.33:
	s_or_b32 exec_lo, exec_lo, s1
	v_mov_b32_e32 v9, v7
.LBB527_34:
	s_and_saveexec_b32 s1, s0
	s_cbranch_execnz .LBB527_37
; %bb.35:
	s_or_b32 exec_lo, exec_lo, s1
	v_cmp_gt_u32_e32 vcc_lo, 32, v0
	s_and_b32 exec_lo, exec_lo, vcc_lo
	s_cbranch_execnz .LBB527_38
.LBB527_36:
	s_nop 0
	s_sendmsg sendmsg(MSG_DEALLOC_VGPRS)
	s_endpgm
.LBB527_37:
	v_lshlrev_b32_e32 v7, 3, v8
	ds_load_b64 v[5:6], v9
	ds_load_b64 v[7:8], v7
	s_waitcnt lgkmcnt(0)
	v_add_f64 v[5:6], v[5:6], v[7:8]
	s_or_b32 exec_lo, exec_lo, s1
	v_cmp_gt_u32_e32 vcc_lo, 32, v0
	s_and_b32 exec_lo, exec_lo, vcc_lo
	s_cbranch_execz .LBB527_36
.LBB527_38:
	s_delay_alu instid0(VALU_DEP_2)
	v_mul_f64 v[3:4], v[3:4], v[5:6]
	s_mov_b32 s0, exec_lo
	v_cmpx_eq_f64_e32 0, v[1:2]
	s_xor_b32 s0, exec_lo, s0
	s_cbranch_execz .LBB527_40
; %bb.39:
	s_lshl_b64 s[2:3], s[8:9], 8
	v_lshlrev_b32_e32 v0, 3, v0
	s_add_u32 s2, s4, s2
	s_addc_u32 s3, s5, s3
                                        ; implicit-def: $vgpr1_vgpr2
	global_store_b64 v0, v[3:4], s[2:3]
                                        ; implicit-def: $vgpr0
                                        ; implicit-def: $vgpr3_vgpr4
.LBB527_40:
	s_and_not1_saveexec_b32 s0, s0
	s_cbranch_execz .LBB527_36
; %bb.41:
	s_lshl_b64 s[0:1], s[8:9], 8
	v_lshlrev_b32_e32 v7, 3, v0
	s_add_u32 s0, s4, s0
	s_addc_u32 s1, s5, s1
	global_load_b64 v[5:6], v7, s[0:1]
	s_waitcnt vmcnt(0)
	v_fma_f64 v[0:1], v[1:2], v[5:6], v[3:4]
	global_store_b64 v7, v[0:1], s[0:1]
	s_nop 0
	s_sendmsg sendmsg(MSG_DEALLOC_VGPRS)
	s_endpgm
	.section	.rodata,"a",@progbits
	.p2align	6, 0x0
	.amdhsa_kernel _ZN9rocsparseL20bsrxmvn_17_32_kernelILj32EdllfddEEvT2_20rocsparse_direction_NS_24const_host_device_scalarIT0_EES1_PKS1_PKT1_SA_S7_PKT3_PKT4_S5_PT5_21rocsparse_index_base_b
		.amdhsa_group_segment_fixed_size 8192
		.amdhsa_private_segment_fixed_size 0
		.amdhsa_kernarg_size 104
		.amdhsa_user_sgpr_count 15
		.amdhsa_user_sgpr_dispatch_ptr 0
		.amdhsa_user_sgpr_queue_ptr 0
		.amdhsa_user_sgpr_kernarg_segment_ptr 1
		.amdhsa_user_sgpr_dispatch_id 0
		.amdhsa_user_sgpr_private_segment_size 0
		.amdhsa_wavefront_size32 1
		.amdhsa_uses_dynamic_stack 0
		.amdhsa_enable_private_segment 0
		.amdhsa_system_sgpr_workgroup_id_x 1
		.amdhsa_system_sgpr_workgroup_id_y 0
		.amdhsa_system_sgpr_workgroup_id_z 0
		.amdhsa_system_sgpr_workgroup_info 0
		.amdhsa_system_vgpr_workitem_id 0
		.amdhsa_next_free_vgpr 16
		.amdhsa_next_free_sgpr 22
		.amdhsa_reserve_vcc 1
		.amdhsa_float_round_mode_32 0
		.amdhsa_float_round_mode_16_64 0
		.amdhsa_float_denorm_mode_32 3
		.amdhsa_float_denorm_mode_16_64 3
		.amdhsa_dx10_clamp 1
		.amdhsa_ieee_mode 1
		.amdhsa_fp16_overflow 0
		.amdhsa_workgroup_processor_mode 1
		.amdhsa_memory_ordered 1
		.amdhsa_forward_progress 0
		.amdhsa_shared_vgpr_count 0
		.amdhsa_exception_fp_ieee_invalid_op 0
		.amdhsa_exception_fp_denorm_src 0
		.amdhsa_exception_fp_ieee_div_zero 0
		.amdhsa_exception_fp_ieee_overflow 0
		.amdhsa_exception_fp_ieee_underflow 0
		.amdhsa_exception_fp_ieee_inexact 0
		.amdhsa_exception_int_div_zero 0
	.end_amdhsa_kernel
	.section	.text._ZN9rocsparseL20bsrxmvn_17_32_kernelILj32EdllfddEEvT2_20rocsparse_direction_NS_24const_host_device_scalarIT0_EES1_PKS1_PKT1_SA_S7_PKT3_PKT4_S5_PT5_21rocsparse_index_base_b,"axG",@progbits,_ZN9rocsparseL20bsrxmvn_17_32_kernelILj32EdllfddEEvT2_20rocsparse_direction_NS_24const_host_device_scalarIT0_EES1_PKS1_PKT1_SA_S7_PKT3_PKT4_S5_PT5_21rocsparse_index_base_b,comdat
.Lfunc_end527:
	.size	_ZN9rocsparseL20bsrxmvn_17_32_kernelILj32EdllfddEEvT2_20rocsparse_direction_NS_24const_host_device_scalarIT0_EES1_PKS1_PKT1_SA_S7_PKT3_PKT4_S5_PT5_21rocsparse_index_base_b, .Lfunc_end527-_ZN9rocsparseL20bsrxmvn_17_32_kernelILj32EdllfddEEvT2_20rocsparse_direction_NS_24const_host_device_scalarIT0_EES1_PKS1_PKT1_SA_S7_PKT3_PKT4_S5_PT5_21rocsparse_index_base_b
                                        ; -- End function
	.section	.AMDGPU.csdata,"",@progbits
; Kernel info:
; codeLenInByte = 1480
; NumSgprs: 24
; NumVgprs: 16
; ScratchSize: 0
; MemoryBound: 0
; FloatMode: 240
; IeeeMode: 1
; LDSByteSize: 8192 bytes/workgroup (compile time only)
; SGPRBlocks: 2
; VGPRBlocks: 1
; NumSGPRsForWavesPerEU: 24
; NumVGPRsForWavesPerEU: 16
; Occupancy: 16
; WaveLimiterHint : 1
; COMPUTE_PGM_RSRC2:SCRATCH_EN: 0
; COMPUTE_PGM_RSRC2:USER_SGPR: 15
; COMPUTE_PGM_RSRC2:TRAP_HANDLER: 0
; COMPUTE_PGM_RSRC2:TGID_X_EN: 1
; COMPUTE_PGM_RSRC2:TGID_Y_EN: 0
; COMPUTE_PGM_RSRC2:TGID_Z_EN: 0
; COMPUTE_PGM_RSRC2:TIDIG_COMP_CNT: 0
	.section	.text._ZN9rocsparseL20bsrxmvn_17_32_kernelILj17E21rocsparse_complex_numIdEiiS1_IfES2_S2_EEvT2_20rocsparse_direction_NS_24const_host_device_scalarIT0_EES4_PKS4_PKT1_SD_SA_PKT3_PKT4_S8_PT5_21rocsparse_index_base_b,"axG",@progbits,_ZN9rocsparseL20bsrxmvn_17_32_kernelILj17E21rocsparse_complex_numIdEiiS1_IfES2_S2_EEvT2_20rocsparse_direction_NS_24const_host_device_scalarIT0_EES4_PKS4_PKT1_SD_SA_PKT3_PKT4_S8_PT5_21rocsparse_index_base_b,comdat
	.globl	_ZN9rocsparseL20bsrxmvn_17_32_kernelILj17E21rocsparse_complex_numIdEiiS1_IfES2_S2_EEvT2_20rocsparse_direction_NS_24const_host_device_scalarIT0_EES4_PKS4_PKT1_SD_SA_PKT3_PKT4_S8_PT5_21rocsparse_index_base_b ; -- Begin function _ZN9rocsparseL20bsrxmvn_17_32_kernelILj17E21rocsparse_complex_numIdEiiS1_IfES2_S2_EEvT2_20rocsparse_direction_NS_24const_host_device_scalarIT0_EES4_PKS4_PKT1_SD_SA_PKT3_PKT4_S8_PT5_21rocsparse_index_base_b
	.p2align	8
	.type	_ZN9rocsparseL20bsrxmvn_17_32_kernelILj17E21rocsparse_complex_numIdEiiS1_IfES2_S2_EEvT2_20rocsparse_direction_NS_24const_host_device_scalarIT0_EES4_PKS4_PKT1_SD_SA_PKT3_PKT4_S8_PT5_21rocsparse_index_base_b,@function
_ZN9rocsparseL20bsrxmvn_17_32_kernelILj17E21rocsparse_complex_numIdEiiS1_IfES2_S2_EEvT2_20rocsparse_direction_NS_24const_host_device_scalarIT0_EES4_PKS4_PKT1_SD_SA_PKT3_PKT4_S8_PT5_21rocsparse_index_base_b: ; @_ZN9rocsparseL20bsrxmvn_17_32_kernelILj17E21rocsparse_complex_numIdEiiS1_IfES2_S2_EEvT2_20rocsparse_direction_NS_24const_host_device_scalarIT0_EES4_PKS4_PKT1_SD_SA_PKT3_PKT4_S8_PT5_21rocsparse_index_base_b
; %bb.0:
	s_mov_b32 s12, s15
	s_clause 0x1
	s_load_b64 s[14:15], s[2:3], 0x68
	s_load_b128 s[4:7], s[2:3], 0x8
	s_load_b64 s[16:17], s[0:1], 0x4
	s_mov_b64 s[0:1], src_shared_base
	v_and_b32_e32 v4, 0x3ff, v0
	s_load_b128 s[8:11], s[2:3], 0x50
	v_bfe_u32 v2, v0, 10, 10
	v_bfe_u32 v0, v0, 20, 10
	s_waitcnt lgkmcnt(0)
	s_bitcmp1_b32 s15, 0
	v_mov_b32_e32 v12, s7
	s_cselect_b32 s0, -1, 0
	v_mov_b32_e32 v11, s6
	s_and_b32 vcc_lo, s0, exec_lo
	s_cselect_b32 s13, s1, s5
	s_lshr_b32 s15, s16, 16
	v_mov_b32_e32 v6, s13
	s_mul_i32 s15, s15, s17
	s_xor_b32 s6, s0, -1
	v_mul_lo_u32 v1, s15, v4
	s_delay_alu instid0(VALU_DEP_1) | instskip(SKIP_1) | instid1(VALU_DEP_2)
	v_mad_u32_u24 v1, v2, s17, v1
	v_dual_mov_b32 v2, s8 :: v_dual_mov_b32 v3, s9
	v_add_lshl_u32 v7, v1, v0, 3
	v_dual_mov_b32 v0, s4 :: v_dual_mov_b32 v1, s5
	ds_store_b64 v7, v[0:1] offset:6936
	ds_store_b64 v7, v[2:3] offset:4624
	v_add_nc_u32_e32 v5, 0x1b18, v7
	v_add_nc_u32_e32 v0, 0x1210, v7
	s_delay_alu instid0(VALU_DEP_2)
	v_cndmask_b32_e64 v5, s4, v5, s0
	flat_load_b64 v[9:10], v[5:6]
	s_cbranch_vccnz .LBB528_2
; %bb.1:
	v_dual_mov_b32 v1, s4 :: v_dual_mov_b32 v2, s5
	flat_load_b64 v[11:12], v[1:2] offset:8
.LBB528_2:
	s_and_b32 s4, s0, exec_lo
	s_cselect_b32 s1, s1, s9
	v_cndmask_b32_e64 v0, s8, v0, s0
	v_mov_b32_e32 v1, s1
	v_dual_mov_b32 v7, s10 :: v_dual_mov_b32 v8, s11
	s_and_not1_b32 vcc_lo, exec_lo, s6
	flat_load_b64 v[5:6], v[0:1]
	s_cbranch_vccnz .LBB528_4
; %bb.3:
	v_dual_mov_b32 v0, s8 :: v_dual_mov_b32 v1, s9
	flat_load_b64 v[7:8], v[0:1] offset:8
.LBB528_4:
	s_waitcnt vmcnt(1) lgkmcnt(1)
	v_cmp_eq_f64_e32 vcc_lo, 0, v[9:10]
	v_cmp_eq_f64_e64 s0, 0, v[11:12]
	s_delay_alu instid0(VALU_DEP_1)
	s_and_b32 s4, vcc_lo, s0
	s_mov_b32 s0, -1
	s_and_saveexec_b32 s1, s4
	s_cbranch_execz .LBB528_6
; %bb.5:
	s_waitcnt vmcnt(0) lgkmcnt(0)
	v_cmp_neq_f64_e32 vcc_lo, 1.0, v[5:6]
	v_cmp_neq_f64_e64 s0, 0, v[7:8]
	s_delay_alu instid0(VALU_DEP_1) | instskip(NEXT) | instid1(SALU_CYCLE_1)
	s_or_b32 s0, vcc_lo, s0
	s_or_not1_b32 s0, s0, exec_lo
.LBB528_6:
	s_or_b32 exec_lo, exec_lo, s1
	s_and_saveexec_b32 s1, s0
	s_cbranch_execz .LBB528_43
; %bb.7:
	s_clause 0x1
	s_load_b128 s[4:7], s[2:3], 0x20
	s_load_b64 s[0:1], s[2:3], 0x30
	s_waitcnt lgkmcnt(0)
	s_cmp_eq_u64 s[4:5], 0
	s_cbranch_scc1 .LBB528_9
; %bb.8:
	s_ashr_i32 s13, s12, 31
	s_delay_alu instid0(SALU_CYCLE_1) | instskip(NEXT) | instid1(SALU_CYCLE_1)
	s_lshl_b64 s[8:9], s[12:13], 2
	s_add_u32 s4, s4, s8
	s_addc_u32 s5, s5, s9
	s_load_b32 s4, s[4:5], 0x0
	s_waitcnt lgkmcnt(0)
	s_sub_i32 s12, s4, s14
.LBB528_9:
	s_load_b32 s4, s[2:3], 0x4
	v_mul_u32_u24_e32 v0, 0xf10, v4
	v_mov_b32_e32 v2, 0
	v_mov_b32_e32 v3, 0
	s_delay_alu instid0(VALU_DEP_3) | instskip(NEXT) | instid1(VALU_DEP_1)
	v_lshrrev_b32_e32 v13, 16, v0
	v_mul_lo_u16 v0, v13, 17
	s_delay_alu instid0(VALU_DEP_1) | instskip(NEXT) | instid1(VALU_DEP_4)
	v_sub_nc_u16 v18, v4, v0
	v_dual_mov_b32 v0, v2 :: v_dual_mov_b32 v1, v3
	s_waitcnt lgkmcnt(0)
	s_cmp_eq_u32 s4, 1
	s_cselect_b32 vcc_lo, -1, 0
	s_cmp_lg_u32 s4, 1
	s_cselect_b32 s10, -1, 0
	s_ashr_i32 s13, s12, 31
	s_delay_alu instid0(SALU_CYCLE_1) | instskip(NEXT) | instid1(SALU_CYCLE_1)
	s_lshl_b64 s[4:5], s[12:13], 2
	s_add_u32 s6, s6, s4
	s_addc_u32 s7, s7, s5
	s_add_u32 s8, s6, 4
	s_addc_u32 s9, s7, 0
	;; [unrolled: 2-line block ×3, first 2 shown]
	s_cmp_eq_u64 s[0:1], 0
	s_cselect_b32 s1, s9, s5
	s_cselect_b32 s0, s8, s4
	s_load_b32 s11, s[6:7], 0x0
	s_load_b32 s13, s[0:1], 0x0
	s_load_b64 s[8:9], s[2:3], 0x60
	s_waitcnt lgkmcnt(0)
	s_cmp_ge_i32 s11, s13
	s_cbranch_scc1 .LBB528_14
; %bb.10:
	v_mul_lo_u16 v0, v13, 31
	s_clause 0x1
	s_load_b128 s[4:7], s[2:3], 0x38
	s_load_b64 s[0:1], s[2:3], 0x48
	v_dual_mov_b32 v2, 0 :: v_dual_and_b32 v1, 0xffff, v4
	v_lshrrev_b16 v0, 9, v0
	s_sub_i32 s3, s11, s14
	v_dual_mov_b32 v3, 0 :: v_dual_lshlrev_b32 v14, 3, v4
	s_sub_i32 s2, s13, s14
	s_delay_alu instid0(VALU_DEP_2)
	v_mul_lo_u16 v0, v0, 17
	v_and_b32_e32 v15, 0xffff, v18
	v_mul_u32_u24_e32 v1, 0xe3, v1
	s_mul_i32 s13, s3, 0x908
	s_mul_hi_i32 s11, s3, 0x908
	v_sub_nc_u16 v0, v13, v0
	s_delay_alu instid0(VALU_DEP_2) | instskip(NEXT) | instid1(VALU_DEP_2)
	v_lshrrev_b32_e32 v19, 16, v1
	v_and_b32_e32 v0, 0xff, v0
	s_waitcnt lgkmcnt(0)
	s_add_u32 s6, s6, s13
	s_addc_u32 s7, s7, s11
	v_add_co_u32 v13, s6, s6, v14
	v_dual_cndmask_b32 v15, v15, v0 :: v_dual_mov_b32 v0, v2
	v_mov_b32_e32 v1, v3
	v_add_co_ci_u32_e64 v14, null, s7, 0, s6
	s_set_inst_prefetch_distance 0x1
	s_branch .LBB528_12
	.p2align	6
.LBB528_11:                             ;   in Loop: Header=BB528_12 Depth=1
	s_or_b32 exec_lo, exec_lo, s6
	s_add_i32 s3, s3, 1
	s_delay_alu instid0(SALU_CYCLE_1)
	s_cmp_lt_i32 s3, s2
	s_cbranch_scc0 .LBB528_14
.LBB528_12:                             ; =>This Inner Loop Header: Depth=1
	v_add_nc_u32_e32 v16, s3, v19
	s_mov_b32 s6, exec_lo
	s_delay_alu instid0(VALU_DEP_1)
	v_cmpx_gt_i32_e64 s2, v16
	s_cbranch_execz .LBB528_11
; %bb.13:                               ;   in Loop: Header=BB528_12 Depth=1
	v_ashrrev_i32_e32 v17, 31, v16
	s_delay_alu instid0(VALU_DEP_1) | instskip(NEXT) | instid1(VALU_DEP_1)
	v_lshlrev_b64 v[16:17], 2, v[16:17]
	v_add_co_u32 v16, vcc_lo, s4, v16
	s_delay_alu instid0(VALU_DEP_2)
	v_add_co_ci_u32_e32 v17, vcc_lo, s5, v17, vcc_lo
	global_load_b32 v20, v[16:17], off
	global_load_b64 v[16:17], v[13:14], off
	s_waitcnt vmcnt(1)
	v_subrev_nc_u32_e32 v22, s14, v20
	s_waitcnt vmcnt(0)
	v_cvt_f64_f32_e32 v[24:25], v16
	s_delay_alu instid0(VALU_DEP_2) | instskip(SKIP_1) | instid1(VALU_DEP_2)
	v_mad_u64_u32 v[20:21], null, v22, 17, v[15:16]
	v_cvt_f64_f32_e32 v[16:17], v17
	v_ashrrev_i32_e32 v21, 31, v20
	s_delay_alu instid0(VALU_DEP_1) | instskip(NEXT) | instid1(VALU_DEP_1)
	v_lshlrev_b64 v[20:21], 4, v[20:21]
	v_add_co_u32 v20, vcc_lo, s0, v20
	s_delay_alu instid0(VALU_DEP_2)
	v_add_co_ci_u32_e32 v21, vcc_lo, s1, v21, vcc_lo
	v_add_co_u32 v13, vcc_lo, 0x908, v13
	v_add_co_ci_u32_e32 v14, vcc_lo, 0, v14, vcc_lo
	global_load_b128 v[20:23], v[20:21], off
	s_waitcnt vmcnt(0)
	v_fma_f64 v[0:1], v[24:25], v[20:21], v[0:1]
	v_fma_f64 v[2:3], v[16:17], v[20:21], v[2:3]
	s_delay_alu instid0(VALU_DEP_2) | instskip(NEXT) | instid1(VALU_DEP_2)
	v_fma_f64 v[0:1], -v[16:17], v[22:23], v[0:1]
	v_fma_f64 v[2:3], v[24:25], v[22:23], v[2:3]
	s_branch .LBB528_11
.LBB528_14:
	s_set_inst_prefetch_distance 0x2
	v_lshlrev_b32_e32 v17, 4, v4
	s_and_b32 vcc_lo, exec_lo, s10
	ds_store_b128 v17, v[0:3]
	s_waitcnt vmcnt(0) lgkmcnt(0)
	s_barrier
	buffer_gl0_inv
	s_cbranch_vccz .LBB528_26
; %bb.15:
	s_mov_b32 s0, exec_lo
	v_cmpx_eq_u16_e32 0, v18
	s_cbranch_execz .LBB528_17
; %bb.16:
	ds_load_b128 v[13:16], v17 offset:256
	ds_load_b128 v[19:22], v17
	s_waitcnt lgkmcnt(0)
	v_add_f64 v[13:14], v[13:14], v[19:20]
	v_add_f64 v[15:16], v[15:16], v[21:22]
	ds_store_b128 v17, v[13:16]
.LBB528_17:
	s_or_b32 exec_lo, exec_lo, s0
	s_delay_alu instid0(SALU_CYCLE_1)
	s_mov_b32 s0, exec_lo
	s_waitcnt lgkmcnt(0)
	s_barrier
	buffer_gl0_inv
	v_cmpx_gt_u16_e32 8, v18
	s_cbranch_execz .LBB528_19
; %bb.18:
	ds_load_b128 v[13:16], v17 offset:128
	ds_load_b128 v[19:22], v17
	s_waitcnt lgkmcnt(0)
	v_add_f64 v[13:14], v[13:14], v[19:20]
	v_add_f64 v[15:16], v[15:16], v[21:22]
	ds_store_b128 v17, v[13:16]
.LBB528_19:
	s_or_b32 exec_lo, exec_lo, s0
	s_delay_alu instid0(SALU_CYCLE_1)
	s_mov_b32 s0, exec_lo
	s_waitcnt lgkmcnt(0)
	s_barrier
	buffer_gl0_inv
	v_cmpx_gt_u16_e32 4, v18
	;; [unrolled: 16-line block ×3, first 2 shown]
	s_cbranch_execz .LBB528_23
; %bb.22:
	ds_load_b128 v[13:16], v17
	ds_load_b128 v[18:21], v17 offset:32
	s_waitcnt lgkmcnt(0)
	v_add_f64 v[13:14], v[18:19], v[13:14]
	v_add_f64 v[15:16], v[20:21], v[15:16]
	ds_store_b128 v17, v[13:16]
.LBB528_23:
	s_or_b32 exec_lo, exec_lo, s0
	v_dual_mov_b32 v16, v3 :: v_dual_mov_b32 v15, v2
	v_dual_mov_b32 v14, v1 :: v_dual_mov_b32 v13, v0
	s_mov_b32 s0, exec_lo
	s_waitcnt lgkmcnt(0)
	s_barrier
	buffer_gl0_inv
	v_cmpx_gt_u32_e32 17, v4
	s_cbranch_execz .LBB528_25
; %bb.24:
	v_mul_u32_u24_e32 v13, 17, v4
	s_delay_alu instid0(VALU_DEP_1)
	v_lshlrev_b32_e32 v18, 4, v13
	ds_load_b128 v[13:16], v18
	ds_load_b128 v[18:21], v18 offset:16
	s_waitcnt lgkmcnt(0)
	v_add_f64 v[13:14], v[18:19], v[13:14]
	v_add_f64 v[15:16], v[20:21], v[15:16]
.LBB528_25:
	s_or_b32 exec_lo, exec_lo, s0
	v_cmp_gt_u32_e64 s0, 17, v4
	s_branch .LBB528_38
.LBB528_26:
                                        ; implicit-def: $vgpr15_vgpr16
                                        ; implicit-def: $vgpr13_vgpr14
	v_cmp_gt_u32_e64 s0, 17, v4
	s_cbranch_execz .LBB528_38
; %bb.27:
	s_delay_alu instid0(VALU_DEP_1)
	s_and_saveexec_b32 s1, s0
	s_cbranch_execz .LBB528_29
; %bb.28:
	ds_load_b128 v[13:16], v17 offset:4352
	ds_load_b128 v[18:21], v17
	s_waitcnt lgkmcnt(0)
	v_add_f64 v[13:14], v[13:14], v[18:19]
	v_add_f64 v[15:16], v[15:16], v[20:21]
	ds_store_b128 v17, v[13:16]
.LBB528_29:
	s_or_b32 exec_lo, exec_lo, s1
	s_delay_alu instid0(SALU_CYCLE_1)
	s_mov_b32 s1, exec_lo
	s_waitcnt lgkmcnt(0)
	s_barrier
	buffer_gl0_inv
	v_cmpx_gt_u32_e32 0x88, v4
	s_cbranch_execz .LBB528_31
; %bb.30:
	ds_load_b128 v[13:16], v17 offset:2176
	ds_load_b128 v[18:21], v17
	s_waitcnt lgkmcnt(0)
	v_add_f64 v[13:14], v[13:14], v[18:19]
	v_add_f64 v[15:16], v[15:16], v[20:21]
	ds_store_b128 v17, v[13:16]
.LBB528_31:
	s_or_b32 exec_lo, exec_lo, s1
	s_delay_alu instid0(SALU_CYCLE_1)
	s_mov_b32 s1, exec_lo
	s_waitcnt lgkmcnt(0)
	s_barrier
	buffer_gl0_inv
	v_cmpx_gt_u32_e32 0x44, v4
	s_cbranch_execz .LBB528_33
; %bb.32:
	ds_load_b128 v[13:16], v17 offset:1088
	ds_load_b128 v[18:21], v17
	s_waitcnt lgkmcnt(0)
	v_add_f64 v[13:14], v[13:14], v[18:19]
	v_add_f64 v[15:16], v[15:16], v[20:21]
	ds_store_b128 v17, v[13:16]
.LBB528_33:
	s_or_b32 exec_lo, exec_lo, s1
	s_delay_alu instid0(SALU_CYCLE_1)
	s_mov_b32 s1, exec_lo
	s_waitcnt lgkmcnt(0)
	s_barrier
	buffer_gl0_inv
	v_cmpx_gt_u32_e32 34, v4
	s_cbranch_execz .LBB528_35
; %bb.34:
	ds_load_b128 v[13:16], v17 offset:544
	ds_load_b128 v[18:21], v17
	s_waitcnt lgkmcnt(0)
	v_add_f64 v[13:14], v[13:14], v[18:19]
	v_add_f64 v[15:16], v[15:16], v[20:21]
	ds_store_b128 v17, v[13:16]
.LBB528_35:
	s_or_b32 exec_lo, exec_lo, s1
	s_waitcnt lgkmcnt(0)
	buffer_gl0_inv
	s_and_saveexec_b32 s1, s0
	s_cbranch_execz .LBB528_37
; %bb.36:
	ds_load_b128 v[0:3], v17 offset:272
	ds_load_b128 v[13:16], v17
	s_waitcnt lgkmcnt(0)
	v_add_f64 v[0:1], v[0:1], v[13:14]
	v_add_f64 v[2:3], v[2:3], v[15:16]
.LBB528_37:
	s_or_b32 exec_lo, exec_lo, s1
	s_delay_alu instid0(VALU_DEP_1) | instskip(NEXT) | instid1(VALU_DEP_3)
	v_dual_mov_b32 v16, v3 :: v_dual_mov_b32 v15, v2
	v_dual_mov_b32 v14, v1 :: v_dual_mov_b32 v13, v0
.LBB528_38:
	v_cmp_gt_u32_e32 vcc_lo, 17, v4
	s_and_b32 exec_lo, exec_lo, vcc_lo
	s_cbranch_execz .LBB528_43
; %bb.39:
	s_delay_alu instid0(VALU_DEP_3) | instskip(SKIP_3) | instid1(VALU_DEP_4)
	v_mul_f64 v[0:1], v[15:16], -v[11:12]
	v_mul_f64 v[2:3], v[9:10], v[15:16]
	v_cmp_eq_f64_e32 vcc_lo, 0, v[5:6]
	v_cmp_eq_f64_e64 s0, 0, v[7:8]
	v_fma_f64 v[0:1], v[9:10], v[13:14], v[0:1]
	s_delay_alu instid0(VALU_DEP_4) | instskip(NEXT) | instid1(VALU_DEP_3)
	v_fma_f64 v[2:3], v[11:12], v[13:14], v[2:3]
	s_and_b32 s0, vcc_lo, s0
	s_delay_alu instid0(SALU_CYCLE_1) | instskip(NEXT) | instid1(SALU_CYCLE_1)
	s_and_saveexec_b32 s1, s0
	s_xor_b32 s0, exec_lo, s1
	s_cbranch_execz .LBB528_41
; %bb.40:
	v_mad_u64_u32 v[5:6], null, s12, 17, v[4:5]
	v_mov_b32_e32 v6, 0
                                        ; implicit-def: $vgpr7_vgpr8
	s_delay_alu instid0(VALU_DEP_1) | instskip(NEXT) | instid1(VALU_DEP_1)
	v_lshlrev_b64 v[4:5], 4, v[5:6]
	v_add_co_u32 v4, vcc_lo, s8, v4
	s_delay_alu instid0(VALU_DEP_2)
	v_add_co_ci_u32_e32 v5, vcc_lo, s9, v5, vcc_lo
	global_store_b128 v[4:5], v[0:3], off
                                        ; implicit-def: $vgpr4
                                        ; implicit-def: $vgpr5_vgpr6
                                        ; implicit-def: $vgpr0_vgpr1
.LBB528_41:
	s_and_not1_saveexec_b32 s0, s0
	s_cbranch_execz .LBB528_43
; %bb.42:
	v_mad_u64_u32 v[9:10], null, s12, 17, v[4:5]
	v_mov_b32_e32 v10, 0
	s_delay_alu instid0(VALU_DEP_1) | instskip(NEXT) | instid1(VALU_DEP_1)
	v_lshlrev_b64 v[9:10], 4, v[9:10]
	v_add_co_u32 v13, vcc_lo, s8, v9
	s_delay_alu instid0(VALU_DEP_2) | instskip(SKIP_4) | instid1(VALU_DEP_2)
	v_add_co_ci_u32_e32 v14, vcc_lo, s9, v10, vcc_lo
	global_load_b128 v[9:12], v[13:14], off
	s_waitcnt vmcnt(0)
	v_fma_f64 v[0:1], v[5:6], v[9:10], v[0:1]
	v_fma_f64 v[2:3], v[7:8], v[9:10], v[2:3]
	v_fma_f64 v[0:1], -v[7:8], v[11:12], v[0:1]
	s_delay_alu instid0(VALU_DEP_2)
	v_fma_f64 v[2:3], v[5:6], v[11:12], v[2:3]
	global_store_b128 v[13:14], v[0:3], off
.LBB528_43:
	s_nop 0
	s_sendmsg sendmsg(MSG_DEALLOC_VGPRS)
	s_endpgm
	.section	.rodata,"a",@progbits
	.p2align	6, 0x0
	.amdhsa_kernel _ZN9rocsparseL20bsrxmvn_17_32_kernelILj17E21rocsparse_complex_numIdEiiS1_IfES2_S2_EEvT2_20rocsparse_direction_NS_24const_host_device_scalarIT0_EES4_PKS4_PKT1_SD_SA_PKT3_PKT4_S8_PT5_21rocsparse_index_base_b
		.amdhsa_group_segment_fixed_size 9248
		.amdhsa_private_segment_fixed_size 0
		.amdhsa_kernarg_size 112
		.amdhsa_user_sgpr_count 15
		.amdhsa_user_sgpr_dispatch_ptr 1
		.amdhsa_user_sgpr_queue_ptr 0
		.amdhsa_user_sgpr_kernarg_segment_ptr 1
		.amdhsa_user_sgpr_dispatch_id 0
		.amdhsa_user_sgpr_private_segment_size 0
		.amdhsa_wavefront_size32 1
		.amdhsa_uses_dynamic_stack 0
		.amdhsa_enable_private_segment 0
		.amdhsa_system_sgpr_workgroup_id_x 1
		.amdhsa_system_sgpr_workgroup_id_y 0
		.amdhsa_system_sgpr_workgroup_id_z 0
		.amdhsa_system_sgpr_workgroup_info 0
		.amdhsa_system_vgpr_workitem_id 2
		.amdhsa_next_free_vgpr 26
		.amdhsa_next_free_sgpr 18
		.amdhsa_reserve_vcc 1
		.amdhsa_float_round_mode_32 0
		.amdhsa_float_round_mode_16_64 0
		.amdhsa_float_denorm_mode_32 3
		.amdhsa_float_denorm_mode_16_64 3
		.amdhsa_dx10_clamp 1
		.amdhsa_ieee_mode 1
		.amdhsa_fp16_overflow 0
		.amdhsa_workgroup_processor_mode 1
		.amdhsa_memory_ordered 1
		.amdhsa_forward_progress 0
		.amdhsa_shared_vgpr_count 0
		.amdhsa_exception_fp_ieee_invalid_op 0
		.amdhsa_exception_fp_denorm_src 0
		.amdhsa_exception_fp_ieee_div_zero 0
		.amdhsa_exception_fp_ieee_overflow 0
		.amdhsa_exception_fp_ieee_underflow 0
		.amdhsa_exception_fp_ieee_inexact 0
		.amdhsa_exception_int_div_zero 0
	.end_amdhsa_kernel
	.section	.text._ZN9rocsparseL20bsrxmvn_17_32_kernelILj17E21rocsparse_complex_numIdEiiS1_IfES2_S2_EEvT2_20rocsparse_direction_NS_24const_host_device_scalarIT0_EES4_PKS4_PKT1_SD_SA_PKT3_PKT4_S8_PT5_21rocsparse_index_base_b,"axG",@progbits,_ZN9rocsparseL20bsrxmvn_17_32_kernelILj17E21rocsparse_complex_numIdEiiS1_IfES2_S2_EEvT2_20rocsparse_direction_NS_24const_host_device_scalarIT0_EES4_PKS4_PKT1_SD_SA_PKT3_PKT4_S8_PT5_21rocsparse_index_base_b,comdat
.Lfunc_end528:
	.size	_ZN9rocsparseL20bsrxmvn_17_32_kernelILj17E21rocsparse_complex_numIdEiiS1_IfES2_S2_EEvT2_20rocsparse_direction_NS_24const_host_device_scalarIT0_EES4_PKS4_PKT1_SD_SA_PKT3_PKT4_S8_PT5_21rocsparse_index_base_b, .Lfunc_end528-_ZN9rocsparseL20bsrxmvn_17_32_kernelILj17E21rocsparse_complex_numIdEiiS1_IfES2_S2_EEvT2_20rocsparse_direction_NS_24const_host_device_scalarIT0_EES4_PKS4_PKT1_SD_SA_PKT3_PKT4_S8_PT5_21rocsparse_index_base_b
                                        ; -- End function
	.section	.AMDGPU.csdata,"",@progbits
; Kernel info:
; codeLenInByte = 2096
; NumSgprs: 20
; NumVgprs: 26
; ScratchSize: 0
; MemoryBound: 0
; FloatMode: 240
; IeeeMode: 1
; LDSByteSize: 9248 bytes/workgroup (compile time only)
; SGPRBlocks: 2
; VGPRBlocks: 3
; NumSGPRsForWavesPerEU: 20
; NumVGPRsForWavesPerEU: 26
; Occupancy: 15
; WaveLimiterHint : 1
; COMPUTE_PGM_RSRC2:SCRATCH_EN: 0
; COMPUTE_PGM_RSRC2:USER_SGPR: 15
; COMPUTE_PGM_RSRC2:TRAP_HANDLER: 0
; COMPUTE_PGM_RSRC2:TGID_X_EN: 1
; COMPUTE_PGM_RSRC2:TGID_Y_EN: 0
; COMPUTE_PGM_RSRC2:TGID_Z_EN: 0
; COMPUTE_PGM_RSRC2:TIDIG_COMP_CNT: 2
	.section	.text._ZN9rocsparseL20bsrxmvn_17_32_kernelILj18E21rocsparse_complex_numIdEiiS1_IfES2_S2_EEvT2_20rocsparse_direction_NS_24const_host_device_scalarIT0_EES4_PKS4_PKT1_SD_SA_PKT3_PKT4_S8_PT5_21rocsparse_index_base_b,"axG",@progbits,_ZN9rocsparseL20bsrxmvn_17_32_kernelILj18E21rocsparse_complex_numIdEiiS1_IfES2_S2_EEvT2_20rocsparse_direction_NS_24const_host_device_scalarIT0_EES4_PKS4_PKT1_SD_SA_PKT3_PKT4_S8_PT5_21rocsparse_index_base_b,comdat
	.globl	_ZN9rocsparseL20bsrxmvn_17_32_kernelILj18E21rocsparse_complex_numIdEiiS1_IfES2_S2_EEvT2_20rocsparse_direction_NS_24const_host_device_scalarIT0_EES4_PKS4_PKT1_SD_SA_PKT3_PKT4_S8_PT5_21rocsparse_index_base_b ; -- Begin function _ZN9rocsparseL20bsrxmvn_17_32_kernelILj18E21rocsparse_complex_numIdEiiS1_IfES2_S2_EEvT2_20rocsparse_direction_NS_24const_host_device_scalarIT0_EES4_PKS4_PKT1_SD_SA_PKT3_PKT4_S8_PT5_21rocsparse_index_base_b
	.p2align	8
	.type	_ZN9rocsparseL20bsrxmvn_17_32_kernelILj18E21rocsparse_complex_numIdEiiS1_IfES2_S2_EEvT2_20rocsparse_direction_NS_24const_host_device_scalarIT0_EES4_PKS4_PKT1_SD_SA_PKT3_PKT4_S8_PT5_21rocsparse_index_base_b,@function
_ZN9rocsparseL20bsrxmvn_17_32_kernelILj18E21rocsparse_complex_numIdEiiS1_IfES2_S2_EEvT2_20rocsparse_direction_NS_24const_host_device_scalarIT0_EES4_PKS4_PKT1_SD_SA_PKT3_PKT4_S8_PT5_21rocsparse_index_base_b: ; @_ZN9rocsparseL20bsrxmvn_17_32_kernelILj18E21rocsparse_complex_numIdEiiS1_IfES2_S2_EEvT2_20rocsparse_direction_NS_24const_host_device_scalarIT0_EES4_PKS4_PKT1_SD_SA_PKT3_PKT4_S8_PT5_21rocsparse_index_base_b
; %bb.0:
	s_mov_b32 s12, s15
	s_clause 0x1
	s_load_b64 s[14:15], s[2:3], 0x68
	s_load_b128 s[4:7], s[2:3], 0x8
	s_load_b64 s[16:17], s[0:1], 0x4
	s_mov_b64 s[0:1], src_shared_base
	v_and_b32_e32 v4, 0x3ff, v0
	s_load_b128 s[8:11], s[2:3], 0x50
	v_bfe_u32 v2, v0, 10, 10
	v_bfe_u32 v0, v0, 20, 10
	s_waitcnt lgkmcnt(0)
	s_bitcmp1_b32 s15, 0
	v_mov_b32_e32 v12, s7
	s_cselect_b32 s0, -1, 0
	v_mov_b32_e32 v11, s6
	s_and_b32 vcc_lo, s0, exec_lo
	s_cselect_b32 s13, s1, s5
	s_lshr_b32 s15, s16, 16
	v_mov_b32_e32 v6, s13
	s_mul_i32 s15, s15, s17
	s_xor_b32 s6, s0, -1
	v_mul_lo_u32 v1, s15, v4
	s_delay_alu instid0(VALU_DEP_1) | instskip(SKIP_1) | instid1(VALU_DEP_2)
	v_mad_u32_u24 v1, v2, s17, v1
	v_dual_mov_b32 v2, s8 :: v_dual_mov_b32 v3, s9
	v_add_lshl_u32 v7, v1, v0, 3
	v_dual_mov_b32 v0, s4 :: v_dual_mov_b32 v1, s5
	ds_store_b64 v7, v[0:1] offset:7776
	ds_store_b64 v7, v[2:3] offset:5184
	v_add_nc_u32_e32 v5, 0x1e60, v7
	v_add_nc_u32_e32 v0, 0x1440, v7
	s_delay_alu instid0(VALU_DEP_2)
	v_cndmask_b32_e64 v5, s4, v5, s0
	flat_load_b64 v[9:10], v[5:6]
	s_cbranch_vccnz .LBB529_2
; %bb.1:
	v_dual_mov_b32 v1, s4 :: v_dual_mov_b32 v2, s5
	flat_load_b64 v[11:12], v[1:2] offset:8
.LBB529_2:
	s_and_b32 s4, s0, exec_lo
	s_cselect_b32 s1, s1, s9
	v_cndmask_b32_e64 v0, s8, v0, s0
	v_mov_b32_e32 v1, s1
	v_dual_mov_b32 v7, s10 :: v_dual_mov_b32 v8, s11
	s_and_not1_b32 vcc_lo, exec_lo, s6
	flat_load_b64 v[5:6], v[0:1]
	s_cbranch_vccnz .LBB529_4
; %bb.3:
	v_dual_mov_b32 v0, s8 :: v_dual_mov_b32 v1, s9
	flat_load_b64 v[7:8], v[0:1] offset:8
.LBB529_4:
	s_waitcnt vmcnt(1) lgkmcnt(1)
	v_cmp_eq_f64_e32 vcc_lo, 0, v[9:10]
	v_cmp_eq_f64_e64 s0, 0, v[11:12]
	s_delay_alu instid0(VALU_DEP_1)
	s_and_b32 s4, vcc_lo, s0
	s_mov_b32 s0, -1
	s_and_saveexec_b32 s1, s4
	s_cbranch_execz .LBB529_6
; %bb.5:
	s_waitcnt vmcnt(0) lgkmcnt(0)
	v_cmp_neq_f64_e32 vcc_lo, 1.0, v[5:6]
	v_cmp_neq_f64_e64 s0, 0, v[7:8]
	s_delay_alu instid0(VALU_DEP_1) | instskip(NEXT) | instid1(SALU_CYCLE_1)
	s_or_b32 s0, vcc_lo, s0
	s_or_not1_b32 s0, s0, exec_lo
.LBB529_6:
	s_or_b32 exec_lo, exec_lo, s1
	s_and_saveexec_b32 s1, s0
	s_cbranch_execz .LBB529_43
; %bb.7:
	s_clause 0x1
	s_load_b128 s[4:7], s[2:3], 0x20
	s_load_b64 s[0:1], s[2:3], 0x30
	s_waitcnt lgkmcnt(0)
	s_cmp_eq_u64 s[4:5], 0
	s_cbranch_scc1 .LBB529_9
; %bb.8:
	s_ashr_i32 s13, s12, 31
	s_delay_alu instid0(SALU_CYCLE_1) | instskip(NEXT) | instid1(SALU_CYCLE_1)
	s_lshl_b64 s[8:9], s[12:13], 2
	s_add_u32 s4, s4, s8
	s_addc_u32 s5, s5, s9
	s_load_b32 s4, s[4:5], 0x0
	s_waitcnt lgkmcnt(0)
	s_sub_i32 s12, s4, s14
.LBB529_9:
	s_load_b32 s4, s[2:3], 0x4
	v_mul_u32_u24_e32 v0, 0xe39, v4
	v_mov_b32_e32 v2, 0
	v_mov_b32_e32 v3, 0
	s_delay_alu instid0(VALU_DEP_3) | instskip(NEXT) | instid1(VALU_DEP_1)
	v_lshrrev_b32_e32 v13, 16, v0
	v_mul_lo_u16 v0, v13, 18
	s_delay_alu instid0(VALU_DEP_1) | instskip(NEXT) | instid1(VALU_DEP_4)
	v_sub_nc_u16 v18, v4, v0
	v_dual_mov_b32 v0, v2 :: v_dual_mov_b32 v1, v3
	s_waitcnt lgkmcnt(0)
	s_cmp_eq_u32 s4, 1
	s_cselect_b32 vcc_lo, -1, 0
	s_cmp_lg_u32 s4, 1
	s_cselect_b32 s10, -1, 0
	s_ashr_i32 s13, s12, 31
	s_delay_alu instid0(SALU_CYCLE_1) | instskip(NEXT) | instid1(SALU_CYCLE_1)
	s_lshl_b64 s[4:5], s[12:13], 2
	s_add_u32 s6, s6, s4
	s_addc_u32 s7, s7, s5
	s_add_u32 s8, s6, 4
	s_addc_u32 s9, s7, 0
	s_add_u32 s4, s0, s4
	s_addc_u32 s5, s1, s5
	s_cmp_eq_u64 s[0:1], 0
	s_cselect_b32 s1, s9, s5
	s_cselect_b32 s0, s8, s4
	s_load_b32 s11, s[6:7], 0x0
	s_load_b32 s13, s[0:1], 0x0
	s_load_b64 s[8:9], s[2:3], 0x60
	s_waitcnt lgkmcnt(0)
	s_cmp_ge_i32 s11, s13
	s_cbranch_scc1 .LBB529_14
; %bb.10:
	v_mul_lo_u16 v0, v13, 15
	s_clause 0x1
	s_load_b128 s[4:7], s[2:3], 0x38
	s_load_b64 s[0:1], s[2:3], 0x48
	v_dual_mov_b32 v2, 0 :: v_dual_and_b32 v1, 0xffff, v4
	v_lshrrev_b16 v0, 8, v0
	s_sub_i32 s3, s11, s14
	v_dual_mov_b32 v3, 0 :: v_dual_lshlrev_b32 v14, 3, v4
	s_sub_i32 s2, s13, s14
	s_delay_alu instid0(VALU_DEP_2)
	v_mul_lo_u16 v0, v0, 18
	v_and_b32_e32 v15, 0xffff, v18
	v_mul_u32_u24_e32 v1, 0x195, v1
	s_mul_i32 s13, s3, 0xa20
	s_mul_hi_i32 s11, s3, 0xa20
	v_sub_nc_u16 v0, v13, v0
	s_delay_alu instid0(VALU_DEP_2) | instskip(NEXT) | instid1(VALU_DEP_2)
	v_lshrrev_b32_e32 v19, 17, v1
	v_and_b32_e32 v0, 0xff, v0
	s_waitcnt lgkmcnt(0)
	s_add_u32 s6, s6, s13
	s_addc_u32 s7, s7, s11
	v_add_co_u32 v13, s6, s6, v14
	v_dual_cndmask_b32 v15, v15, v0 :: v_dual_mov_b32 v0, v2
	v_mov_b32_e32 v1, v3
	v_add_co_ci_u32_e64 v14, null, s7, 0, s6
	s_set_inst_prefetch_distance 0x1
	s_branch .LBB529_12
	.p2align	6
.LBB529_11:                             ;   in Loop: Header=BB529_12 Depth=1
	s_or_b32 exec_lo, exec_lo, s6
	s_add_i32 s3, s3, 1
	s_delay_alu instid0(SALU_CYCLE_1)
	s_cmp_lt_i32 s3, s2
	s_cbranch_scc0 .LBB529_14
.LBB529_12:                             ; =>This Inner Loop Header: Depth=1
	v_add_nc_u32_e32 v16, s3, v19
	s_mov_b32 s6, exec_lo
	s_delay_alu instid0(VALU_DEP_1)
	v_cmpx_gt_i32_e64 s2, v16
	s_cbranch_execz .LBB529_11
; %bb.13:                               ;   in Loop: Header=BB529_12 Depth=1
	v_ashrrev_i32_e32 v17, 31, v16
	s_delay_alu instid0(VALU_DEP_1) | instskip(NEXT) | instid1(VALU_DEP_1)
	v_lshlrev_b64 v[16:17], 2, v[16:17]
	v_add_co_u32 v16, vcc_lo, s4, v16
	s_delay_alu instid0(VALU_DEP_2)
	v_add_co_ci_u32_e32 v17, vcc_lo, s5, v17, vcc_lo
	global_load_b32 v20, v[16:17], off
	global_load_b64 v[16:17], v[13:14], off
	s_waitcnt vmcnt(1)
	v_subrev_nc_u32_e32 v22, s14, v20
	s_waitcnt vmcnt(0)
	v_cvt_f64_f32_e32 v[24:25], v16
	s_delay_alu instid0(VALU_DEP_2) | instskip(SKIP_1) | instid1(VALU_DEP_2)
	v_mad_u64_u32 v[20:21], null, v22, 18, v[15:16]
	v_cvt_f64_f32_e32 v[16:17], v17
	v_ashrrev_i32_e32 v21, 31, v20
	s_delay_alu instid0(VALU_DEP_1) | instskip(NEXT) | instid1(VALU_DEP_1)
	v_lshlrev_b64 v[20:21], 4, v[20:21]
	v_add_co_u32 v20, vcc_lo, s0, v20
	s_delay_alu instid0(VALU_DEP_2)
	v_add_co_ci_u32_e32 v21, vcc_lo, s1, v21, vcc_lo
	v_add_co_u32 v13, vcc_lo, 0xa20, v13
	v_add_co_ci_u32_e32 v14, vcc_lo, 0, v14, vcc_lo
	global_load_b128 v[20:23], v[20:21], off
	s_waitcnt vmcnt(0)
	v_fma_f64 v[0:1], v[24:25], v[20:21], v[0:1]
	v_fma_f64 v[2:3], v[16:17], v[20:21], v[2:3]
	s_delay_alu instid0(VALU_DEP_2) | instskip(NEXT) | instid1(VALU_DEP_2)
	v_fma_f64 v[0:1], -v[16:17], v[22:23], v[0:1]
	v_fma_f64 v[2:3], v[24:25], v[22:23], v[2:3]
	s_branch .LBB529_11
.LBB529_14:
	s_set_inst_prefetch_distance 0x2
	v_lshlrev_b32_e32 v17, 4, v4
	s_and_b32 vcc_lo, exec_lo, s10
	ds_store_b128 v17, v[0:3]
	s_waitcnt vmcnt(0) lgkmcnt(0)
	s_barrier
	buffer_gl0_inv
	s_cbranch_vccz .LBB529_26
; %bb.15:
	v_cmp_gt_u16_e32 vcc_lo, 2, v18
	s_and_saveexec_b32 s0, vcc_lo
	s_cbranch_execz .LBB529_17
; %bb.16:
	ds_load_b128 v[13:16], v17 offset:256
	ds_load_b128 v[19:22], v17
	s_waitcnt lgkmcnt(0)
	v_add_f64 v[13:14], v[13:14], v[19:20]
	v_add_f64 v[15:16], v[15:16], v[21:22]
	ds_store_b128 v17, v[13:16]
.LBB529_17:
	s_or_b32 exec_lo, exec_lo, s0
	s_delay_alu instid0(SALU_CYCLE_1)
	s_mov_b32 s1, exec_lo
	s_waitcnt lgkmcnt(0)
	s_barrier
	buffer_gl0_inv
	v_cmpx_gt_u16_e32 8, v18
	s_cbranch_execz .LBB529_19
; %bb.18:
	ds_load_b128 v[13:16], v17 offset:128
	ds_load_b128 v[19:22], v17
	s_waitcnt lgkmcnt(0)
	v_add_f64 v[13:14], v[13:14], v[19:20]
	v_add_f64 v[15:16], v[15:16], v[21:22]
	ds_store_b128 v17, v[13:16]
.LBB529_19:
	s_or_b32 exec_lo, exec_lo, s1
	s_delay_alu instid0(SALU_CYCLE_1)
	s_mov_b32 s1, exec_lo
	s_waitcnt lgkmcnt(0)
	s_barrier
	buffer_gl0_inv
	v_cmpx_gt_u16_e32 4, v18
	s_cbranch_execz .LBB529_21
; %bb.20:
	ds_load_b128 v[13:16], v17 offset:64
	ds_load_b128 v[18:21], v17
	s_waitcnt lgkmcnt(0)
	v_add_f64 v[13:14], v[13:14], v[18:19]
	v_add_f64 v[15:16], v[15:16], v[20:21]
	ds_store_b128 v17, v[13:16]
.LBB529_21:
	s_or_b32 exec_lo, exec_lo, s1
	s_waitcnt lgkmcnt(0)
	s_barrier
	buffer_gl0_inv
	s_and_saveexec_b32 s0, vcc_lo
	s_cbranch_execz .LBB529_23
; %bb.22:
	ds_load_b128 v[13:16], v17
	ds_load_b128 v[18:21], v17 offset:32
	s_waitcnt lgkmcnt(0)
	v_add_f64 v[13:14], v[18:19], v[13:14]
	v_add_f64 v[15:16], v[20:21], v[15:16]
	ds_store_b128 v17, v[13:16]
.LBB529_23:
	s_or_b32 exec_lo, exec_lo, s0
	v_dual_mov_b32 v16, v3 :: v_dual_mov_b32 v15, v2
	v_dual_mov_b32 v14, v1 :: v_dual_mov_b32 v13, v0
	s_mov_b32 s0, exec_lo
	s_waitcnt lgkmcnt(0)
	s_barrier
	buffer_gl0_inv
	v_cmpx_gt_u32_e32 18, v4
	s_cbranch_execz .LBB529_25
; %bb.24:
	v_mul_u32_u24_e32 v13, 18, v4
	s_delay_alu instid0(VALU_DEP_1)
	v_lshlrev_b32_e32 v18, 4, v13
	ds_load_b128 v[13:16], v18
	ds_load_b128 v[18:21], v18 offset:16
	s_waitcnt lgkmcnt(0)
	v_add_f64 v[13:14], v[18:19], v[13:14]
	v_add_f64 v[15:16], v[20:21], v[15:16]
.LBB529_25:
	s_or_b32 exec_lo, exec_lo, s0
	s_branch .LBB529_38
.LBB529_26:
                                        ; implicit-def: $vgpr15_vgpr16
                                        ; implicit-def: $vgpr13_vgpr14
	s_cbranch_execz .LBB529_38
; %bb.27:
	v_cmp_gt_u32_e32 vcc_lo, 36, v4
	s_and_saveexec_b32 s0, vcc_lo
	s_cbranch_execz .LBB529_29
; %bb.28:
	ds_load_b128 v[13:16], v17 offset:4608
	ds_load_b128 v[18:21], v17
	s_waitcnt lgkmcnt(0)
	v_add_f64 v[13:14], v[13:14], v[18:19]
	v_add_f64 v[15:16], v[15:16], v[20:21]
	ds_store_b128 v17, v[13:16]
.LBB529_29:
	s_or_b32 exec_lo, exec_lo, s0
	s_delay_alu instid0(SALU_CYCLE_1)
	s_mov_b32 s1, exec_lo
	s_waitcnt lgkmcnt(0)
	s_barrier
	buffer_gl0_inv
	v_cmpx_gt_u32_e32 0x90, v4
	s_cbranch_execz .LBB529_31
; %bb.30:
	ds_load_b128 v[13:16], v17 offset:2304
	ds_load_b128 v[18:21], v17
	s_waitcnt lgkmcnt(0)
	v_add_f64 v[13:14], v[13:14], v[18:19]
	v_add_f64 v[15:16], v[15:16], v[20:21]
	ds_store_b128 v17, v[13:16]
.LBB529_31:
	s_or_b32 exec_lo, exec_lo, s1
	s_delay_alu instid0(SALU_CYCLE_1)
	s_mov_b32 s1, exec_lo
	s_waitcnt lgkmcnt(0)
	s_barrier
	buffer_gl0_inv
	v_cmpx_gt_u32_e32 0x48, v4
	s_cbranch_execz .LBB529_33
; %bb.32:
	ds_load_b128 v[13:16], v17 offset:1152
	ds_load_b128 v[18:21], v17
	s_waitcnt lgkmcnt(0)
	v_add_f64 v[13:14], v[13:14], v[18:19]
	v_add_f64 v[15:16], v[15:16], v[20:21]
	ds_store_b128 v17, v[13:16]
.LBB529_33:
	s_or_b32 exec_lo, exec_lo, s1
	s_waitcnt lgkmcnt(0)
	s_barrier
	buffer_gl0_inv
	s_and_saveexec_b32 s0, vcc_lo
	s_cbranch_execz .LBB529_35
; %bb.34:
	ds_load_b128 v[13:16], v17 offset:576
	ds_load_b128 v[18:21], v17
	s_waitcnt lgkmcnt(0)
	v_add_f64 v[13:14], v[13:14], v[18:19]
	v_add_f64 v[15:16], v[15:16], v[20:21]
	ds_store_b128 v17, v[13:16]
.LBB529_35:
	s_or_b32 exec_lo, exec_lo, s0
	s_delay_alu instid0(SALU_CYCLE_1)
	s_mov_b32 s0, exec_lo
	s_waitcnt lgkmcnt(0)
	buffer_gl0_inv
	v_cmpx_gt_u32_e32 18, v4
	s_cbranch_execz .LBB529_37
; %bb.36:
	ds_load_b128 v[0:3], v17 offset:288
	ds_load_b128 v[13:16], v17
	s_waitcnt lgkmcnt(0)
	v_add_f64 v[0:1], v[0:1], v[13:14]
	v_add_f64 v[2:3], v[2:3], v[15:16]
.LBB529_37:
	s_or_b32 exec_lo, exec_lo, s0
	s_delay_alu instid0(VALU_DEP_1) | instskip(NEXT) | instid1(VALU_DEP_3)
	v_dual_mov_b32 v16, v3 :: v_dual_mov_b32 v15, v2
	v_dual_mov_b32 v14, v1 :: v_dual_mov_b32 v13, v0
.LBB529_38:
	v_cmp_gt_u32_e32 vcc_lo, 18, v4
	s_and_b32 exec_lo, exec_lo, vcc_lo
	s_cbranch_execz .LBB529_43
; %bb.39:
	s_delay_alu instid0(VALU_DEP_2) | instskip(SKIP_3) | instid1(VALU_DEP_4)
	v_mul_f64 v[0:1], v[15:16], -v[11:12]
	v_mul_f64 v[2:3], v[9:10], v[15:16]
	v_cmp_eq_f64_e32 vcc_lo, 0, v[5:6]
	v_cmp_eq_f64_e64 s0, 0, v[7:8]
	v_fma_f64 v[0:1], v[9:10], v[13:14], v[0:1]
	s_delay_alu instid0(VALU_DEP_4) | instskip(NEXT) | instid1(VALU_DEP_3)
	v_fma_f64 v[2:3], v[11:12], v[13:14], v[2:3]
	s_and_b32 s0, vcc_lo, s0
	s_delay_alu instid0(SALU_CYCLE_1) | instskip(NEXT) | instid1(SALU_CYCLE_1)
	s_and_saveexec_b32 s1, s0
	s_xor_b32 s0, exec_lo, s1
	s_cbranch_execz .LBB529_41
; %bb.40:
	v_mad_u64_u32 v[5:6], null, s12, 18, v[4:5]
	v_mov_b32_e32 v6, 0
                                        ; implicit-def: $vgpr7_vgpr8
	s_delay_alu instid0(VALU_DEP_1) | instskip(NEXT) | instid1(VALU_DEP_1)
	v_lshlrev_b64 v[4:5], 4, v[5:6]
	v_add_co_u32 v4, vcc_lo, s8, v4
	s_delay_alu instid0(VALU_DEP_2)
	v_add_co_ci_u32_e32 v5, vcc_lo, s9, v5, vcc_lo
	global_store_b128 v[4:5], v[0:3], off
                                        ; implicit-def: $vgpr4
                                        ; implicit-def: $vgpr5_vgpr6
                                        ; implicit-def: $vgpr0_vgpr1
.LBB529_41:
	s_and_not1_saveexec_b32 s0, s0
	s_cbranch_execz .LBB529_43
; %bb.42:
	v_mad_u64_u32 v[9:10], null, s12, 18, v[4:5]
	v_mov_b32_e32 v10, 0
	s_delay_alu instid0(VALU_DEP_1) | instskip(NEXT) | instid1(VALU_DEP_1)
	v_lshlrev_b64 v[9:10], 4, v[9:10]
	v_add_co_u32 v13, vcc_lo, s8, v9
	s_delay_alu instid0(VALU_DEP_2) | instskip(SKIP_4) | instid1(VALU_DEP_2)
	v_add_co_ci_u32_e32 v14, vcc_lo, s9, v10, vcc_lo
	global_load_b128 v[9:12], v[13:14], off
	s_waitcnt vmcnt(0)
	v_fma_f64 v[0:1], v[5:6], v[9:10], v[0:1]
	v_fma_f64 v[2:3], v[7:8], v[9:10], v[2:3]
	v_fma_f64 v[0:1], -v[7:8], v[11:12], v[0:1]
	s_delay_alu instid0(VALU_DEP_2)
	v_fma_f64 v[2:3], v[5:6], v[11:12], v[2:3]
	global_store_b128 v[13:14], v[0:3], off
.LBB529_43:
	s_nop 0
	s_sendmsg sendmsg(MSG_DEALLOC_VGPRS)
	s_endpgm
	.section	.rodata,"a",@progbits
	.p2align	6, 0x0
	.amdhsa_kernel _ZN9rocsparseL20bsrxmvn_17_32_kernelILj18E21rocsparse_complex_numIdEiiS1_IfES2_S2_EEvT2_20rocsparse_direction_NS_24const_host_device_scalarIT0_EES4_PKS4_PKT1_SD_SA_PKT3_PKT4_S8_PT5_21rocsparse_index_base_b
		.amdhsa_group_segment_fixed_size 10368
		.amdhsa_private_segment_fixed_size 0
		.amdhsa_kernarg_size 112
		.amdhsa_user_sgpr_count 15
		.amdhsa_user_sgpr_dispatch_ptr 1
		.amdhsa_user_sgpr_queue_ptr 0
		.amdhsa_user_sgpr_kernarg_segment_ptr 1
		.amdhsa_user_sgpr_dispatch_id 0
		.amdhsa_user_sgpr_private_segment_size 0
		.amdhsa_wavefront_size32 1
		.amdhsa_uses_dynamic_stack 0
		.amdhsa_enable_private_segment 0
		.amdhsa_system_sgpr_workgroup_id_x 1
		.amdhsa_system_sgpr_workgroup_id_y 0
		.amdhsa_system_sgpr_workgroup_id_z 0
		.amdhsa_system_sgpr_workgroup_info 0
		.amdhsa_system_vgpr_workitem_id 2
		.amdhsa_next_free_vgpr 26
		.amdhsa_next_free_sgpr 18
		.amdhsa_reserve_vcc 1
		.amdhsa_float_round_mode_32 0
		.amdhsa_float_round_mode_16_64 0
		.amdhsa_float_denorm_mode_32 3
		.amdhsa_float_denorm_mode_16_64 3
		.amdhsa_dx10_clamp 1
		.amdhsa_ieee_mode 1
		.amdhsa_fp16_overflow 0
		.amdhsa_workgroup_processor_mode 1
		.amdhsa_memory_ordered 1
		.amdhsa_forward_progress 0
		.amdhsa_shared_vgpr_count 0
		.amdhsa_exception_fp_ieee_invalid_op 0
		.amdhsa_exception_fp_denorm_src 0
		.amdhsa_exception_fp_ieee_div_zero 0
		.amdhsa_exception_fp_ieee_overflow 0
		.amdhsa_exception_fp_ieee_underflow 0
		.amdhsa_exception_fp_ieee_inexact 0
		.amdhsa_exception_int_div_zero 0
	.end_amdhsa_kernel
	.section	.text._ZN9rocsparseL20bsrxmvn_17_32_kernelILj18E21rocsparse_complex_numIdEiiS1_IfES2_S2_EEvT2_20rocsparse_direction_NS_24const_host_device_scalarIT0_EES4_PKS4_PKT1_SD_SA_PKT3_PKT4_S8_PT5_21rocsparse_index_base_b,"axG",@progbits,_ZN9rocsparseL20bsrxmvn_17_32_kernelILj18E21rocsparse_complex_numIdEiiS1_IfES2_S2_EEvT2_20rocsparse_direction_NS_24const_host_device_scalarIT0_EES4_PKS4_PKT1_SD_SA_PKT3_PKT4_S8_PT5_21rocsparse_index_base_b,comdat
.Lfunc_end529:
	.size	_ZN9rocsparseL20bsrxmvn_17_32_kernelILj18E21rocsparse_complex_numIdEiiS1_IfES2_S2_EEvT2_20rocsparse_direction_NS_24const_host_device_scalarIT0_EES4_PKS4_PKT1_SD_SA_PKT3_PKT4_S8_PT5_21rocsparse_index_base_b, .Lfunc_end529-_ZN9rocsparseL20bsrxmvn_17_32_kernelILj18E21rocsparse_complex_numIdEiiS1_IfES2_S2_EEvT2_20rocsparse_direction_NS_24const_host_device_scalarIT0_EES4_PKS4_PKT1_SD_SA_PKT3_PKT4_S8_PT5_21rocsparse_index_base_b
                                        ; -- End function
	.section	.AMDGPU.csdata,"",@progbits
; Kernel info:
; codeLenInByte = 2072
; NumSgprs: 20
; NumVgprs: 26
; ScratchSize: 0
; MemoryBound: 0
; FloatMode: 240
; IeeeMode: 1
; LDSByteSize: 10368 bytes/workgroup (compile time only)
; SGPRBlocks: 2
; VGPRBlocks: 3
; NumSGPRsForWavesPerEU: 20
; NumVGPRsForWavesPerEU: 26
; Occupancy: 14
; WaveLimiterHint : 1
; COMPUTE_PGM_RSRC2:SCRATCH_EN: 0
; COMPUTE_PGM_RSRC2:USER_SGPR: 15
; COMPUTE_PGM_RSRC2:TRAP_HANDLER: 0
; COMPUTE_PGM_RSRC2:TGID_X_EN: 1
; COMPUTE_PGM_RSRC2:TGID_Y_EN: 0
; COMPUTE_PGM_RSRC2:TGID_Z_EN: 0
; COMPUTE_PGM_RSRC2:TIDIG_COMP_CNT: 2
	.section	.text._ZN9rocsparseL20bsrxmvn_17_32_kernelILj19E21rocsparse_complex_numIdEiiS1_IfES2_S2_EEvT2_20rocsparse_direction_NS_24const_host_device_scalarIT0_EES4_PKS4_PKT1_SD_SA_PKT3_PKT4_S8_PT5_21rocsparse_index_base_b,"axG",@progbits,_ZN9rocsparseL20bsrxmvn_17_32_kernelILj19E21rocsparse_complex_numIdEiiS1_IfES2_S2_EEvT2_20rocsparse_direction_NS_24const_host_device_scalarIT0_EES4_PKS4_PKT1_SD_SA_PKT3_PKT4_S8_PT5_21rocsparse_index_base_b,comdat
	.globl	_ZN9rocsparseL20bsrxmvn_17_32_kernelILj19E21rocsparse_complex_numIdEiiS1_IfES2_S2_EEvT2_20rocsparse_direction_NS_24const_host_device_scalarIT0_EES4_PKS4_PKT1_SD_SA_PKT3_PKT4_S8_PT5_21rocsparse_index_base_b ; -- Begin function _ZN9rocsparseL20bsrxmvn_17_32_kernelILj19E21rocsparse_complex_numIdEiiS1_IfES2_S2_EEvT2_20rocsparse_direction_NS_24const_host_device_scalarIT0_EES4_PKS4_PKT1_SD_SA_PKT3_PKT4_S8_PT5_21rocsparse_index_base_b
	.p2align	8
	.type	_ZN9rocsparseL20bsrxmvn_17_32_kernelILj19E21rocsparse_complex_numIdEiiS1_IfES2_S2_EEvT2_20rocsparse_direction_NS_24const_host_device_scalarIT0_EES4_PKS4_PKT1_SD_SA_PKT3_PKT4_S8_PT5_21rocsparse_index_base_b,@function
_ZN9rocsparseL20bsrxmvn_17_32_kernelILj19E21rocsparse_complex_numIdEiiS1_IfES2_S2_EEvT2_20rocsparse_direction_NS_24const_host_device_scalarIT0_EES4_PKS4_PKT1_SD_SA_PKT3_PKT4_S8_PT5_21rocsparse_index_base_b: ; @_ZN9rocsparseL20bsrxmvn_17_32_kernelILj19E21rocsparse_complex_numIdEiiS1_IfES2_S2_EEvT2_20rocsparse_direction_NS_24const_host_device_scalarIT0_EES4_PKS4_PKT1_SD_SA_PKT3_PKT4_S8_PT5_21rocsparse_index_base_b
; %bb.0:
	s_mov_b32 s12, s15
	s_clause 0x1
	s_load_b64 s[14:15], s[2:3], 0x68
	s_load_b128 s[4:7], s[2:3], 0x8
	s_load_b64 s[16:17], s[0:1], 0x4
	s_mov_b64 s[0:1], src_shared_base
	v_and_b32_e32 v4, 0x3ff, v0
	s_load_b128 s[8:11], s[2:3], 0x50
	v_bfe_u32 v2, v0, 10, 10
	v_bfe_u32 v0, v0, 20, 10
	s_waitcnt lgkmcnt(0)
	s_bitcmp1_b32 s15, 0
	v_mov_b32_e32 v12, s7
	s_cselect_b32 s0, -1, 0
	v_mov_b32_e32 v11, s6
	s_and_b32 vcc_lo, s0, exec_lo
	s_cselect_b32 s13, s1, s5
	s_lshr_b32 s15, s16, 16
	v_mov_b32_e32 v6, s13
	s_mul_i32 s15, s15, s17
	s_xor_b32 s6, s0, -1
	v_mul_lo_u32 v1, s15, v4
	s_delay_alu instid0(VALU_DEP_1) | instskip(SKIP_1) | instid1(VALU_DEP_2)
	v_mad_u32_u24 v1, v2, s17, v1
	v_dual_mov_b32 v2, s8 :: v_dual_mov_b32 v3, s9
	v_add_lshl_u32 v7, v1, v0, 3
	v_dual_mov_b32 v0, s4 :: v_dual_mov_b32 v1, s5
	ds_store_b64 v7, v[0:1] offset:8664
	ds_store_b64 v7, v[2:3] offset:5776
	v_add_nc_u32_e32 v5, 0x21d8, v7
	v_add_nc_u32_e32 v0, 0x1690, v7
	s_delay_alu instid0(VALU_DEP_2)
	v_cndmask_b32_e64 v5, s4, v5, s0
	flat_load_b64 v[9:10], v[5:6]
	s_cbranch_vccnz .LBB530_2
; %bb.1:
	v_dual_mov_b32 v1, s4 :: v_dual_mov_b32 v2, s5
	flat_load_b64 v[11:12], v[1:2] offset:8
.LBB530_2:
	s_and_b32 s4, s0, exec_lo
	s_cselect_b32 s1, s1, s9
	v_cndmask_b32_e64 v0, s8, v0, s0
	v_mov_b32_e32 v1, s1
	v_dual_mov_b32 v7, s10 :: v_dual_mov_b32 v8, s11
	s_and_not1_b32 vcc_lo, exec_lo, s6
	flat_load_b64 v[5:6], v[0:1]
	s_cbranch_vccnz .LBB530_4
; %bb.3:
	v_dual_mov_b32 v0, s8 :: v_dual_mov_b32 v1, s9
	flat_load_b64 v[7:8], v[0:1] offset:8
.LBB530_4:
	s_waitcnt vmcnt(1) lgkmcnt(1)
	v_cmp_eq_f64_e32 vcc_lo, 0, v[9:10]
	v_cmp_eq_f64_e64 s0, 0, v[11:12]
	s_delay_alu instid0(VALU_DEP_1)
	s_and_b32 s4, vcc_lo, s0
	s_mov_b32 s0, -1
	s_and_saveexec_b32 s1, s4
	s_cbranch_execz .LBB530_6
; %bb.5:
	s_waitcnt vmcnt(0) lgkmcnt(0)
	v_cmp_neq_f64_e32 vcc_lo, 1.0, v[5:6]
	v_cmp_neq_f64_e64 s0, 0, v[7:8]
	s_delay_alu instid0(VALU_DEP_1) | instskip(NEXT) | instid1(SALU_CYCLE_1)
	s_or_b32 s0, vcc_lo, s0
	s_or_not1_b32 s0, s0, exec_lo
.LBB530_6:
	s_or_b32 exec_lo, exec_lo, s1
	s_and_saveexec_b32 s1, s0
	s_cbranch_execz .LBB530_43
; %bb.7:
	s_clause 0x1
	s_load_b128 s[4:7], s[2:3], 0x20
	s_load_b64 s[0:1], s[2:3], 0x30
	s_waitcnt lgkmcnt(0)
	s_cmp_eq_u64 s[4:5], 0
	s_cbranch_scc1 .LBB530_9
; %bb.8:
	s_ashr_i32 s13, s12, 31
	s_delay_alu instid0(SALU_CYCLE_1) | instskip(NEXT) | instid1(SALU_CYCLE_1)
	s_lshl_b64 s[8:9], s[12:13], 2
	s_add_u32 s4, s4, s8
	s_addc_u32 s5, s5, s9
	s_load_b32 s4, s[4:5], 0x0
	s_waitcnt lgkmcnt(0)
	s_sub_i32 s12, s4, s14
.LBB530_9:
	s_load_b32 s4, s[2:3], 0x4
	v_mul_u32_u24_e32 v0, 0xd7a, v4
	v_mov_b32_e32 v2, 0
	v_mov_b32_e32 v3, 0
	s_delay_alu instid0(VALU_DEP_3) | instskip(NEXT) | instid1(VALU_DEP_1)
	v_lshrrev_b32_e32 v13, 16, v0
	v_mul_lo_u16 v0, v13, 19
	s_delay_alu instid0(VALU_DEP_1) | instskip(NEXT) | instid1(VALU_DEP_4)
	v_sub_nc_u16 v18, v4, v0
	v_dual_mov_b32 v0, v2 :: v_dual_mov_b32 v1, v3
	s_waitcnt lgkmcnt(0)
	s_cmp_eq_u32 s4, 1
	s_cselect_b32 vcc_lo, -1, 0
	s_cmp_lg_u32 s4, 1
	s_cselect_b32 s10, -1, 0
	s_ashr_i32 s13, s12, 31
	s_delay_alu instid0(SALU_CYCLE_1) | instskip(NEXT) | instid1(SALU_CYCLE_1)
	s_lshl_b64 s[4:5], s[12:13], 2
	s_add_u32 s6, s6, s4
	s_addc_u32 s7, s7, s5
	s_add_u32 s8, s6, 4
	s_addc_u32 s9, s7, 0
	s_add_u32 s4, s0, s4
	s_addc_u32 s5, s1, s5
	s_cmp_eq_u64 s[0:1], 0
	s_cselect_b32 s1, s9, s5
	s_cselect_b32 s0, s8, s4
	s_load_b32 s11, s[6:7], 0x0
	s_load_b32 s13, s[0:1], 0x0
	s_load_b64 s[8:9], s[2:3], 0x60
	s_waitcnt lgkmcnt(0)
	s_cmp_ge_i32 s11, s13
	s_cbranch_scc1 .LBB530_14
; %bb.10:
	v_mul_lo_u16 v0, v13, 14
	s_clause 0x1
	s_load_b128 s[4:7], s[2:3], 0x38
	s_load_b64 s[0:1], s[2:3], 0x48
	v_dual_mov_b32 v2, 0 :: v_dual_and_b32 v1, 0xffff, v4
	v_lshrrev_b16 v0, 8, v0
	s_sub_i32 s3, s11, s14
	v_dual_mov_b32 v3, 0 :: v_dual_lshlrev_b32 v14, 3, v4
	s_sub_i32 s2, s13, s14
	s_delay_alu instid0(VALU_DEP_2)
	v_mul_lo_u16 v0, v0, 19
	v_and_b32_e32 v15, 0xffff, v18
	v_mul_u32_u24_e32 v1, 0xb6, v1
	s_mul_i32 s13, s3, 0xb48
	s_mul_hi_i32 s11, s3, 0xb48
	v_sub_nc_u16 v0, v13, v0
	s_delay_alu instid0(VALU_DEP_2) | instskip(NEXT) | instid1(VALU_DEP_2)
	v_lshrrev_b32_e32 v19, 16, v1
	v_and_b32_e32 v0, 0xff, v0
	s_waitcnt lgkmcnt(0)
	s_add_u32 s6, s6, s13
	s_addc_u32 s7, s7, s11
	v_add_co_u32 v13, s6, s6, v14
	v_dual_cndmask_b32 v15, v15, v0 :: v_dual_mov_b32 v0, v2
	v_mov_b32_e32 v1, v3
	v_add_co_ci_u32_e64 v14, null, s7, 0, s6
	s_set_inst_prefetch_distance 0x1
	s_branch .LBB530_12
	.p2align	6
.LBB530_11:                             ;   in Loop: Header=BB530_12 Depth=1
	s_or_b32 exec_lo, exec_lo, s6
	s_add_i32 s3, s3, 1
	s_delay_alu instid0(SALU_CYCLE_1)
	s_cmp_lt_i32 s3, s2
	s_cbranch_scc0 .LBB530_14
.LBB530_12:                             ; =>This Inner Loop Header: Depth=1
	v_add_nc_u32_e32 v16, s3, v19
	s_mov_b32 s6, exec_lo
	s_delay_alu instid0(VALU_DEP_1)
	v_cmpx_gt_i32_e64 s2, v16
	s_cbranch_execz .LBB530_11
; %bb.13:                               ;   in Loop: Header=BB530_12 Depth=1
	v_ashrrev_i32_e32 v17, 31, v16
	s_delay_alu instid0(VALU_DEP_1) | instskip(NEXT) | instid1(VALU_DEP_1)
	v_lshlrev_b64 v[16:17], 2, v[16:17]
	v_add_co_u32 v16, vcc_lo, s4, v16
	s_delay_alu instid0(VALU_DEP_2)
	v_add_co_ci_u32_e32 v17, vcc_lo, s5, v17, vcc_lo
	global_load_b32 v20, v[16:17], off
	global_load_b64 v[16:17], v[13:14], off
	s_waitcnt vmcnt(1)
	v_subrev_nc_u32_e32 v22, s14, v20
	s_waitcnt vmcnt(0)
	v_cvt_f64_f32_e32 v[24:25], v16
	s_delay_alu instid0(VALU_DEP_2) | instskip(SKIP_1) | instid1(VALU_DEP_2)
	v_mad_u64_u32 v[20:21], null, v22, 19, v[15:16]
	v_cvt_f64_f32_e32 v[16:17], v17
	v_ashrrev_i32_e32 v21, 31, v20
	s_delay_alu instid0(VALU_DEP_1) | instskip(NEXT) | instid1(VALU_DEP_1)
	v_lshlrev_b64 v[20:21], 4, v[20:21]
	v_add_co_u32 v20, vcc_lo, s0, v20
	s_delay_alu instid0(VALU_DEP_2)
	v_add_co_ci_u32_e32 v21, vcc_lo, s1, v21, vcc_lo
	v_add_co_u32 v13, vcc_lo, 0xb48, v13
	v_add_co_ci_u32_e32 v14, vcc_lo, 0, v14, vcc_lo
	global_load_b128 v[20:23], v[20:21], off
	s_waitcnt vmcnt(0)
	v_fma_f64 v[0:1], v[24:25], v[20:21], v[0:1]
	v_fma_f64 v[2:3], v[16:17], v[20:21], v[2:3]
	s_delay_alu instid0(VALU_DEP_2) | instskip(NEXT) | instid1(VALU_DEP_2)
	v_fma_f64 v[0:1], -v[16:17], v[22:23], v[0:1]
	v_fma_f64 v[2:3], v[24:25], v[22:23], v[2:3]
	s_branch .LBB530_11
.LBB530_14:
	s_set_inst_prefetch_distance 0x2
	v_lshlrev_b32_e32 v17, 4, v4
	s_and_b32 vcc_lo, exec_lo, s10
	ds_store_b128 v17, v[0:3]
	s_waitcnt vmcnt(0) lgkmcnt(0)
	s_barrier
	buffer_gl0_inv
	s_cbranch_vccz .LBB530_26
; %bb.15:
	s_mov_b32 s0, exec_lo
	v_cmpx_gt_u16_e32 3, v18
	s_cbranch_execz .LBB530_17
; %bb.16:
	ds_load_b128 v[13:16], v17 offset:256
	ds_load_b128 v[19:22], v17
	s_waitcnt lgkmcnt(0)
	v_add_f64 v[13:14], v[13:14], v[19:20]
	v_add_f64 v[15:16], v[15:16], v[21:22]
	ds_store_b128 v17, v[13:16]
.LBB530_17:
	s_or_b32 exec_lo, exec_lo, s0
	s_delay_alu instid0(SALU_CYCLE_1)
	s_mov_b32 s0, exec_lo
	s_waitcnt lgkmcnt(0)
	s_barrier
	buffer_gl0_inv
	v_cmpx_gt_u16_e32 8, v18
	s_cbranch_execz .LBB530_19
; %bb.18:
	ds_load_b128 v[13:16], v17 offset:128
	ds_load_b128 v[19:22], v17
	s_waitcnt lgkmcnt(0)
	v_add_f64 v[13:14], v[13:14], v[19:20]
	v_add_f64 v[15:16], v[15:16], v[21:22]
	ds_store_b128 v17, v[13:16]
.LBB530_19:
	s_or_b32 exec_lo, exec_lo, s0
	s_delay_alu instid0(SALU_CYCLE_1)
	s_mov_b32 s0, exec_lo
	s_waitcnt lgkmcnt(0)
	s_barrier
	buffer_gl0_inv
	;; [unrolled: 16-line block ×3, first 2 shown]
	v_cmpx_gt_u16_e32 2, v18
	s_cbranch_execz .LBB530_23
; %bb.22:
	ds_load_b128 v[13:16], v17
	ds_load_b128 v[18:21], v17 offset:32
	s_waitcnt lgkmcnt(0)
	v_add_f64 v[13:14], v[18:19], v[13:14]
	v_add_f64 v[15:16], v[20:21], v[15:16]
	ds_store_b128 v17, v[13:16]
.LBB530_23:
	s_or_b32 exec_lo, exec_lo, s0
	v_dual_mov_b32 v16, v3 :: v_dual_mov_b32 v15, v2
	v_dual_mov_b32 v14, v1 :: v_dual_mov_b32 v13, v0
	s_mov_b32 s0, exec_lo
	s_waitcnt lgkmcnt(0)
	s_barrier
	buffer_gl0_inv
	v_cmpx_gt_u32_e32 19, v4
	s_cbranch_execz .LBB530_25
; %bb.24:
	v_mul_u32_u24_e32 v13, 19, v4
	s_delay_alu instid0(VALU_DEP_1)
	v_lshlrev_b32_e32 v18, 4, v13
	ds_load_b128 v[13:16], v18
	ds_load_b128 v[18:21], v18 offset:16
	s_waitcnt lgkmcnt(0)
	v_add_f64 v[13:14], v[18:19], v[13:14]
	v_add_f64 v[15:16], v[20:21], v[15:16]
.LBB530_25:
	s_or_b32 exec_lo, exec_lo, s0
	s_branch .LBB530_38
.LBB530_26:
                                        ; implicit-def: $vgpr15_vgpr16
                                        ; implicit-def: $vgpr13_vgpr14
	s_cbranch_execz .LBB530_38
; %bb.27:
	s_mov_b32 s0, exec_lo
	v_cmpx_gt_u32_e32 57, v4
	s_cbranch_execz .LBB530_29
; %bb.28:
	ds_load_b128 v[13:16], v17 offset:4864
	ds_load_b128 v[18:21], v17
	s_waitcnt lgkmcnt(0)
	v_add_f64 v[13:14], v[13:14], v[18:19]
	v_add_f64 v[15:16], v[15:16], v[20:21]
	ds_store_b128 v17, v[13:16]
.LBB530_29:
	s_or_b32 exec_lo, exec_lo, s0
	s_delay_alu instid0(SALU_CYCLE_1)
	s_mov_b32 s0, exec_lo
	s_waitcnt lgkmcnt(0)
	s_barrier
	buffer_gl0_inv
	v_cmpx_gt_u32_e32 0x98, v4
	s_cbranch_execz .LBB530_31
; %bb.30:
	ds_load_b128 v[13:16], v17 offset:2432
	ds_load_b128 v[18:21], v17
	s_waitcnt lgkmcnt(0)
	v_add_f64 v[13:14], v[13:14], v[18:19]
	v_add_f64 v[15:16], v[15:16], v[20:21]
	ds_store_b128 v17, v[13:16]
.LBB530_31:
	s_or_b32 exec_lo, exec_lo, s0
	s_delay_alu instid0(SALU_CYCLE_1)
	s_mov_b32 s0, exec_lo
	s_waitcnt lgkmcnt(0)
	s_barrier
	buffer_gl0_inv
	;; [unrolled: 16-line block ×3, first 2 shown]
	v_cmpx_gt_u32_e32 38, v4
	s_cbranch_execz .LBB530_35
; %bb.34:
	ds_load_b128 v[13:16], v17 offset:608
	ds_load_b128 v[18:21], v17
	s_waitcnt lgkmcnt(0)
	v_add_f64 v[13:14], v[13:14], v[18:19]
	v_add_f64 v[15:16], v[15:16], v[20:21]
	ds_store_b128 v17, v[13:16]
.LBB530_35:
	s_or_b32 exec_lo, exec_lo, s0
	s_delay_alu instid0(SALU_CYCLE_1)
	s_mov_b32 s0, exec_lo
	s_waitcnt lgkmcnt(0)
	buffer_gl0_inv
	v_cmpx_gt_u32_e32 19, v4
	s_cbranch_execz .LBB530_37
; %bb.36:
	ds_load_b128 v[0:3], v17 offset:304
	ds_load_b128 v[13:16], v17
	s_waitcnt lgkmcnt(0)
	v_add_f64 v[0:1], v[0:1], v[13:14]
	v_add_f64 v[2:3], v[2:3], v[15:16]
.LBB530_37:
	s_or_b32 exec_lo, exec_lo, s0
	s_delay_alu instid0(VALU_DEP_1) | instskip(NEXT) | instid1(VALU_DEP_3)
	v_dual_mov_b32 v16, v3 :: v_dual_mov_b32 v15, v2
	v_dual_mov_b32 v14, v1 :: v_dual_mov_b32 v13, v0
.LBB530_38:
	v_cmp_gt_u32_e32 vcc_lo, 19, v4
	s_and_b32 exec_lo, exec_lo, vcc_lo
	s_cbranch_execz .LBB530_43
; %bb.39:
	s_delay_alu instid0(VALU_DEP_2) | instskip(SKIP_3) | instid1(VALU_DEP_4)
	v_mul_f64 v[0:1], v[15:16], -v[11:12]
	v_mul_f64 v[2:3], v[9:10], v[15:16]
	v_cmp_eq_f64_e32 vcc_lo, 0, v[5:6]
	v_cmp_eq_f64_e64 s0, 0, v[7:8]
	v_fma_f64 v[0:1], v[9:10], v[13:14], v[0:1]
	s_delay_alu instid0(VALU_DEP_4) | instskip(NEXT) | instid1(VALU_DEP_3)
	v_fma_f64 v[2:3], v[11:12], v[13:14], v[2:3]
	s_and_b32 s0, vcc_lo, s0
	s_delay_alu instid0(SALU_CYCLE_1) | instskip(NEXT) | instid1(SALU_CYCLE_1)
	s_and_saveexec_b32 s1, s0
	s_xor_b32 s0, exec_lo, s1
	s_cbranch_execz .LBB530_41
; %bb.40:
	v_mad_u64_u32 v[5:6], null, s12, 19, v[4:5]
	v_mov_b32_e32 v6, 0
                                        ; implicit-def: $vgpr7_vgpr8
	s_delay_alu instid0(VALU_DEP_1) | instskip(NEXT) | instid1(VALU_DEP_1)
	v_lshlrev_b64 v[4:5], 4, v[5:6]
	v_add_co_u32 v4, vcc_lo, s8, v4
	s_delay_alu instid0(VALU_DEP_2)
	v_add_co_ci_u32_e32 v5, vcc_lo, s9, v5, vcc_lo
	global_store_b128 v[4:5], v[0:3], off
                                        ; implicit-def: $vgpr4
                                        ; implicit-def: $vgpr5_vgpr6
                                        ; implicit-def: $vgpr0_vgpr1
.LBB530_41:
	s_and_not1_saveexec_b32 s0, s0
	s_cbranch_execz .LBB530_43
; %bb.42:
	v_mad_u64_u32 v[9:10], null, s12, 19, v[4:5]
	v_mov_b32_e32 v10, 0
	s_delay_alu instid0(VALU_DEP_1) | instskip(NEXT) | instid1(VALU_DEP_1)
	v_lshlrev_b64 v[9:10], 4, v[9:10]
	v_add_co_u32 v13, vcc_lo, s8, v9
	s_delay_alu instid0(VALU_DEP_2) | instskip(SKIP_4) | instid1(VALU_DEP_2)
	v_add_co_ci_u32_e32 v14, vcc_lo, s9, v10, vcc_lo
	global_load_b128 v[9:12], v[13:14], off
	s_waitcnt vmcnt(0)
	v_fma_f64 v[0:1], v[5:6], v[9:10], v[0:1]
	v_fma_f64 v[2:3], v[7:8], v[9:10], v[2:3]
	v_fma_f64 v[0:1], -v[7:8], v[11:12], v[0:1]
	s_delay_alu instid0(VALU_DEP_2)
	v_fma_f64 v[2:3], v[5:6], v[11:12], v[2:3]
	global_store_b128 v[13:14], v[0:3], off
.LBB530_43:
	s_nop 0
	s_sendmsg sendmsg(MSG_DEALLOC_VGPRS)
	s_endpgm
	.section	.rodata,"a",@progbits
	.p2align	6, 0x0
	.amdhsa_kernel _ZN9rocsparseL20bsrxmvn_17_32_kernelILj19E21rocsparse_complex_numIdEiiS1_IfES2_S2_EEvT2_20rocsparse_direction_NS_24const_host_device_scalarIT0_EES4_PKS4_PKT1_SD_SA_PKT3_PKT4_S8_PT5_21rocsparse_index_base_b
		.amdhsa_group_segment_fixed_size 11552
		.amdhsa_private_segment_fixed_size 0
		.amdhsa_kernarg_size 112
		.amdhsa_user_sgpr_count 15
		.amdhsa_user_sgpr_dispatch_ptr 1
		.amdhsa_user_sgpr_queue_ptr 0
		.amdhsa_user_sgpr_kernarg_segment_ptr 1
		.amdhsa_user_sgpr_dispatch_id 0
		.amdhsa_user_sgpr_private_segment_size 0
		.amdhsa_wavefront_size32 1
		.amdhsa_uses_dynamic_stack 0
		.amdhsa_enable_private_segment 0
		.amdhsa_system_sgpr_workgroup_id_x 1
		.amdhsa_system_sgpr_workgroup_id_y 0
		.amdhsa_system_sgpr_workgroup_id_z 0
		.amdhsa_system_sgpr_workgroup_info 0
		.amdhsa_system_vgpr_workitem_id 2
		.amdhsa_next_free_vgpr 26
		.amdhsa_next_free_sgpr 18
		.amdhsa_reserve_vcc 1
		.amdhsa_float_round_mode_32 0
		.amdhsa_float_round_mode_16_64 0
		.amdhsa_float_denorm_mode_32 3
		.amdhsa_float_denorm_mode_16_64 3
		.amdhsa_dx10_clamp 1
		.amdhsa_ieee_mode 1
		.amdhsa_fp16_overflow 0
		.amdhsa_workgroup_processor_mode 1
		.amdhsa_memory_ordered 1
		.amdhsa_forward_progress 0
		.amdhsa_shared_vgpr_count 0
		.amdhsa_exception_fp_ieee_invalid_op 0
		.amdhsa_exception_fp_denorm_src 0
		.amdhsa_exception_fp_ieee_div_zero 0
		.amdhsa_exception_fp_ieee_overflow 0
		.amdhsa_exception_fp_ieee_underflow 0
		.amdhsa_exception_fp_ieee_inexact 0
		.amdhsa_exception_int_div_zero 0
	.end_amdhsa_kernel
	.section	.text._ZN9rocsparseL20bsrxmvn_17_32_kernelILj19E21rocsparse_complex_numIdEiiS1_IfES2_S2_EEvT2_20rocsparse_direction_NS_24const_host_device_scalarIT0_EES4_PKS4_PKT1_SD_SA_PKT3_PKT4_S8_PT5_21rocsparse_index_base_b,"axG",@progbits,_ZN9rocsparseL20bsrxmvn_17_32_kernelILj19E21rocsparse_complex_numIdEiiS1_IfES2_S2_EEvT2_20rocsparse_direction_NS_24const_host_device_scalarIT0_EES4_PKS4_PKT1_SD_SA_PKT3_PKT4_S8_PT5_21rocsparse_index_base_b,comdat
.Lfunc_end530:
	.size	_ZN9rocsparseL20bsrxmvn_17_32_kernelILj19E21rocsparse_complex_numIdEiiS1_IfES2_S2_EEvT2_20rocsparse_direction_NS_24const_host_device_scalarIT0_EES4_PKS4_PKT1_SD_SA_PKT3_PKT4_S8_PT5_21rocsparse_index_base_b, .Lfunc_end530-_ZN9rocsparseL20bsrxmvn_17_32_kernelILj19E21rocsparse_complex_numIdEiiS1_IfES2_S2_EEvT2_20rocsparse_direction_NS_24const_host_device_scalarIT0_EES4_PKS4_PKT1_SD_SA_PKT3_PKT4_S8_PT5_21rocsparse_index_base_b
                                        ; -- End function
	.section	.AMDGPU.csdata,"",@progbits
; Kernel info:
; codeLenInByte = 2088
; NumSgprs: 20
; NumVgprs: 26
; ScratchSize: 0
; MemoryBound: 0
; FloatMode: 240
; IeeeMode: 1
; LDSByteSize: 11552 bytes/workgroup (compile time only)
; SGPRBlocks: 2
; VGPRBlocks: 3
; NumSGPRsForWavesPerEU: 20
; NumVGPRsForWavesPerEU: 26
; Occupancy: 15
; WaveLimiterHint : 1
; COMPUTE_PGM_RSRC2:SCRATCH_EN: 0
; COMPUTE_PGM_RSRC2:USER_SGPR: 15
; COMPUTE_PGM_RSRC2:TRAP_HANDLER: 0
; COMPUTE_PGM_RSRC2:TGID_X_EN: 1
; COMPUTE_PGM_RSRC2:TGID_Y_EN: 0
; COMPUTE_PGM_RSRC2:TGID_Z_EN: 0
; COMPUTE_PGM_RSRC2:TIDIG_COMP_CNT: 2
	.section	.text._ZN9rocsparseL20bsrxmvn_17_32_kernelILj20E21rocsparse_complex_numIdEiiS1_IfES2_S2_EEvT2_20rocsparse_direction_NS_24const_host_device_scalarIT0_EES4_PKS4_PKT1_SD_SA_PKT3_PKT4_S8_PT5_21rocsparse_index_base_b,"axG",@progbits,_ZN9rocsparseL20bsrxmvn_17_32_kernelILj20E21rocsparse_complex_numIdEiiS1_IfES2_S2_EEvT2_20rocsparse_direction_NS_24const_host_device_scalarIT0_EES4_PKS4_PKT1_SD_SA_PKT3_PKT4_S8_PT5_21rocsparse_index_base_b,comdat
	.globl	_ZN9rocsparseL20bsrxmvn_17_32_kernelILj20E21rocsparse_complex_numIdEiiS1_IfES2_S2_EEvT2_20rocsparse_direction_NS_24const_host_device_scalarIT0_EES4_PKS4_PKT1_SD_SA_PKT3_PKT4_S8_PT5_21rocsparse_index_base_b ; -- Begin function _ZN9rocsparseL20bsrxmvn_17_32_kernelILj20E21rocsparse_complex_numIdEiiS1_IfES2_S2_EEvT2_20rocsparse_direction_NS_24const_host_device_scalarIT0_EES4_PKS4_PKT1_SD_SA_PKT3_PKT4_S8_PT5_21rocsparse_index_base_b
	.p2align	8
	.type	_ZN9rocsparseL20bsrxmvn_17_32_kernelILj20E21rocsparse_complex_numIdEiiS1_IfES2_S2_EEvT2_20rocsparse_direction_NS_24const_host_device_scalarIT0_EES4_PKS4_PKT1_SD_SA_PKT3_PKT4_S8_PT5_21rocsparse_index_base_b,@function
_ZN9rocsparseL20bsrxmvn_17_32_kernelILj20E21rocsparse_complex_numIdEiiS1_IfES2_S2_EEvT2_20rocsparse_direction_NS_24const_host_device_scalarIT0_EES4_PKS4_PKT1_SD_SA_PKT3_PKT4_S8_PT5_21rocsparse_index_base_b: ; @_ZN9rocsparseL20bsrxmvn_17_32_kernelILj20E21rocsparse_complex_numIdEiiS1_IfES2_S2_EEvT2_20rocsparse_direction_NS_24const_host_device_scalarIT0_EES4_PKS4_PKT1_SD_SA_PKT3_PKT4_S8_PT5_21rocsparse_index_base_b
; %bb.0:
	s_mov_b32 s12, s15
	s_clause 0x1
	s_load_b64 s[14:15], s[2:3], 0x68
	s_load_b128 s[4:7], s[2:3], 0x8
	s_load_b64 s[16:17], s[0:1], 0x4
	s_mov_b64 s[0:1], src_shared_base
	v_and_b32_e32 v4, 0x3ff, v0
	s_load_b128 s[8:11], s[2:3], 0x50
	v_bfe_u32 v2, v0, 10, 10
	v_bfe_u32 v0, v0, 20, 10
	s_waitcnt lgkmcnt(0)
	s_bitcmp1_b32 s15, 0
	v_mov_b32_e32 v12, s7
	s_cselect_b32 s0, -1, 0
	v_mov_b32_e32 v11, s6
	s_and_b32 vcc_lo, s0, exec_lo
	s_cselect_b32 s13, s1, s5
	s_lshr_b32 s15, s16, 16
	v_mov_b32_e32 v6, s13
	s_mul_i32 s15, s15, s17
	s_xor_b32 s6, s0, -1
	v_mul_lo_u32 v1, s15, v4
	s_delay_alu instid0(VALU_DEP_1) | instskip(SKIP_1) | instid1(VALU_DEP_2)
	v_mad_u32_u24 v1, v2, s17, v1
	v_dual_mov_b32 v2, s8 :: v_dual_mov_b32 v3, s9
	v_add_lshl_u32 v7, v1, v0, 3
	v_dual_mov_b32 v0, s4 :: v_dual_mov_b32 v1, s5
	ds_store_b64 v7, v[0:1] offset:9600
	ds_store_b64 v7, v[2:3] offset:6400
	v_add_nc_u32_e32 v5, 0x2580, v7
	v_add_nc_u32_e32 v0, 0x1900, v7
	s_delay_alu instid0(VALU_DEP_2)
	v_cndmask_b32_e64 v5, s4, v5, s0
	flat_load_b64 v[9:10], v[5:6]
	s_cbranch_vccnz .LBB531_2
; %bb.1:
	v_dual_mov_b32 v1, s4 :: v_dual_mov_b32 v2, s5
	flat_load_b64 v[11:12], v[1:2] offset:8
.LBB531_2:
	s_and_b32 s4, s0, exec_lo
	s_cselect_b32 s1, s1, s9
	v_cndmask_b32_e64 v0, s8, v0, s0
	v_mov_b32_e32 v1, s1
	v_dual_mov_b32 v7, s10 :: v_dual_mov_b32 v8, s11
	s_and_not1_b32 vcc_lo, exec_lo, s6
	flat_load_b64 v[5:6], v[0:1]
	s_cbranch_vccnz .LBB531_4
; %bb.3:
	v_dual_mov_b32 v0, s8 :: v_dual_mov_b32 v1, s9
	flat_load_b64 v[7:8], v[0:1] offset:8
.LBB531_4:
	s_waitcnt vmcnt(1) lgkmcnt(1)
	v_cmp_eq_f64_e32 vcc_lo, 0, v[9:10]
	v_cmp_eq_f64_e64 s0, 0, v[11:12]
	s_delay_alu instid0(VALU_DEP_1)
	s_and_b32 s4, vcc_lo, s0
	s_mov_b32 s0, -1
	s_and_saveexec_b32 s1, s4
	s_cbranch_execz .LBB531_6
; %bb.5:
	s_waitcnt vmcnt(0) lgkmcnt(0)
	v_cmp_neq_f64_e32 vcc_lo, 1.0, v[5:6]
	v_cmp_neq_f64_e64 s0, 0, v[7:8]
	s_delay_alu instid0(VALU_DEP_1) | instskip(NEXT) | instid1(SALU_CYCLE_1)
	s_or_b32 s0, vcc_lo, s0
	s_or_not1_b32 s0, s0, exec_lo
.LBB531_6:
	s_or_b32 exec_lo, exec_lo, s1
	s_and_saveexec_b32 s1, s0
	s_cbranch_execz .LBB531_43
; %bb.7:
	s_clause 0x1
	s_load_b128 s[4:7], s[2:3], 0x20
	s_load_b64 s[0:1], s[2:3], 0x30
	s_waitcnt lgkmcnt(0)
	s_cmp_eq_u64 s[4:5], 0
	s_cbranch_scc1 .LBB531_9
; %bb.8:
	s_ashr_i32 s13, s12, 31
	s_delay_alu instid0(SALU_CYCLE_1) | instskip(NEXT) | instid1(SALU_CYCLE_1)
	s_lshl_b64 s[8:9], s[12:13], 2
	s_add_u32 s4, s4, s8
	s_addc_u32 s5, s5, s9
	s_load_b32 s4, s[4:5], 0x0
	s_waitcnt lgkmcnt(0)
	s_sub_i32 s12, s4, s14
.LBB531_9:
	s_load_b32 s4, s[2:3], 0x4
	v_mul_u32_u24_e32 v0, 0xccd, v4
	v_mov_b32_e32 v2, 0
	v_mov_b32_e32 v3, 0
	s_delay_alu instid0(VALU_DEP_3) | instskip(NEXT) | instid1(VALU_DEP_1)
	v_lshrrev_b32_e32 v13, 16, v0
	v_mul_lo_u16 v0, v13, 20
	s_delay_alu instid0(VALU_DEP_1) | instskip(NEXT) | instid1(VALU_DEP_4)
	v_sub_nc_u16 v18, v4, v0
	v_dual_mov_b32 v0, v2 :: v_dual_mov_b32 v1, v3
	s_waitcnt lgkmcnt(0)
	s_cmp_eq_u32 s4, 1
	s_cselect_b32 vcc_lo, -1, 0
	s_cmp_lg_u32 s4, 1
	s_cselect_b32 s10, -1, 0
	s_ashr_i32 s13, s12, 31
	s_delay_alu instid0(SALU_CYCLE_1) | instskip(NEXT) | instid1(SALU_CYCLE_1)
	s_lshl_b64 s[4:5], s[12:13], 2
	s_add_u32 s6, s6, s4
	s_addc_u32 s7, s7, s5
	s_add_u32 s8, s6, 4
	s_addc_u32 s9, s7, 0
	;; [unrolled: 2-line block ×3, first 2 shown]
	s_cmp_eq_u64 s[0:1], 0
	s_cselect_b32 s1, s9, s5
	s_cselect_b32 s0, s8, s4
	s_load_b32 s11, s[6:7], 0x0
	s_load_b32 s13, s[0:1], 0x0
	s_load_b64 s[8:9], s[2:3], 0x60
	s_waitcnt lgkmcnt(0)
	s_cmp_ge_i32 s11, s13
	s_cbranch_scc1 .LBB531_14
; %bb.10:
	v_mul_lo_u16 v0, v13, 13
	s_clause 0x1
	s_load_b128 s[4:7], s[2:3], 0x38
	s_load_b64 s[0:1], s[2:3], 0x48
	v_dual_mov_b32 v2, 0 :: v_dual_and_b32 v1, 0xffff, v4
	v_lshrrev_b16 v0, 8, v0
	s_sub_i32 s3, s11, s14
	v_dual_mov_b32 v3, 0 :: v_dual_lshlrev_b32 v14, 3, v4
	s_sub_i32 s2, s13, s14
	s_delay_alu instid0(VALU_DEP_2)
	v_mul_lo_u16 v0, v0, 20
	v_and_b32_e32 v15, 0xffff, v18
	v_mul_u32_u24_e32 v1, 0xa4, v1
	s_mul_i32 s13, s3, 0xc80
	s_mul_hi_i32 s11, s3, 0xc80
	v_sub_nc_u16 v0, v13, v0
	s_delay_alu instid0(VALU_DEP_2) | instskip(NEXT) | instid1(VALU_DEP_2)
	v_lshrrev_b32_e32 v19, 16, v1
	v_and_b32_e32 v0, 0xff, v0
	s_waitcnt lgkmcnt(0)
	s_add_u32 s6, s6, s13
	s_addc_u32 s7, s7, s11
	v_add_co_u32 v13, s6, s6, v14
	v_dual_cndmask_b32 v15, v15, v0 :: v_dual_mov_b32 v0, v2
	v_mov_b32_e32 v1, v3
	v_add_co_ci_u32_e64 v14, null, s7, 0, s6
	s_set_inst_prefetch_distance 0x1
	s_branch .LBB531_12
	.p2align	6
.LBB531_11:                             ;   in Loop: Header=BB531_12 Depth=1
	s_or_b32 exec_lo, exec_lo, s6
	s_add_i32 s3, s3, 1
	s_delay_alu instid0(SALU_CYCLE_1)
	s_cmp_lt_i32 s3, s2
	s_cbranch_scc0 .LBB531_14
.LBB531_12:                             ; =>This Inner Loop Header: Depth=1
	v_add_nc_u32_e32 v16, s3, v19
	s_mov_b32 s6, exec_lo
	s_delay_alu instid0(VALU_DEP_1)
	v_cmpx_gt_i32_e64 s2, v16
	s_cbranch_execz .LBB531_11
; %bb.13:                               ;   in Loop: Header=BB531_12 Depth=1
	v_ashrrev_i32_e32 v17, 31, v16
	s_delay_alu instid0(VALU_DEP_1) | instskip(NEXT) | instid1(VALU_DEP_1)
	v_lshlrev_b64 v[16:17], 2, v[16:17]
	v_add_co_u32 v16, vcc_lo, s4, v16
	s_delay_alu instid0(VALU_DEP_2)
	v_add_co_ci_u32_e32 v17, vcc_lo, s5, v17, vcc_lo
	global_load_b32 v20, v[16:17], off
	global_load_b64 v[16:17], v[13:14], off
	s_waitcnt vmcnt(1)
	v_subrev_nc_u32_e32 v22, s14, v20
	s_waitcnt vmcnt(0)
	v_cvt_f64_f32_e32 v[24:25], v16
	s_delay_alu instid0(VALU_DEP_2) | instskip(SKIP_1) | instid1(VALU_DEP_2)
	v_mad_u64_u32 v[20:21], null, v22, 20, v[15:16]
	v_cvt_f64_f32_e32 v[16:17], v17
	v_ashrrev_i32_e32 v21, 31, v20
	s_delay_alu instid0(VALU_DEP_1) | instskip(NEXT) | instid1(VALU_DEP_1)
	v_lshlrev_b64 v[20:21], 4, v[20:21]
	v_add_co_u32 v20, vcc_lo, s0, v20
	s_delay_alu instid0(VALU_DEP_2)
	v_add_co_ci_u32_e32 v21, vcc_lo, s1, v21, vcc_lo
	v_add_co_u32 v13, vcc_lo, 0xc80, v13
	v_add_co_ci_u32_e32 v14, vcc_lo, 0, v14, vcc_lo
	global_load_b128 v[20:23], v[20:21], off
	s_waitcnt vmcnt(0)
	v_fma_f64 v[0:1], v[24:25], v[20:21], v[0:1]
	v_fma_f64 v[2:3], v[16:17], v[20:21], v[2:3]
	s_delay_alu instid0(VALU_DEP_2) | instskip(NEXT) | instid1(VALU_DEP_2)
	v_fma_f64 v[0:1], -v[16:17], v[22:23], v[0:1]
	v_fma_f64 v[2:3], v[24:25], v[22:23], v[2:3]
	s_branch .LBB531_11
.LBB531_14:
	s_set_inst_prefetch_distance 0x2
	v_lshlrev_b32_e32 v17, 4, v4
	s_and_b32 vcc_lo, exec_lo, s10
	ds_store_b128 v17, v[0:3]
	s_waitcnt vmcnt(0) lgkmcnt(0)
	s_barrier
	buffer_gl0_inv
	s_cbranch_vccz .LBB531_26
; %bb.15:
	v_cmp_gt_u16_e32 vcc_lo, 4, v18
	s_and_saveexec_b32 s0, vcc_lo
	s_cbranch_execz .LBB531_17
; %bb.16:
	ds_load_b128 v[13:16], v17 offset:256
	ds_load_b128 v[19:22], v17
	s_waitcnt lgkmcnt(0)
	v_add_f64 v[13:14], v[13:14], v[19:20]
	v_add_f64 v[15:16], v[15:16], v[21:22]
	ds_store_b128 v17, v[13:16]
.LBB531_17:
	s_or_b32 exec_lo, exec_lo, s0
	s_delay_alu instid0(SALU_CYCLE_1)
	s_mov_b32 s1, exec_lo
	s_waitcnt lgkmcnt(0)
	s_barrier
	buffer_gl0_inv
	v_cmpx_gt_u16_e32 8, v18
	s_cbranch_execz .LBB531_19
; %bb.18:
	ds_load_b128 v[13:16], v17 offset:128
	ds_load_b128 v[19:22], v17
	s_waitcnt lgkmcnt(0)
	v_add_f64 v[13:14], v[13:14], v[19:20]
	v_add_f64 v[15:16], v[15:16], v[21:22]
	ds_store_b128 v17, v[13:16]
.LBB531_19:
	s_or_b32 exec_lo, exec_lo, s1
	s_waitcnt lgkmcnt(0)
	s_barrier
	buffer_gl0_inv
	s_and_saveexec_b32 s0, vcc_lo
	s_cbranch_execz .LBB531_21
; %bb.20:
	ds_load_b128 v[13:16], v17 offset:64
	ds_load_b128 v[19:22], v17
	s_waitcnt lgkmcnt(0)
	v_add_f64 v[13:14], v[13:14], v[19:20]
	v_add_f64 v[15:16], v[15:16], v[21:22]
	ds_store_b128 v17, v[13:16]
.LBB531_21:
	s_or_b32 exec_lo, exec_lo, s0
	s_delay_alu instid0(SALU_CYCLE_1)
	s_mov_b32 s0, exec_lo
	s_waitcnt lgkmcnt(0)
	s_barrier
	buffer_gl0_inv
	v_cmpx_gt_u16_e32 2, v18
	s_cbranch_execz .LBB531_23
; %bb.22:
	ds_load_b128 v[13:16], v17
	ds_load_b128 v[18:21], v17 offset:32
	s_waitcnt lgkmcnt(0)
	v_add_f64 v[13:14], v[18:19], v[13:14]
	v_add_f64 v[15:16], v[20:21], v[15:16]
	ds_store_b128 v17, v[13:16]
.LBB531_23:
	s_or_b32 exec_lo, exec_lo, s0
	v_dual_mov_b32 v16, v3 :: v_dual_mov_b32 v15, v2
	v_dual_mov_b32 v14, v1 :: v_dual_mov_b32 v13, v0
	s_mov_b32 s0, exec_lo
	s_waitcnt lgkmcnt(0)
	s_barrier
	buffer_gl0_inv
	v_cmpx_gt_u32_e32 20, v4
	s_cbranch_execz .LBB531_25
; %bb.24:
	v_mul_u32_u24_e32 v13, 20, v4
	s_delay_alu instid0(VALU_DEP_1)
	v_lshlrev_b32_e32 v18, 4, v13
	ds_load_b128 v[13:16], v18
	ds_load_b128 v[18:21], v18 offset:16
	s_waitcnt lgkmcnt(0)
	v_add_f64 v[13:14], v[18:19], v[13:14]
	v_add_f64 v[15:16], v[20:21], v[15:16]
.LBB531_25:
	s_or_b32 exec_lo, exec_lo, s0
	s_branch .LBB531_38
.LBB531_26:
                                        ; implicit-def: $vgpr15_vgpr16
                                        ; implicit-def: $vgpr13_vgpr14
	s_cbranch_execz .LBB531_38
; %bb.27:
	v_cmp_gt_u32_e32 vcc_lo, 0x50, v4
	s_and_saveexec_b32 s0, vcc_lo
	s_cbranch_execz .LBB531_29
; %bb.28:
	ds_load_b128 v[13:16], v17 offset:5120
	ds_load_b128 v[18:21], v17
	s_waitcnt lgkmcnt(0)
	v_add_f64 v[13:14], v[13:14], v[18:19]
	v_add_f64 v[15:16], v[15:16], v[20:21]
	ds_store_b128 v17, v[13:16]
.LBB531_29:
	s_or_b32 exec_lo, exec_lo, s0
	s_delay_alu instid0(SALU_CYCLE_1)
	s_mov_b32 s1, exec_lo
	s_waitcnt lgkmcnt(0)
	s_barrier
	buffer_gl0_inv
	v_cmpx_gt_u32_e32 0xa0, v4
	s_cbranch_execz .LBB531_31
; %bb.30:
	ds_load_b128 v[13:16], v17 offset:2560
	ds_load_b128 v[18:21], v17
	s_waitcnt lgkmcnt(0)
	v_add_f64 v[13:14], v[13:14], v[18:19]
	v_add_f64 v[15:16], v[15:16], v[20:21]
	ds_store_b128 v17, v[13:16]
.LBB531_31:
	s_or_b32 exec_lo, exec_lo, s1
	s_waitcnt lgkmcnt(0)
	s_barrier
	buffer_gl0_inv
	s_and_saveexec_b32 s0, vcc_lo
	s_cbranch_execz .LBB531_33
; %bb.32:
	ds_load_b128 v[13:16], v17 offset:1280
	ds_load_b128 v[18:21], v17
	s_waitcnt lgkmcnt(0)
	v_add_f64 v[13:14], v[13:14], v[18:19]
	v_add_f64 v[15:16], v[15:16], v[20:21]
	ds_store_b128 v17, v[13:16]
.LBB531_33:
	s_or_b32 exec_lo, exec_lo, s0
	s_delay_alu instid0(SALU_CYCLE_1)
	s_mov_b32 s0, exec_lo
	s_waitcnt lgkmcnt(0)
	s_barrier
	buffer_gl0_inv
	v_cmpx_gt_u32_e32 40, v4
	s_cbranch_execz .LBB531_35
; %bb.34:
	ds_load_b128 v[13:16], v17 offset:640
	ds_load_b128 v[18:21], v17
	s_waitcnt lgkmcnt(0)
	v_add_f64 v[13:14], v[13:14], v[18:19]
	v_add_f64 v[15:16], v[15:16], v[20:21]
	ds_store_b128 v17, v[13:16]
.LBB531_35:
	s_or_b32 exec_lo, exec_lo, s0
	s_delay_alu instid0(SALU_CYCLE_1)
	s_mov_b32 s0, exec_lo
	s_waitcnt lgkmcnt(0)
	buffer_gl0_inv
	v_cmpx_gt_u32_e32 20, v4
	s_cbranch_execz .LBB531_37
; %bb.36:
	ds_load_b128 v[0:3], v17 offset:320
	ds_load_b128 v[13:16], v17
	s_waitcnt lgkmcnt(0)
	v_add_f64 v[0:1], v[0:1], v[13:14]
	v_add_f64 v[2:3], v[2:3], v[15:16]
.LBB531_37:
	s_or_b32 exec_lo, exec_lo, s0
	s_delay_alu instid0(VALU_DEP_1) | instskip(NEXT) | instid1(VALU_DEP_3)
	v_dual_mov_b32 v16, v3 :: v_dual_mov_b32 v15, v2
	v_dual_mov_b32 v14, v1 :: v_dual_mov_b32 v13, v0
.LBB531_38:
	v_cmp_gt_u32_e32 vcc_lo, 20, v4
	s_and_b32 exec_lo, exec_lo, vcc_lo
	s_cbranch_execz .LBB531_43
; %bb.39:
	s_delay_alu instid0(VALU_DEP_2) | instskip(SKIP_3) | instid1(VALU_DEP_4)
	v_mul_f64 v[0:1], v[15:16], -v[11:12]
	v_mul_f64 v[2:3], v[9:10], v[15:16]
	v_cmp_eq_f64_e32 vcc_lo, 0, v[5:6]
	v_cmp_eq_f64_e64 s0, 0, v[7:8]
	v_fma_f64 v[0:1], v[9:10], v[13:14], v[0:1]
	s_delay_alu instid0(VALU_DEP_4) | instskip(NEXT) | instid1(VALU_DEP_3)
	v_fma_f64 v[2:3], v[11:12], v[13:14], v[2:3]
	s_and_b32 s0, vcc_lo, s0
	s_delay_alu instid0(SALU_CYCLE_1) | instskip(NEXT) | instid1(SALU_CYCLE_1)
	s_and_saveexec_b32 s1, s0
	s_xor_b32 s0, exec_lo, s1
	s_cbranch_execz .LBB531_41
; %bb.40:
	v_mad_u64_u32 v[5:6], null, s12, 20, v[4:5]
	v_mov_b32_e32 v6, 0
                                        ; implicit-def: $vgpr7_vgpr8
	s_delay_alu instid0(VALU_DEP_1) | instskip(NEXT) | instid1(VALU_DEP_1)
	v_lshlrev_b64 v[4:5], 4, v[5:6]
	v_add_co_u32 v4, vcc_lo, s8, v4
	s_delay_alu instid0(VALU_DEP_2)
	v_add_co_ci_u32_e32 v5, vcc_lo, s9, v5, vcc_lo
	global_store_b128 v[4:5], v[0:3], off
                                        ; implicit-def: $vgpr4
                                        ; implicit-def: $vgpr5_vgpr6
                                        ; implicit-def: $vgpr0_vgpr1
.LBB531_41:
	s_and_not1_saveexec_b32 s0, s0
	s_cbranch_execz .LBB531_43
; %bb.42:
	v_mad_u64_u32 v[9:10], null, s12, 20, v[4:5]
	v_mov_b32_e32 v10, 0
	s_delay_alu instid0(VALU_DEP_1) | instskip(NEXT) | instid1(VALU_DEP_1)
	v_lshlrev_b64 v[9:10], 4, v[9:10]
	v_add_co_u32 v13, vcc_lo, s8, v9
	s_delay_alu instid0(VALU_DEP_2) | instskip(SKIP_4) | instid1(VALU_DEP_2)
	v_add_co_ci_u32_e32 v14, vcc_lo, s9, v10, vcc_lo
	global_load_b128 v[9:12], v[13:14], off
	s_waitcnt vmcnt(0)
	v_fma_f64 v[0:1], v[5:6], v[9:10], v[0:1]
	v_fma_f64 v[2:3], v[7:8], v[9:10], v[2:3]
	v_fma_f64 v[0:1], -v[7:8], v[11:12], v[0:1]
	s_delay_alu instid0(VALU_DEP_2)
	v_fma_f64 v[2:3], v[5:6], v[11:12], v[2:3]
	global_store_b128 v[13:14], v[0:3], off
.LBB531_43:
	s_nop 0
	s_sendmsg sendmsg(MSG_DEALLOC_VGPRS)
	s_endpgm
	.section	.rodata,"a",@progbits
	.p2align	6, 0x0
	.amdhsa_kernel _ZN9rocsparseL20bsrxmvn_17_32_kernelILj20E21rocsparse_complex_numIdEiiS1_IfES2_S2_EEvT2_20rocsparse_direction_NS_24const_host_device_scalarIT0_EES4_PKS4_PKT1_SD_SA_PKT3_PKT4_S8_PT5_21rocsparse_index_base_b
		.amdhsa_group_segment_fixed_size 12800
		.amdhsa_private_segment_fixed_size 0
		.amdhsa_kernarg_size 112
		.amdhsa_user_sgpr_count 15
		.amdhsa_user_sgpr_dispatch_ptr 1
		.amdhsa_user_sgpr_queue_ptr 0
		.amdhsa_user_sgpr_kernarg_segment_ptr 1
		.amdhsa_user_sgpr_dispatch_id 0
		.amdhsa_user_sgpr_private_segment_size 0
		.amdhsa_wavefront_size32 1
		.amdhsa_uses_dynamic_stack 0
		.amdhsa_enable_private_segment 0
		.amdhsa_system_sgpr_workgroup_id_x 1
		.amdhsa_system_sgpr_workgroup_id_y 0
		.amdhsa_system_sgpr_workgroup_id_z 0
		.amdhsa_system_sgpr_workgroup_info 0
		.amdhsa_system_vgpr_workitem_id 2
		.amdhsa_next_free_vgpr 26
		.amdhsa_next_free_sgpr 18
		.amdhsa_reserve_vcc 1
		.amdhsa_float_round_mode_32 0
		.amdhsa_float_round_mode_16_64 0
		.amdhsa_float_denorm_mode_32 3
		.amdhsa_float_denorm_mode_16_64 3
		.amdhsa_dx10_clamp 1
		.amdhsa_ieee_mode 1
		.amdhsa_fp16_overflow 0
		.amdhsa_workgroup_processor_mode 1
		.amdhsa_memory_ordered 1
		.amdhsa_forward_progress 0
		.amdhsa_shared_vgpr_count 0
		.amdhsa_exception_fp_ieee_invalid_op 0
		.amdhsa_exception_fp_denorm_src 0
		.amdhsa_exception_fp_ieee_div_zero 0
		.amdhsa_exception_fp_ieee_overflow 0
		.amdhsa_exception_fp_ieee_underflow 0
		.amdhsa_exception_fp_ieee_inexact 0
		.amdhsa_exception_int_div_zero 0
	.end_amdhsa_kernel
	.section	.text._ZN9rocsparseL20bsrxmvn_17_32_kernelILj20E21rocsparse_complex_numIdEiiS1_IfES2_S2_EEvT2_20rocsparse_direction_NS_24const_host_device_scalarIT0_EES4_PKS4_PKT1_SD_SA_PKT3_PKT4_S8_PT5_21rocsparse_index_base_b,"axG",@progbits,_ZN9rocsparseL20bsrxmvn_17_32_kernelILj20E21rocsparse_complex_numIdEiiS1_IfES2_S2_EEvT2_20rocsparse_direction_NS_24const_host_device_scalarIT0_EES4_PKS4_PKT1_SD_SA_PKT3_PKT4_S8_PT5_21rocsparse_index_base_b,comdat
.Lfunc_end531:
	.size	_ZN9rocsparseL20bsrxmvn_17_32_kernelILj20E21rocsparse_complex_numIdEiiS1_IfES2_S2_EEvT2_20rocsparse_direction_NS_24const_host_device_scalarIT0_EES4_PKS4_PKT1_SD_SA_PKT3_PKT4_S8_PT5_21rocsparse_index_base_b, .Lfunc_end531-_ZN9rocsparseL20bsrxmvn_17_32_kernelILj20E21rocsparse_complex_numIdEiiS1_IfES2_S2_EEvT2_20rocsparse_direction_NS_24const_host_device_scalarIT0_EES4_PKS4_PKT1_SD_SA_PKT3_PKT4_S8_PT5_21rocsparse_index_base_b
                                        ; -- End function
	.section	.AMDGPU.csdata,"",@progbits
; Kernel info:
; codeLenInByte = 2072
; NumSgprs: 20
; NumVgprs: 26
; ScratchSize: 0
; MemoryBound: 0
; FloatMode: 240
; IeeeMode: 1
; LDSByteSize: 12800 bytes/workgroup (compile time only)
; SGPRBlocks: 2
; VGPRBlocks: 3
; NumSGPRsForWavesPerEU: 20
; NumVGPRsForWavesPerEU: 26
; Occupancy: 13
; WaveLimiterHint : 1
; COMPUTE_PGM_RSRC2:SCRATCH_EN: 0
; COMPUTE_PGM_RSRC2:USER_SGPR: 15
; COMPUTE_PGM_RSRC2:TRAP_HANDLER: 0
; COMPUTE_PGM_RSRC2:TGID_X_EN: 1
; COMPUTE_PGM_RSRC2:TGID_Y_EN: 0
; COMPUTE_PGM_RSRC2:TGID_Z_EN: 0
; COMPUTE_PGM_RSRC2:TIDIG_COMP_CNT: 2
	.section	.text._ZN9rocsparseL20bsrxmvn_17_32_kernelILj21E21rocsparse_complex_numIdEiiS1_IfES2_S2_EEvT2_20rocsparse_direction_NS_24const_host_device_scalarIT0_EES4_PKS4_PKT1_SD_SA_PKT3_PKT4_S8_PT5_21rocsparse_index_base_b,"axG",@progbits,_ZN9rocsparseL20bsrxmvn_17_32_kernelILj21E21rocsparse_complex_numIdEiiS1_IfES2_S2_EEvT2_20rocsparse_direction_NS_24const_host_device_scalarIT0_EES4_PKS4_PKT1_SD_SA_PKT3_PKT4_S8_PT5_21rocsparse_index_base_b,comdat
	.globl	_ZN9rocsparseL20bsrxmvn_17_32_kernelILj21E21rocsparse_complex_numIdEiiS1_IfES2_S2_EEvT2_20rocsparse_direction_NS_24const_host_device_scalarIT0_EES4_PKS4_PKT1_SD_SA_PKT3_PKT4_S8_PT5_21rocsparse_index_base_b ; -- Begin function _ZN9rocsparseL20bsrxmvn_17_32_kernelILj21E21rocsparse_complex_numIdEiiS1_IfES2_S2_EEvT2_20rocsparse_direction_NS_24const_host_device_scalarIT0_EES4_PKS4_PKT1_SD_SA_PKT3_PKT4_S8_PT5_21rocsparse_index_base_b
	.p2align	8
	.type	_ZN9rocsparseL20bsrxmvn_17_32_kernelILj21E21rocsparse_complex_numIdEiiS1_IfES2_S2_EEvT2_20rocsparse_direction_NS_24const_host_device_scalarIT0_EES4_PKS4_PKT1_SD_SA_PKT3_PKT4_S8_PT5_21rocsparse_index_base_b,@function
_ZN9rocsparseL20bsrxmvn_17_32_kernelILj21E21rocsparse_complex_numIdEiiS1_IfES2_S2_EEvT2_20rocsparse_direction_NS_24const_host_device_scalarIT0_EES4_PKS4_PKT1_SD_SA_PKT3_PKT4_S8_PT5_21rocsparse_index_base_b: ; @_ZN9rocsparseL20bsrxmvn_17_32_kernelILj21E21rocsparse_complex_numIdEiiS1_IfES2_S2_EEvT2_20rocsparse_direction_NS_24const_host_device_scalarIT0_EES4_PKS4_PKT1_SD_SA_PKT3_PKT4_S8_PT5_21rocsparse_index_base_b
; %bb.0:
	s_mov_b32 s12, s15
	s_clause 0x1
	s_load_b64 s[14:15], s[2:3], 0x68
	s_load_b128 s[4:7], s[2:3], 0x8
	s_load_b64 s[16:17], s[0:1], 0x4
	s_mov_b64 s[0:1], src_shared_base
	v_and_b32_e32 v4, 0x3ff, v0
	s_load_b128 s[8:11], s[2:3], 0x50
	v_bfe_u32 v2, v0, 10, 10
	v_bfe_u32 v0, v0, 20, 10
	s_waitcnt lgkmcnt(0)
	s_bitcmp1_b32 s15, 0
	v_mov_b32_e32 v12, s7
	s_cselect_b32 s0, -1, 0
	v_mov_b32_e32 v11, s6
	s_and_b32 vcc_lo, s0, exec_lo
	s_cselect_b32 s13, s1, s5
	s_lshr_b32 s15, s16, 16
	v_mov_b32_e32 v6, s13
	s_mul_i32 s15, s15, s17
	s_xor_b32 s6, s0, -1
	v_mul_lo_u32 v1, s15, v4
	s_delay_alu instid0(VALU_DEP_1) | instskip(SKIP_1) | instid1(VALU_DEP_2)
	v_mad_u32_u24 v1, v2, s17, v1
	v_dual_mov_b32 v2, s8 :: v_dual_mov_b32 v3, s9
	v_add_lshl_u32 v7, v1, v0, 3
	v_dual_mov_b32 v0, s4 :: v_dual_mov_b32 v1, s5
	ds_store_b64 v7, v[0:1] offset:10584
	ds_store_b64 v7, v[2:3] offset:7056
	v_add_nc_u32_e32 v5, 0x2958, v7
	v_add_nc_u32_e32 v0, 0x1b90, v7
	s_delay_alu instid0(VALU_DEP_2)
	v_cndmask_b32_e64 v5, s4, v5, s0
	flat_load_b64 v[9:10], v[5:6]
	s_cbranch_vccnz .LBB532_2
; %bb.1:
	v_dual_mov_b32 v1, s4 :: v_dual_mov_b32 v2, s5
	flat_load_b64 v[11:12], v[1:2] offset:8
.LBB532_2:
	s_and_b32 s4, s0, exec_lo
	s_cselect_b32 s1, s1, s9
	v_cndmask_b32_e64 v0, s8, v0, s0
	v_mov_b32_e32 v1, s1
	v_dual_mov_b32 v7, s10 :: v_dual_mov_b32 v8, s11
	s_and_not1_b32 vcc_lo, exec_lo, s6
	flat_load_b64 v[5:6], v[0:1]
	s_cbranch_vccnz .LBB532_4
; %bb.3:
	v_dual_mov_b32 v0, s8 :: v_dual_mov_b32 v1, s9
	flat_load_b64 v[7:8], v[0:1] offset:8
.LBB532_4:
	s_waitcnt vmcnt(1) lgkmcnt(1)
	v_cmp_eq_f64_e32 vcc_lo, 0, v[9:10]
	v_cmp_eq_f64_e64 s0, 0, v[11:12]
	s_delay_alu instid0(VALU_DEP_1)
	s_and_b32 s4, vcc_lo, s0
	s_mov_b32 s0, -1
	s_and_saveexec_b32 s1, s4
	s_cbranch_execz .LBB532_6
; %bb.5:
	s_waitcnt vmcnt(0) lgkmcnt(0)
	v_cmp_neq_f64_e32 vcc_lo, 1.0, v[5:6]
	v_cmp_neq_f64_e64 s0, 0, v[7:8]
	s_delay_alu instid0(VALU_DEP_1) | instskip(NEXT) | instid1(SALU_CYCLE_1)
	s_or_b32 s0, vcc_lo, s0
	s_or_not1_b32 s0, s0, exec_lo
.LBB532_6:
	s_or_b32 exec_lo, exec_lo, s1
	s_and_saveexec_b32 s1, s0
	s_cbranch_execz .LBB532_43
; %bb.7:
	s_clause 0x1
	s_load_b128 s[4:7], s[2:3], 0x20
	s_load_b64 s[0:1], s[2:3], 0x30
	s_waitcnt lgkmcnt(0)
	s_cmp_eq_u64 s[4:5], 0
	s_cbranch_scc1 .LBB532_9
; %bb.8:
	s_ashr_i32 s13, s12, 31
	s_delay_alu instid0(SALU_CYCLE_1) | instskip(NEXT) | instid1(SALU_CYCLE_1)
	s_lshl_b64 s[8:9], s[12:13], 2
	s_add_u32 s4, s4, s8
	s_addc_u32 s5, s5, s9
	s_load_b32 s4, s[4:5], 0x0
	s_waitcnt lgkmcnt(0)
	s_sub_i32 s12, s4, s14
.LBB532_9:
	s_load_b32 s4, s[2:3], 0x4
	v_mul_u32_u24_e32 v0, 0xc31, v4
	v_mov_b32_e32 v2, 0
	v_mov_b32_e32 v3, 0
	s_delay_alu instid0(VALU_DEP_3) | instskip(NEXT) | instid1(VALU_DEP_1)
	v_lshrrev_b32_e32 v13, 16, v0
	v_mul_lo_u16 v0, v13, 21
	s_delay_alu instid0(VALU_DEP_1) | instskip(NEXT) | instid1(VALU_DEP_4)
	v_sub_nc_u16 v18, v4, v0
	v_dual_mov_b32 v0, v2 :: v_dual_mov_b32 v1, v3
	s_waitcnt lgkmcnt(0)
	s_cmp_eq_u32 s4, 1
	s_cselect_b32 vcc_lo, -1, 0
	s_cmp_lg_u32 s4, 1
	s_cselect_b32 s10, -1, 0
	s_ashr_i32 s13, s12, 31
	s_delay_alu instid0(SALU_CYCLE_1) | instskip(NEXT) | instid1(SALU_CYCLE_1)
	s_lshl_b64 s[4:5], s[12:13], 2
	s_add_u32 s6, s6, s4
	s_addc_u32 s7, s7, s5
	s_add_u32 s8, s6, 4
	s_addc_u32 s9, s7, 0
	;; [unrolled: 2-line block ×3, first 2 shown]
	s_cmp_eq_u64 s[0:1], 0
	s_cselect_b32 s1, s9, s5
	s_cselect_b32 s0, s8, s4
	s_load_b32 s11, s[6:7], 0x0
	s_load_b32 s13, s[0:1], 0x0
	s_load_b64 s[8:9], s[2:3], 0x60
	s_waitcnt lgkmcnt(0)
	s_cmp_ge_i32 s11, s13
	s_cbranch_scc1 .LBB532_14
; %bb.10:
	v_mul_lo_u16 v0, v13, 25
	s_clause 0x1
	s_load_b128 s[4:7], s[2:3], 0x38
	s_load_b64 s[0:1], s[2:3], 0x48
	v_dual_mov_b32 v2, 0 :: v_dual_and_b32 v1, 0xffff, v4
	v_lshrrev_b16 v0, 9, v0
	s_sub_i32 s3, s11, s14
	v_dual_mov_b32 v3, 0 :: v_dual_lshlrev_b32 v14, 3, v4
	s_sub_i32 s2, s13, s14
	s_delay_alu instid0(VALU_DEP_2)
	v_mul_lo_u16 v0, v0, 21
	v_and_b32_e32 v15, 0xffff, v18
	v_mul_u32_u24_e32 v1, 0x253, v1
	s_mul_i32 s13, s3, 0xdc8
	s_mul_hi_i32 s11, s3, 0xdc8
	v_sub_nc_u16 v0, v13, v0
	s_delay_alu instid0(VALU_DEP_2) | instskip(NEXT) | instid1(VALU_DEP_2)
	v_lshrrev_b32_e32 v19, 18, v1
	v_and_b32_e32 v0, 0xff, v0
	s_waitcnt lgkmcnt(0)
	s_add_u32 s6, s6, s13
	s_addc_u32 s7, s7, s11
	v_add_co_u32 v13, s6, s6, v14
	v_dual_cndmask_b32 v15, v15, v0 :: v_dual_mov_b32 v0, v2
	v_mov_b32_e32 v1, v3
	v_add_co_ci_u32_e64 v14, null, s7, 0, s6
	s_set_inst_prefetch_distance 0x1
	s_branch .LBB532_12
	.p2align	6
.LBB532_11:                             ;   in Loop: Header=BB532_12 Depth=1
	s_or_b32 exec_lo, exec_lo, s6
	s_add_i32 s3, s3, 1
	s_delay_alu instid0(SALU_CYCLE_1)
	s_cmp_lt_i32 s3, s2
	s_cbranch_scc0 .LBB532_14
.LBB532_12:                             ; =>This Inner Loop Header: Depth=1
	v_add_nc_u32_e32 v16, s3, v19
	s_mov_b32 s6, exec_lo
	s_delay_alu instid0(VALU_DEP_1)
	v_cmpx_gt_i32_e64 s2, v16
	s_cbranch_execz .LBB532_11
; %bb.13:                               ;   in Loop: Header=BB532_12 Depth=1
	v_ashrrev_i32_e32 v17, 31, v16
	s_delay_alu instid0(VALU_DEP_1) | instskip(NEXT) | instid1(VALU_DEP_1)
	v_lshlrev_b64 v[16:17], 2, v[16:17]
	v_add_co_u32 v16, vcc_lo, s4, v16
	s_delay_alu instid0(VALU_DEP_2)
	v_add_co_ci_u32_e32 v17, vcc_lo, s5, v17, vcc_lo
	global_load_b32 v20, v[16:17], off
	global_load_b64 v[16:17], v[13:14], off
	s_waitcnt vmcnt(1)
	v_subrev_nc_u32_e32 v22, s14, v20
	s_waitcnt vmcnt(0)
	v_cvt_f64_f32_e32 v[24:25], v16
	s_delay_alu instid0(VALU_DEP_2) | instskip(SKIP_1) | instid1(VALU_DEP_2)
	v_mad_u64_u32 v[20:21], null, v22, 21, v[15:16]
	v_cvt_f64_f32_e32 v[16:17], v17
	v_ashrrev_i32_e32 v21, 31, v20
	s_delay_alu instid0(VALU_DEP_1) | instskip(NEXT) | instid1(VALU_DEP_1)
	v_lshlrev_b64 v[20:21], 4, v[20:21]
	v_add_co_u32 v20, vcc_lo, s0, v20
	s_delay_alu instid0(VALU_DEP_2)
	v_add_co_ci_u32_e32 v21, vcc_lo, s1, v21, vcc_lo
	v_add_co_u32 v13, vcc_lo, 0xdc8, v13
	v_add_co_ci_u32_e32 v14, vcc_lo, 0, v14, vcc_lo
	global_load_b128 v[20:23], v[20:21], off
	s_waitcnt vmcnt(0)
	v_fma_f64 v[0:1], v[24:25], v[20:21], v[0:1]
	v_fma_f64 v[2:3], v[16:17], v[20:21], v[2:3]
	s_delay_alu instid0(VALU_DEP_2) | instskip(NEXT) | instid1(VALU_DEP_2)
	v_fma_f64 v[0:1], -v[16:17], v[22:23], v[0:1]
	v_fma_f64 v[2:3], v[24:25], v[22:23], v[2:3]
	s_branch .LBB532_11
.LBB532_14:
	s_set_inst_prefetch_distance 0x2
	v_lshlrev_b32_e32 v17, 4, v4
	s_and_b32 vcc_lo, exec_lo, s10
	ds_store_b128 v17, v[0:3]
	s_waitcnt vmcnt(0) lgkmcnt(0)
	s_barrier
	buffer_gl0_inv
	s_cbranch_vccz .LBB532_26
; %bb.15:
	s_mov_b32 s0, exec_lo
	v_cmpx_gt_u16_e32 5, v18
	s_cbranch_execz .LBB532_17
; %bb.16:
	ds_load_b128 v[13:16], v17 offset:256
	ds_load_b128 v[19:22], v17
	s_waitcnt lgkmcnt(0)
	v_add_f64 v[13:14], v[13:14], v[19:20]
	v_add_f64 v[15:16], v[15:16], v[21:22]
	ds_store_b128 v17, v[13:16]
.LBB532_17:
	s_or_b32 exec_lo, exec_lo, s0
	s_delay_alu instid0(SALU_CYCLE_1)
	s_mov_b32 s0, exec_lo
	s_waitcnt lgkmcnt(0)
	s_barrier
	buffer_gl0_inv
	v_cmpx_gt_u16_e32 8, v18
	s_cbranch_execz .LBB532_19
; %bb.18:
	ds_load_b128 v[13:16], v17 offset:128
	ds_load_b128 v[19:22], v17
	s_waitcnt lgkmcnt(0)
	v_add_f64 v[13:14], v[13:14], v[19:20]
	v_add_f64 v[15:16], v[15:16], v[21:22]
	ds_store_b128 v17, v[13:16]
.LBB532_19:
	s_or_b32 exec_lo, exec_lo, s0
	s_delay_alu instid0(SALU_CYCLE_1)
	s_mov_b32 s0, exec_lo
	s_waitcnt lgkmcnt(0)
	s_barrier
	buffer_gl0_inv
	;; [unrolled: 16-line block ×3, first 2 shown]
	v_cmpx_gt_u16_e32 2, v18
	s_cbranch_execz .LBB532_23
; %bb.22:
	ds_load_b128 v[13:16], v17
	ds_load_b128 v[18:21], v17 offset:32
	s_waitcnt lgkmcnt(0)
	v_add_f64 v[13:14], v[18:19], v[13:14]
	v_add_f64 v[15:16], v[20:21], v[15:16]
	ds_store_b128 v17, v[13:16]
.LBB532_23:
	s_or_b32 exec_lo, exec_lo, s0
	v_dual_mov_b32 v16, v3 :: v_dual_mov_b32 v15, v2
	v_dual_mov_b32 v14, v1 :: v_dual_mov_b32 v13, v0
	s_mov_b32 s0, exec_lo
	s_waitcnt lgkmcnt(0)
	s_barrier
	buffer_gl0_inv
	v_cmpx_gt_u32_e32 21, v4
	s_cbranch_execz .LBB532_25
; %bb.24:
	v_mul_u32_u24_e32 v13, 21, v4
	s_delay_alu instid0(VALU_DEP_1)
	v_lshlrev_b32_e32 v18, 4, v13
	ds_load_b128 v[13:16], v18
	ds_load_b128 v[18:21], v18 offset:16
	s_waitcnt lgkmcnt(0)
	v_add_f64 v[13:14], v[18:19], v[13:14]
	v_add_f64 v[15:16], v[20:21], v[15:16]
.LBB532_25:
	s_or_b32 exec_lo, exec_lo, s0
	s_branch .LBB532_38
.LBB532_26:
                                        ; implicit-def: $vgpr15_vgpr16
                                        ; implicit-def: $vgpr13_vgpr14
	s_cbranch_execz .LBB532_38
; %bb.27:
	s_mov_b32 s0, exec_lo
	v_cmpx_gt_u32_e32 0x69, v4
	s_cbranch_execz .LBB532_29
; %bb.28:
	ds_load_b128 v[13:16], v17 offset:5376
	ds_load_b128 v[18:21], v17
	s_waitcnt lgkmcnt(0)
	v_add_f64 v[13:14], v[13:14], v[18:19]
	v_add_f64 v[15:16], v[15:16], v[20:21]
	ds_store_b128 v17, v[13:16]
.LBB532_29:
	s_or_b32 exec_lo, exec_lo, s0
	s_delay_alu instid0(SALU_CYCLE_1)
	s_mov_b32 s0, exec_lo
	s_waitcnt lgkmcnt(0)
	s_barrier
	buffer_gl0_inv
	v_cmpx_gt_u32_e32 0xa8, v4
	s_cbranch_execz .LBB532_31
; %bb.30:
	ds_load_b128 v[13:16], v17 offset:2688
	ds_load_b128 v[18:21], v17
	s_waitcnt lgkmcnt(0)
	v_add_f64 v[13:14], v[13:14], v[18:19]
	v_add_f64 v[15:16], v[15:16], v[20:21]
	ds_store_b128 v17, v[13:16]
.LBB532_31:
	s_or_b32 exec_lo, exec_lo, s0
	s_delay_alu instid0(SALU_CYCLE_1)
	s_mov_b32 s0, exec_lo
	s_waitcnt lgkmcnt(0)
	s_barrier
	buffer_gl0_inv
	;; [unrolled: 16-line block ×3, first 2 shown]
	v_cmpx_gt_u32_e32 42, v4
	s_cbranch_execz .LBB532_35
; %bb.34:
	ds_load_b128 v[13:16], v17 offset:672
	ds_load_b128 v[18:21], v17
	s_waitcnt lgkmcnt(0)
	v_add_f64 v[13:14], v[13:14], v[18:19]
	v_add_f64 v[15:16], v[15:16], v[20:21]
	ds_store_b128 v17, v[13:16]
.LBB532_35:
	s_or_b32 exec_lo, exec_lo, s0
	s_delay_alu instid0(SALU_CYCLE_1)
	s_mov_b32 s0, exec_lo
	s_waitcnt lgkmcnt(0)
	buffer_gl0_inv
	v_cmpx_gt_u32_e32 21, v4
	s_cbranch_execz .LBB532_37
; %bb.36:
	ds_load_b128 v[0:3], v17 offset:336
	ds_load_b128 v[13:16], v17
	s_waitcnt lgkmcnt(0)
	v_add_f64 v[0:1], v[0:1], v[13:14]
	v_add_f64 v[2:3], v[2:3], v[15:16]
.LBB532_37:
	s_or_b32 exec_lo, exec_lo, s0
	s_delay_alu instid0(VALU_DEP_1) | instskip(NEXT) | instid1(VALU_DEP_3)
	v_dual_mov_b32 v16, v3 :: v_dual_mov_b32 v15, v2
	v_dual_mov_b32 v14, v1 :: v_dual_mov_b32 v13, v0
.LBB532_38:
	v_cmp_gt_u32_e32 vcc_lo, 21, v4
	s_and_b32 exec_lo, exec_lo, vcc_lo
	s_cbranch_execz .LBB532_43
; %bb.39:
	s_delay_alu instid0(VALU_DEP_2) | instskip(SKIP_3) | instid1(VALU_DEP_4)
	v_mul_f64 v[0:1], v[15:16], -v[11:12]
	v_mul_f64 v[2:3], v[9:10], v[15:16]
	v_cmp_eq_f64_e32 vcc_lo, 0, v[5:6]
	v_cmp_eq_f64_e64 s0, 0, v[7:8]
	v_fma_f64 v[0:1], v[9:10], v[13:14], v[0:1]
	s_delay_alu instid0(VALU_DEP_4) | instskip(NEXT) | instid1(VALU_DEP_3)
	v_fma_f64 v[2:3], v[11:12], v[13:14], v[2:3]
	s_and_b32 s0, vcc_lo, s0
	s_delay_alu instid0(SALU_CYCLE_1) | instskip(NEXT) | instid1(SALU_CYCLE_1)
	s_and_saveexec_b32 s1, s0
	s_xor_b32 s0, exec_lo, s1
	s_cbranch_execz .LBB532_41
; %bb.40:
	v_mad_u64_u32 v[5:6], null, s12, 21, v[4:5]
	v_mov_b32_e32 v6, 0
                                        ; implicit-def: $vgpr7_vgpr8
	s_delay_alu instid0(VALU_DEP_1) | instskip(NEXT) | instid1(VALU_DEP_1)
	v_lshlrev_b64 v[4:5], 4, v[5:6]
	v_add_co_u32 v4, vcc_lo, s8, v4
	s_delay_alu instid0(VALU_DEP_2)
	v_add_co_ci_u32_e32 v5, vcc_lo, s9, v5, vcc_lo
	global_store_b128 v[4:5], v[0:3], off
                                        ; implicit-def: $vgpr4
                                        ; implicit-def: $vgpr5_vgpr6
                                        ; implicit-def: $vgpr0_vgpr1
.LBB532_41:
	s_and_not1_saveexec_b32 s0, s0
	s_cbranch_execz .LBB532_43
; %bb.42:
	v_mad_u64_u32 v[9:10], null, s12, 21, v[4:5]
	v_mov_b32_e32 v10, 0
	s_delay_alu instid0(VALU_DEP_1) | instskip(NEXT) | instid1(VALU_DEP_1)
	v_lshlrev_b64 v[9:10], 4, v[9:10]
	v_add_co_u32 v13, vcc_lo, s8, v9
	s_delay_alu instid0(VALU_DEP_2) | instskip(SKIP_4) | instid1(VALU_DEP_2)
	v_add_co_ci_u32_e32 v14, vcc_lo, s9, v10, vcc_lo
	global_load_b128 v[9:12], v[13:14], off
	s_waitcnt vmcnt(0)
	v_fma_f64 v[0:1], v[5:6], v[9:10], v[0:1]
	v_fma_f64 v[2:3], v[7:8], v[9:10], v[2:3]
	v_fma_f64 v[0:1], -v[7:8], v[11:12], v[0:1]
	s_delay_alu instid0(VALU_DEP_2)
	v_fma_f64 v[2:3], v[5:6], v[11:12], v[2:3]
	global_store_b128 v[13:14], v[0:3], off
.LBB532_43:
	s_nop 0
	s_sendmsg sendmsg(MSG_DEALLOC_VGPRS)
	s_endpgm
	.section	.rodata,"a",@progbits
	.p2align	6, 0x0
	.amdhsa_kernel _ZN9rocsparseL20bsrxmvn_17_32_kernelILj21E21rocsparse_complex_numIdEiiS1_IfES2_S2_EEvT2_20rocsparse_direction_NS_24const_host_device_scalarIT0_EES4_PKS4_PKT1_SD_SA_PKT3_PKT4_S8_PT5_21rocsparse_index_base_b
		.amdhsa_group_segment_fixed_size 14112
		.amdhsa_private_segment_fixed_size 0
		.amdhsa_kernarg_size 112
		.amdhsa_user_sgpr_count 15
		.amdhsa_user_sgpr_dispatch_ptr 1
		.amdhsa_user_sgpr_queue_ptr 0
		.amdhsa_user_sgpr_kernarg_segment_ptr 1
		.amdhsa_user_sgpr_dispatch_id 0
		.amdhsa_user_sgpr_private_segment_size 0
		.amdhsa_wavefront_size32 1
		.amdhsa_uses_dynamic_stack 0
		.amdhsa_enable_private_segment 0
		.amdhsa_system_sgpr_workgroup_id_x 1
		.amdhsa_system_sgpr_workgroup_id_y 0
		.amdhsa_system_sgpr_workgroup_id_z 0
		.amdhsa_system_sgpr_workgroup_info 0
		.amdhsa_system_vgpr_workitem_id 2
		.amdhsa_next_free_vgpr 26
		.amdhsa_next_free_sgpr 18
		.amdhsa_reserve_vcc 1
		.amdhsa_float_round_mode_32 0
		.amdhsa_float_round_mode_16_64 0
		.amdhsa_float_denorm_mode_32 3
		.amdhsa_float_denorm_mode_16_64 3
		.amdhsa_dx10_clamp 1
		.amdhsa_ieee_mode 1
		.amdhsa_fp16_overflow 0
		.amdhsa_workgroup_processor_mode 1
		.amdhsa_memory_ordered 1
		.amdhsa_forward_progress 0
		.amdhsa_shared_vgpr_count 0
		.amdhsa_exception_fp_ieee_invalid_op 0
		.amdhsa_exception_fp_denorm_src 0
		.amdhsa_exception_fp_ieee_div_zero 0
		.amdhsa_exception_fp_ieee_overflow 0
		.amdhsa_exception_fp_ieee_underflow 0
		.amdhsa_exception_fp_ieee_inexact 0
		.amdhsa_exception_int_div_zero 0
	.end_amdhsa_kernel
	.section	.text._ZN9rocsparseL20bsrxmvn_17_32_kernelILj21E21rocsparse_complex_numIdEiiS1_IfES2_S2_EEvT2_20rocsparse_direction_NS_24const_host_device_scalarIT0_EES4_PKS4_PKT1_SD_SA_PKT3_PKT4_S8_PT5_21rocsparse_index_base_b,"axG",@progbits,_ZN9rocsparseL20bsrxmvn_17_32_kernelILj21E21rocsparse_complex_numIdEiiS1_IfES2_S2_EEvT2_20rocsparse_direction_NS_24const_host_device_scalarIT0_EES4_PKS4_PKT1_SD_SA_PKT3_PKT4_S8_PT5_21rocsparse_index_base_b,comdat
.Lfunc_end532:
	.size	_ZN9rocsparseL20bsrxmvn_17_32_kernelILj21E21rocsparse_complex_numIdEiiS1_IfES2_S2_EEvT2_20rocsparse_direction_NS_24const_host_device_scalarIT0_EES4_PKS4_PKT1_SD_SA_PKT3_PKT4_S8_PT5_21rocsparse_index_base_b, .Lfunc_end532-_ZN9rocsparseL20bsrxmvn_17_32_kernelILj21E21rocsparse_complex_numIdEiiS1_IfES2_S2_EEvT2_20rocsparse_direction_NS_24const_host_device_scalarIT0_EES4_PKS4_PKT1_SD_SA_PKT3_PKT4_S8_PT5_21rocsparse_index_base_b
                                        ; -- End function
	.section	.AMDGPU.csdata,"",@progbits
; Kernel info:
; codeLenInByte = 2092
; NumSgprs: 20
; NumVgprs: 26
; ScratchSize: 0
; MemoryBound: 0
; FloatMode: 240
; IeeeMode: 1
; LDSByteSize: 14112 bytes/workgroup (compile time only)
; SGPRBlocks: 2
; VGPRBlocks: 3
; NumSGPRsForWavesPerEU: 20
; NumVGPRsForWavesPerEU: 26
; Occupancy: 14
; WaveLimiterHint : 1
; COMPUTE_PGM_RSRC2:SCRATCH_EN: 0
; COMPUTE_PGM_RSRC2:USER_SGPR: 15
; COMPUTE_PGM_RSRC2:TRAP_HANDLER: 0
; COMPUTE_PGM_RSRC2:TGID_X_EN: 1
; COMPUTE_PGM_RSRC2:TGID_Y_EN: 0
; COMPUTE_PGM_RSRC2:TGID_Z_EN: 0
; COMPUTE_PGM_RSRC2:TIDIG_COMP_CNT: 2
	.section	.text._ZN9rocsparseL20bsrxmvn_17_32_kernelILj22E21rocsparse_complex_numIdEiiS1_IfES2_S2_EEvT2_20rocsparse_direction_NS_24const_host_device_scalarIT0_EES4_PKS4_PKT1_SD_SA_PKT3_PKT4_S8_PT5_21rocsparse_index_base_b,"axG",@progbits,_ZN9rocsparseL20bsrxmvn_17_32_kernelILj22E21rocsparse_complex_numIdEiiS1_IfES2_S2_EEvT2_20rocsparse_direction_NS_24const_host_device_scalarIT0_EES4_PKS4_PKT1_SD_SA_PKT3_PKT4_S8_PT5_21rocsparse_index_base_b,comdat
	.globl	_ZN9rocsparseL20bsrxmvn_17_32_kernelILj22E21rocsparse_complex_numIdEiiS1_IfES2_S2_EEvT2_20rocsparse_direction_NS_24const_host_device_scalarIT0_EES4_PKS4_PKT1_SD_SA_PKT3_PKT4_S8_PT5_21rocsparse_index_base_b ; -- Begin function _ZN9rocsparseL20bsrxmvn_17_32_kernelILj22E21rocsparse_complex_numIdEiiS1_IfES2_S2_EEvT2_20rocsparse_direction_NS_24const_host_device_scalarIT0_EES4_PKS4_PKT1_SD_SA_PKT3_PKT4_S8_PT5_21rocsparse_index_base_b
	.p2align	8
	.type	_ZN9rocsparseL20bsrxmvn_17_32_kernelILj22E21rocsparse_complex_numIdEiiS1_IfES2_S2_EEvT2_20rocsparse_direction_NS_24const_host_device_scalarIT0_EES4_PKS4_PKT1_SD_SA_PKT3_PKT4_S8_PT5_21rocsparse_index_base_b,@function
_ZN9rocsparseL20bsrxmvn_17_32_kernelILj22E21rocsparse_complex_numIdEiiS1_IfES2_S2_EEvT2_20rocsparse_direction_NS_24const_host_device_scalarIT0_EES4_PKS4_PKT1_SD_SA_PKT3_PKT4_S8_PT5_21rocsparse_index_base_b: ; @_ZN9rocsparseL20bsrxmvn_17_32_kernelILj22E21rocsparse_complex_numIdEiiS1_IfES2_S2_EEvT2_20rocsparse_direction_NS_24const_host_device_scalarIT0_EES4_PKS4_PKT1_SD_SA_PKT3_PKT4_S8_PT5_21rocsparse_index_base_b
; %bb.0:
	s_mov_b32 s12, s15
	s_clause 0x1
	s_load_b64 s[14:15], s[2:3], 0x68
	s_load_b128 s[4:7], s[2:3], 0x8
	s_load_b64 s[16:17], s[0:1], 0x4
	s_mov_b64 s[0:1], src_shared_base
	v_and_b32_e32 v4, 0x3ff, v0
	s_load_b128 s[8:11], s[2:3], 0x50
	v_bfe_u32 v2, v0, 10, 10
	v_bfe_u32 v0, v0, 20, 10
	s_waitcnt lgkmcnt(0)
	s_bitcmp1_b32 s15, 0
	v_mov_b32_e32 v12, s7
	s_cselect_b32 s0, -1, 0
	v_mov_b32_e32 v11, s6
	s_and_b32 vcc_lo, s0, exec_lo
	s_cselect_b32 s13, s1, s5
	s_lshr_b32 s15, s16, 16
	v_mov_b32_e32 v6, s13
	s_mul_i32 s15, s15, s17
	s_xor_b32 s6, s0, -1
	v_mul_lo_u32 v1, s15, v4
	s_delay_alu instid0(VALU_DEP_1) | instskip(SKIP_1) | instid1(VALU_DEP_2)
	v_mad_u32_u24 v1, v2, s17, v1
	v_dual_mov_b32 v2, s8 :: v_dual_mov_b32 v3, s9
	v_add_lshl_u32 v7, v1, v0, 3
	v_dual_mov_b32 v0, s4 :: v_dual_mov_b32 v1, s5
	ds_store_b64 v7, v[0:1] offset:11616
	ds_store_b64 v7, v[2:3] offset:7744
	v_add_nc_u32_e32 v5, 0x2d60, v7
	v_add_nc_u32_e32 v0, 0x1e40, v7
	s_delay_alu instid0(VALU_DEP_2)
	v_cndmask_b32_e64 v5, s4, v5, s0
	flat_load_b64 v[9:10], v[5:6]
	s_cbranch_vccnz .LBB533_2
; %bb.1:
	v_dual_mov_b32 v1, s4 :: v_dual_mov_b32 v2, s5
	flat_load_b64 v[11:12], v[1:2] offset:8
.LBB533_2:
	s_and_b32 s4, s0, exec_lo
	s_cselect_b32 s1, s1, s9
	v_cndmask_b32_e64 v0, s8, v0, s0
	v_mov_b32_e32 v1, s1
	v_dual_mov_b32 v7, s10 :: v_dual_mov_b32 v8, s11
	s_and_not1_b32 vcc_lo, exec_lo, s6
	flat_load_b64 v[5:6], v[0:1]
	s_cbranch_vccnz .LBB533_4
; %bb.3:
	v_dual_mov_b32 v0, s8 :: v_dual_mov_b32 v1, s9
	flat_load_b64 v[7:8], v[0:1] offset:8
.LBB533_4:
	s_waitcnt vmcnt(1) lgkmcnt(1)
	v_cmp_eq_f64_e32 vcc_lo, 0, v[9:10]
	v_cmp_eq_f64_e64 s0, 0, v[11:12]
	s_delay_alu instid0(VALU_DEP_1)
	s_and_b32 s4, vcc_lo, s0
	s_mov_b32 s0, -1
	s_and_saveexec_b32 s1, s4
	s_cbranch_execz .LBB533_6
; %bb.5:
	s_waitcnt vmcnt(0) lgkmcnt(0)
	v_cmp_neq_f64_e32 vcc_lo, 1.0, v[5:6]
	v_cmp_neq_f64_e64 s0, 0, v[7:8]
	s_delay_alu instid0(VALU_DEP_1) | instskip(NEXT) | instid1(SALU_CYCLE_1)
	s_or_b32 s0, vcc_lo, s0
	s_or_not1_b32 s0, s0, exec_lo
.LBB533_6:
	s_or_b32 exec_lo, exec_lo, s1
	s_and_saveexec_b32 s1, s0
	s_cbranch_execz .LBB533_43
; %bb.7:
	s_clause 0x1
	s_load_b128 s[4:7], s[2:3], 0x20
	s_load_b64 s[0:1], s[2:3], 0x30
	s_waitcnt lgkmcnt(0)
	s_cmp_eq_u64 s[4:5], 0
	s_cbranch_scc1 .LBB533_9
; %bb.8:
	s_ashr_i32 s13, s12, 31
	s_delay_alu instid0(SALU_CYCLE_1) | instskip(NEXT) | instid1(SALU_CYCLE_1)
	s_lshl_b64 s[8:9], s[12:13], 2
	s_add_u32 s4, s4, s8
	s_addc_u32 s5, s5, s9
	s_load_b32 s4, s[4:5], 0x0
	s_waitcnt lgkmcnt(0)
	s_sub_i32 s12, s4, s14
.LBB533_9:
	s_load_b32 s4, s[2:3], 0x4
	v_mul_u32_u24_e32 v0, 0xba3, v4
	v_mov_b32_e32 v2, 0
	v_mov_b32_e32 v3, 0
	s_delay_alu instid0(VALU_DEP_3) | instskip(NEXT) | instid1(VALU_DEP_1)
	v_lshrrev_b32_e32 v13, 16, v0
	v_mul_lo_u16 v0, v13, 22
	s_delay_alu instid0(VALU_DEP_1) | instskip(NEXT) | instid1(VALU_DEP_4)
	v_sub_nc_u16 v18, v4, v0
	v_dual_mov_b32 v0, v2 :: v_dual_mov_b32 v1, v3
	s_waitcnt lgkmcnt(0)
	s_cmp_eq_u32 s4, 1
	s_cselect_b32 vcc_lo, -1, 0
	s_cmp_lg_u32 s4, 1
	s_cselect_b32 s10, -1, 0
	s_ashr_i32 s13, s12, 31
	s_delay_alu instid0(SALU_CYCLE_1) | instskip(NEXT) | instid1(SALU_CYCLE_1)
	s_lshl_b64 s[4:5], s[12:13], 2
	s_add_u32 s6, s6, s4
	s_addc_u32 s7, s7, s5
	s_add_u32 s8, s6, 4
	s_addc_u32 s9, s7, 0
	;; [unrolled: 2-line block ×3, first 2 shown]
	s_cmp_eq_u64 s[0:1], 0
	s_cselect_b32 s1, s9, s5
	s_cselect_b32 s0, s8, s4
	s_load_b32 s11, s[6:7], 0x0
	s_load_b32 s13, s[0:1], 0x0
	s_load_b64 s[8:9], s[2:3], 0x60
	s_waitcnt lgkmcnt(0)
	s_cmp_ge_i32 s11, s13
	s_cbranch_scc1 .LBB533_14
; %bb.10:
	v_mul_lo_u16 v0, v13, 12
	s_clause 0x1
	s_load_b128 s[4:7], s[2:3], 0x38
	s_load_b64 s[0:1], s[2:3], 0x48
	v_dual_mov_b32 v2, 0 :: v_dual_and_b32 v1, 0xffff, v4
	v_lshrrev_b16 v0, 8, v0
	s_sub_i32 s3, s11, s14
	v_dual_mov_b32 v3, 0 :: v_dual_lshlrev_b32 v14, 3, v4
	s_sub_i32 s2, s13, s14
	s_delay_alu instid0(VALU_DEP_2)
	v_mul_lo_u16 v0, v0, 22
	v_and_b32_e32 v15, 0xffff, v18
	v_mul_u32_u24_e32 v1, 0x10f, v1
	s_mul_i32 s13, s3, 0xf20
	s_mul_hi_i32 s11, s3, 0xf20
	v_sub_nc_u16 v0, v13, v0
	s_delay_alu instid0(VALU_DEP_2) | instskip(NEXT) | instid1(VALU_DEP_2)
	v_lshrrev_b32_e32 v19, 17, v1
	v_and_b32_e32 v0, 0xff, v0
	s_waitcnt lgkmcnt(0)
	s_add_u32 s6, s6, s13
	s_addc_u32 s7, s7, s11
	v_add_co_u32 v13, s6, s6, v14
	v_dual_cndmask_b32 v15, v15, v0 :: v_dual_mov_b32 v0, v2
	v_mov_b32_e32 v1, v3
	v_add_co_ci_u32_e64 v14, null, s7, 0, s6
	s_set_inst_prefetch_distance 0x1
	s_branch .LBB533_12
	.p2align	6
.LBB533_11:                             ;   in Loop: Header=BB533_12 Depth=1
	s_or_b32 exec_lo, exec_lo, s6
	s_add_i32 s3, s3, 1
	s_delay_alu instid0(SALU_CYCLE_1)
	s_cmp_lt_i32 s3, s2
	s_cbranch_scc0 .LBB533_14
.LBB533_12:                             ; =>This Inner Loop Header: Depth=1
	v_add_nc_u32_e32 v16, s3, v19
	s_mov_b32 s6, exec_lo
	s_delay_alu instid0(VALU_DEP_1)
	v_cmpx_gt_i32_e64 s2, v16
	s_cbranch_execz .LBB533_11
; %bb.13:                               ;   in Loop: Header=BB533_12 Depth=1
	v_ashrrev_i32_e32 v17, 31, v16
	s_delay_alu instid0(VALU_DEP_1) | instskip(NEXT) | instid1(VALU_DEP_1)
	v_lshlrev_b64 v[16:17], 2, v[16:17]
	v_add_co_u32 v16, vcc_lo, s4, v16
	s_delay_alu instid0(VALU_DEP_2)
	v_add_co_ci_u32_e32 v17, vcc_lo, s5, v17, vcc_lo
	global_load_b32 v20, v[16:17], off
	global_load_b64 v[16:17], v[13:14], off
	s_waitcnt vmcnt(1)
	v_subrev_nc_u32_e32 v22, s14, v20
	s_waitcnt vmcnt(0)
	v_cvt_f64_f32_e32 v[24:25], v16
	s_delay_alu instid0(VALU_DEP_2) | instskip(SKIP_1) | instid1(VALU_DEP_2)
	v_mad_u64_u32 v[20:21], null, v22, 22, v[15:16]
	v_cvt_f64_f32_e32 v[16:17], v17
	v_ashrrev_i32_e32 v21, 31, v20
	s_delay_alu instid0(VALU_DEP_1) | instskip(NEXT) | instid1(VALU_DEP_1)
	v_lshlrev_b64 v[20:21], 4, v[20:21]
	v_add_co_u32 v20, vcc_lo, s0, v20
	s_delay_alu instid0(VALU_DEP_2)
	v_add_co_ci_u32_e32 v21, vcc_lo, s1, v21, vcc_lo
	v_add_co_u32 v13, vcc_lo, 0xf20, v13
	v_add_co_ci_u32_e32 v14, vcc_lo, 0, v14, vcc_lo
	global_load_b128 v[20:23], v[20:21], off
	s_waitcnt vmcnt(0)
	v_fma_f64 v[0:1], v[24:25], v[20:21], v[0:1]
	v_fma_f64 v[2:3], v[16:17], v[20:21], v[2:3]
	s_delay_alu instid0(VALU_DEP_2) | instskip(NEXT) | instid1(VALU_DEP_2)
	v_fma_f64 v[0:1], -v[16:17], v[22:23], v[0:1]
	v_fma_f64 v[2:3], v[24:25], v[22:23], v[2:3]
	s_branch .LBB533_11
.LBB533_14:
	s_set_inst_prefetch_distance 0x2
	v_lshlrev_b32_e32 v17, 4, v4
	s_and_b32 vcc_lo, exec_lo, s10
	ds_store_b128 v17, v[0:3]
	s_waitcnt vmcnt(0) lgkmcnt(0)
	s_barrier
	buffer_gl0_inv
	s_cbranch_vccz .LBB533_26
; %bb.15:
	s_mov_b32 s0, exec_lo
	v_cmpx_gt_u16_e32 6, v18
	s_cbranch_execz .LBB533_17
; %bb.16:
	ds_load_b128 v[13:16], v17 offset:256
	ds_load_b128 v[19:22], v17
	s_waitcnt lgkmcnt(0)
	v_add_f64 v[13:14], v[13:14], v[19:20]
	v_add_f64 v[15:16], v[15:16], v[21:22]
	ds_store_b128 v17, v[13:16]
.LBB533_17:
	s_or_b32 exec_lo, exec_lo, s0
	s_delay_alu instid0(SALU_CYCLE_1)
	s_mov_b32 s0, exec_lo
	s_waitcnt lgkmcnt(0)
	s_barrier
	buffer_gl0_inv
	v_cmpx_gt_u16_e32 8, v18
	s_cbranch_execz .LBB533_19
; %bb.18:
	ds_load_b128 v[13:16], v17 offset:128
	ds_load_b128 v[19:22], v17
	s_waitcnt lgkmcnt(0)
	v_add_f64 v[13:14], v[13:14], v[19:20]
	v_add_f64 v[15:16], v[15:16], v[21:22]
	ds_store_b128 v17, v[13:16]
.LBB533_19:
	s_or_b32 exec_lo, exec_lo, s0
	s_delay_alu instid0(SALU_CYCLE_1)
	s_mov_b32 s0, exec_lo
	s_waitcnt lgkmcnt(0)
	s_barrier
	buffer_gl0_inv
	;; [unrolled: 16-line block ×3, first 2 shown]
	v_cmpx_gt_u16_e32 2, v18
	s_cbranch_execz .LBB533_23
; %bb.22:
	ds_load_b128 v[13:16], v17
	ds_load_b128 v[18:21], v17 offset:32
	s_waitcnt lgkmcnt(0)
	v_add_f64 v[13:14], v[18:19], v[13:14]
	v_add_f64 v[15:16], v[20:21], v[15:16]
	ds_store_b128 v17, v[13:16]
.LBB533_23:
	s_or_b32 exec_lo, exec_lo, s0
	v_dual_mov_b32 v16, v3 :: v_dual_mov_b32 v15, v2
	v_dual_mov_b32 v14, v1 :: v_dual_mov_b32 v13, v0
	s_mov_b32 s0, exec_lo
	s_waitcnt lgkmcnt(0)
	s_barrier
	buffer_gl0_inv
	v_cmpx_gt_u32_e32 22, v4
	s_cbranch_execz .LBB533_25
; %bb.24:
	v_mul_u32_u24_e32 v13, 22, v4
	s_delay_alu instid0(VALU_DEP_1)
	v_lshlrev_b32_e32 v18, 4, v13
	ds_load_b128 v[13:16], v18
	ds_load_b128 v[18:21], v18 offset:16
	s_waitcnt lgkmcnt(0)
	v_add_f64 v[13:14], v[18:19], v[13:14]
	v_add_f64 v[15:16], v[20:21], v[15:16]
.LBB533_25:
	s_or_b32 exec_lo, exec_lo, s0
	s_branch .LBB533_38
.LBB533_26:
                                        ; implicit-def: $vgpr15_vgpr16
                                        ; implicit-def: $vgpr13_vgpr14
	s_cbranch_execz .LBB533_38
; %bb.27:
	s_mov_b32 s0, exec_lo
	v_cmpx_gt_u32_e32 0x84, v4
	s_cbranch_execz .LBB533_29
; %bb.28:
	ds_load_b128 v[13:16], v17 offset:5632
	ds_load_b128 v[18:21], v17
	s_waitcnt lgkmcnt(0)
	v_add_f64 v[13:14], v[13:14], v[18:19]
	v_add_f64 v[15:16], v[15:16], v[20:21]
	ds_store_b128 v17, v[13:16]
.LBB533_29:
	s_or_b32 exec_lo, exec_lo, s0
	s_delay_alu instid0(SALU_CYCLE_1)
	s_mov_b32 s0, exec_lo
	s_waitcnt lgkmcnt(0)
	s_barrier
	buffer_gl0_inv
	v_cmpx_gt_u32_e32 0xb0, v4
	s_cbranch_execz .LBB533_31
; %bb.30:
	ds_load_b128 v[13:16], v17 offset:2816
	ds_load_b128 v[18:21], v17
	s_waitcnt lgkmcnt(0)
	v_add_f64 v[13:14], v[13:14], v[18:19]
	v_add_f64 v[15:16], v[15:16], v[20:21]
	ds_store_b128 v17, v[13:16]
.LBB533_31:
	s_or_b32 exec_lo, exec_lo, s0
	s_delay_alu instid0(SALU_CYCLE_1)
	s_mov_b32 s0, exec_lo
	s_waitcnt lgkmcnt(0)
	s_barrier
	buffer_gl0_inv
	;; [unrolled: 16-line block ×3, first 2 shown]
	v_cmpx_gt_u32_e32 44, v4
	s_cbranch_execz .LBB533_35
; %bb.34:
	ds_load_b128 v[13:16], v17 offset:704
	ds_load_b128 v[18:21], v17
	s_waitcnt lgkmcnt(0)
	v_add_f64 v[13:14], v[13:14], v[18:19]
	v_add_f64 v[15:16], v[15:16], v[20:21]
	ds_store_b128 v17, v[13:16]
.LBB533_35:
	s_or_b32 exec_lo, exec_lo, s0
	s_delay_alu instid0(SALU_CYCLE_1)
	s_mov_b32 s0, exec_lo
	s_waitcnt lgkmcnt(0)
	buffer_gl0_inv
	v_cmpx_gt_u32_e32 22, v4
	s_cbranch_execz .LBB533_37
; %bb.36:
	ds_load_b128 v[0:3], v17 offset:352
	ds_load_b128 v[13:16], v17
	s_waitcnt lgkmcnt(0)
	v_add_f64 v[0:1], v[0:1], v[13:14]
	v_add_f64 v[2:3], v[2:3], v[15:16]
.LBB533_37:
	s_or_b32 exec_lo, exec_lo, s0
	s_delay_alu instid0(VALU_DEP_1) | instskip(NEXT) | instid1(VALU_DEP_3)
	v_dual_mov_b32 v16, v3 :: v_dual_mov_b32 v15, v2
	v_dual_mov_b32 v14, v1 :: v_dual_mov_b32 v13, v0
.LBB533_38:
	v_cmp_gt_u32_e32 vcc_lo, 22, v4
	s_and_b32 exec_lo, exec_lo, vcc_lo
	s_cbranch_execz .LBB533_43
; %bb.39:
	s_delay_alu instid0(VALU_DEP_2) | instskip(SKIP_3) | instid1(VALU_DEP_4)
	v_mul_f64 v[0:1], v[15:16], -v[11:12]
	v_mul_f64 v[2:3], v[9:10], v[15:16]
	v_cmp_eq_f64_e32 vcc_lo, 0, v[5:6]
	v_cmp_eq_f64_e64 s0, 0, v[7:8]
	v_fma_f64 v[0:1], v[9:10], v[13:14], v[0:1]
	s_delay_alu instid0(VALU_DEP_4) | instskip(NEXT) | instid1(VALU_DEP_3)
	v_fma_f64 v[2:3], v[11:12], v[13:14], v[2:3]
	s_and_b32 s0, vcc_lo, s0
	s_delay_alu instid0(SALU_CYCLE_1) | instskip(NEXT) | instid1(SALU_CYCLE_1)
	s_and_saveexec_b32 s1, s0
	s_xor_b32 s0, exec_lo, s1
	s_cbranch_execz .LBB533_41
; %bb.40:
	v_mad_u64_u32 v[5:6], null, s12, 22, v[4:5]
	v_mov_b32_e32 v6, 0
                                        ; implicit-def: $vgpr7_vgpr8
	s_delay_alu instid0(VALU_DEP_1) | instskip(NEXT) | instid1(VALU_DEP_1)
	v_lshlrev_b64 v[4:5], 4, v[5:6]
	v_add_co_u32 v4, vcc_lo, s8, v4
	s_delay_alu instid0(VALU_DEP_2)
	v_add_co_ci_u32_e32 v5, vcc_lo, s9, v5, vcc_lo
	global_store_b128 v[4:5], v[0:3], off
                                        ; implicit-def: $vgpr4
                                        ; implicit-def: $vgpr5_vgpr6
                                        ; implicit-def: $vgpr0_vgpr1
.LBB533_41:
	s_and_not1_saveexec_b32 s0, s0
	s_cbranch_execz .LBB533_43
; %bb.42:
	v_mad_u64_u32 v[9:10], null, s12, 22, v[4:5]
	v_mov_b32_e32 v10, 0
	s_delay_alu instid0(VALU_DEP_1) | instskip(NEXT) | instid1(VALU_DEP_1)
	v_lshlrev_b64 v[9:10], 4, v[9:10]
	v_add_co_u32 v13, vcc_lo, s8, v9
	s_delay_alu instid0(VALU_DEP_2) | instskip(SKIP_4) | instid1(VALU_DEP_2)
	v_add_co_ci_u32_e32 v14, vcc_lo, s9, v10, vcc_lo
	global_load_b128 v[9:12], v[13:14], off
	s_waitcnt vmcnt(0)
	v_fma_f64 v[0:1], v[5:6], v[9:10], v[0:1]
	v_fma_f64 v[2:3], v[7:8], v[9:10], v[2:3]
	v_fma_f64 v[0:1], -v[7:8], v[11:12], v[0:1]
	s_delay_alu instid0(VALU_DEP_2)
	v_fma_f64 v[2:3], v[5:6], v[11:12], v[2:3]
	global_store_b128 v[13:14], v[0:3], off
.LBB533_43:
	s_nop 0
	s_sendmsg sendmsg(MSG_DEALLOC_VGPRS)
	s_endpgm
	.section	.rodata,"a",@progbits
	.p2align	6, 0x0
	.amdhsa_kernel _ZN9rocsparseL20bsrxmvn_17_32_kernelILj22E21rocsparse_complex_numIdEiiS1_IfES2_S2_EEvT2_20rocsparse_direction_NS_24const_host_device_scalarIT0_EES4_PKS4_PKT1_SD_SA_PKT3_PKT4_S8_PT5_21rocsparse_index_base_b
		.amdhsa_group_segment_fixed_size 15488
		.amdhsa_private_segment_fixed_size 0
		.amdhsa_kernarg_size 112
		.amdhsa_user_sgpr_count 15
		.amdhsa_user_sgpr_dispatch_ptr 1
		.amdhsa_user_sgpr_queue_ptr 0
		.amdhsa_user_sgpr_kernarg_segment_ptr 1
		.amdhsa_user_sgpr_dispatch_id 0
		.amdhsa_user_sgpr_private_segment_size 0
		.amdhsa_wavefront_size32 1
		.amdhsa_uses_dynamic_stack 0
		.amdhsa_enable_private_segment 0
		.amdhsa_system_sgpr_workgroup_id_x 1
		.amdhsa_system_sgpr_workgroup_id_y 0
		.amdhsa_system_sgpr_workgroup_id_z 0
		.amdhsa_system_sgpr_workgroup_info 0
		.amdhsa_system_vgpr_workitem_id 2
		.amdhsa_next_free_vgpr 26
		.amdhsa_next_free_sgpr 18
		.amdhsa_reserve_vcc 1
		.amdhsa_float_round_mode_32 0
		.amdhsa_float_round_mode_16_64 0
		.amdhsa_float_denorm_mode_32 3
		.amdhsa_float_denorm_mode_16_64 3
		.amdhsa_dx10_clamp 1
		.amdhsa_ieee_mode 1
		.amdhsa_fp16_overflow 0
		.amdhsa_workgroup_processor_mode 1
		.amdhsa_memory_ordered 1
		.amdhsa_forward_progress 0
		.amdhsa_shared_vgpr_count 0
		.amdhsa_exception_fp_ieee_invalid_op 0
		.amdhsa_exception_fp_denorm_src 0
		.amdhsa_exception_fp_ieee_div_zero 0
		.amdhsa_exception_fp_ieee_overflow 0
		.amdhsa_exception_fp_ieee_underflow 0
		.amdhsa_exception_fp_ieee_inexact 0
		.amdhsa_exception_int_div_zero 0
	.end_amdhsa_kernel
	.section	.text._ZN9rocsparseL20bsrxmvn_17_32_kernelILj22E21rocsparse_complex_numIdEiiS1_IfES2_S2_EEvT2_20rocsparse_direction_NS_24const_host_device_scalarIT0_EES4_PKS4_PKT1_SD_SA_PKT3_PKT4_S8_PT5_21rocsparse_index_base_b,"axG",@progbits,_ZN9rocsparseL20bsrxmvn_17_32_kernelILj22E21rocsparse_complex_numIdEiiS1_IfES2_S2_EEvT2_20rocsparse_direction_NS_24const_host_device_scalarIT0_EES4_PKS4_PKT1_SD_SA_PKT3_PKT4_S8_PT5_21rocsparse_index_base_b,comdat
.Lfunc_end533:
	.size	_ZN9rocsparseL20bsrxmvn_17_32_kernelILj22E21rocsparse_complex_numIdEiiS1_IfES2_S2_EEvT2_20rocsparse_direction_NS_24const_host_device_scalarIT0_EES4_PKS4_PKT1_SD_SA_PKT3_PKT4_S8_PT5_21rocsparse_index_base_b, .Lfunc_end533-_ZN9rocsparseL20bsrxmvn_17_32_kernelILj22E21rocsparse_complex_numIdEiiS1_IfES2_S2_EEvT2_20rocsparse_direction_NS_24const_host_device_scalarIT0_EES4_PKS4_PKT1_SD_SA_PKT3_PKT4_S8_PT5_21rocsparse_index_base_b
                                        ; -- End function
	.section	.AMDGPU.csdata,"",@progbits
; Kernel info:
; codeLenInByte = 2092
; NumSgprs: 20
; NumVgprs: 26
; ScratchSize: 0
; MemoryBound: 0
; FloatMode: 240
; IeeeMode: 1
; LDSByteSize: 15488 bytes/workgroup (compile time only)
; SGPRBlocks: 2
; VGPRBlocks: 3
; NumSGPRsForWavesPerEU: 20
; NumVGPRsForWavesPerEU: 26
; Occupancy: 16
; WaveLimiterHint : 1
; COMPUTE_PGM_RSRC2:SCRATCH_EN: 0
; COMPUTE_PGM_RSRC2:USER_SGPR: 15
; COMPUTE_PGM_RSRC2:TRAP_HANDLER: 0
; COMPUTE_PGM_RSRC2:TGID_X_EN: 1
; COMPUTE_PGM_RSRC2:TGID_Y_EN: 0
; COMPUTE_PGM_RSRC2:TGID_Z_EN: 0
; COMPUTE_PGM_RSRC2:TIDIG_COMP_CNT: 2
	.section	.text._ZN9rocsparseL20bsrxmvn_17_32_kernelILj23E21rocsparse_complex_numIdEiiS1_IfES2_S2_EEvT2_20rocsparse_direction_NS_24const_host_device_scalarIT0_EES4_PKS4_PKT1_SD_SA_PKT3_PKT4_S8_PT5_21rocsparse_index_base_b,"axG",@progbits,_ZN9rocsparseL20bsrxmvn_17_32_kernelILj23E21rocsparse_complex_numIdEiiS1_IfES2_S2_EEvT2_20rocsparse_direction_NS_24const_host_device_scalarIT0_EES4_PKS4_PKT1_SD_SA_PKT3_PKT4_S8_PT5_21rocsparse_index_base_b,comdat
	.globl	_ZN9rocsparseL20bsrxmvn_17_32_kernelILj23E21rocsparse_complex_numIdEiiS1_IfES2_S2_EEvT2_20rocsparse_direction_NS_24const_host_device_scalarIT0_EES4_PKS4_PKT1_SD_SA_PKT3_PKT4_S8_PT5_21rocsparse_index_base_b ; -- Begin function _ZN9rocsparseL20bsrxmvn_17_32_kernelILj23E21rocsparse_complex_numIdEiiS1_IfES2_S2_EEvT2_20rocsparse_direction_NS_24const_host_device_scalarIT0_EES4_PKS4_PKT1_SD_SA_PKT3_PKT4_S8_PT5_21rocsparse_index_base_b
	.p2align	8
	.type	_ZN9rocsparseL20bsrxmvn_17_32_kernelILj23E21rocsparse_complex_numIdEiiS1_IfES2_S2_EEvT2_20rocsparse_direction_NS_24const_host_device_scalarIT0_EES4_PKS4_PKT1_SD_SA_PKT3_PKT4_S8_PT5_21rocsparse_index_base_b,@function
_ZN9rocsparseL20bsrxmvn_17_32_kernelILj23E21rocsparse_complex_numIdEiiS1_IfES2_S2_EEvT2_20rocsparse_direction_NS_24const_host_device_scalarIT0_EES4_PKS4_PKT1_SD_SA_PKT3_PKT4_S8_PT5_21rocsparse_index_base_b: ; @_ZN9rocsparseL20bsrxmvn_17_32_kernelILj23E21rocsparse_complex_numIdEiiS1_IfES2_S2_EEvT2_20rocsparse_direction_NS_24const_host_device_scalarIT0_EES4_PKS4_PKT1_SD_SA_PKT3_PKT4_S8_PT5_21rocsparse_index_base_b
; %bb.0:
	s_mov_b32 s12, s15
	s_clause 0x1
	s_load_b64 s[14:15], s[2:3], 0x68
	s_load_b128 s[4:7], s[2:3], 0x8
	s_load_b64 s[16:17], s[0:1], 0x4
	s_mov_b64 s[0:1], src_shared_base
	v_and_b32_e32 v4, 0x3ff, v0
	s_load_b128 s[8:11], s[2:3], 0x50
	v_bfe_u32 v2, v0, 10, 10
	v_bfe_u32 v0, v0, 20, 10
	s_waitcnt lgkmcnt(0)
	s_bitcmp1_b32 s15, 0
	v_mov_b32_e32 v12, s7
	s_cselect_b32 s0, -1, 0
	v_mov_b32_e32 v11, s6
	s_and_b32 vcc_lo, s0, exec_lo
	s_cselect_b32 s13, s1, s5
	s_lshr_b32 s15, s16, 16
	v_mov_b32_e32 v6, s13
	s_mul_i32 s15, s15, s17
	s_xor_b32 s6, s0, -1
	v_mul_lo_u32 v1, s15, v4
	s_delay_alu instid0(VALU_DEP_1) | instskip(SKIP_1) | instid1(VALU_DEP_2)
	v_mad_u32_u24 v1, v2, s17, v1
	v_dual_mov_b32 v2, s8 :: v_dual_mov_b32 v3, s9
	v_add_lshl_u32 v7, v1, v0, 3
	v_dual_mov_b32 v0, s4 :: v_dual_mov_b32 v1, s5
	ds_store_b64 v7, v[0:1] offset:12696
	ds_store_b64 v7, v[2:3] offset:8464
	v_add_nc_u32_e32 v5, 0x3198, v7
	v_add_nc_u32_e32 v0, 0x2110, v7
	s_delay_alu instid0(VALU_DEP_2)
	v_cndmask_b32_e64 v5, s4, v5, s0
	flat_load_b64 v[9:10], v[5:6]
	s_cbranch_vccnz .LBB534_2
; %bb.1:
	v_dual_mov_b32 v1, s4 :: v_dual_mov_b32 v2, s5
	flat_load_b64 v[11:12], v[1:2] offset:8
.LBB534_2:
	s_and_b32 s4, s0, exec_lo
	s_cselect_b32 s1, s1, s9
	v_cndmask_b32_e64 v0, s8, v0, s0
	v_mov_b32_e32 v1, s1
	v_dual_mov_b32 v7, s10 :: v_dual_mov_b32 v8, s11
	s_and_not1_b32 vcc_lo, exec_lo, s6
	flat_load_b64 v[5:6], v[0:1]
	s_cbranch_vccnz .LBB534_4
; %bb.3:
	v_dual_mov_b32 v0, s8 :: v_dual_mov_b32 v1, s9
	flat_load_b64 v[7:8], v[0:1] offset:8
.LBB534_4:
	s_waitcnt vmcnt(1) lgkmcnt(1)
	v_cmp_eq_f64_e32 vcc_lo, 0, v[9:10]
	v_cmp_eq_f64_e64 s0, 0, v[11:12]
	s_delay_alu instid0(VALU_DEP_1)
	s_and_b32 s4, vcc_lo, s0
	s_mov_b32 s0, -1
	s_and_saveexec_b32 s1, s4
	s_cbranch_execz .LBB534_6
; %bb.5:
	s_waitcnt vmcnt(0) lgkmcnt(0)
	v_cmp_neq_f64_e32 vcc_lo, 1.0, v[5:6]
	v_cmp_neq_f64_e64 s0, 0, v[7:8]
	s_delay_alu instid0(VALU_DEP_1) | instskip(NEXT) | instid1(SALU_CYCLE_1)
	s_or_b32 s0, vcc_lo, s0
	s_or_not1_b32 s0, s0, exec_lo
.LBB534_6:
	s_or_b32 exec_lo, exec_lo, s1
	s_and_saveexec_b32 s1, s0
	s_cbranch_execz .LBB534_43
; %bb.7:
	s_clause 0x1
	s_load_b128 s[4:7], s[2:3], 0x20
	s_load_b64 s[0:1], s[2:3], 0x30
	s_waitcnt lgkmcnt(0)
	s_cmp_eq_u64 s[4:5], 0
	s_cbranch_scc1 .LBB534_9
; %bb.8:
	s_ashr_i32 s13, s12, 31
	s_delay_alu instid0(SALU_CYCLE_1) | instskip(NEXT) | instid1(SALU_CYCLE_1)
	s_lshl_b64 s[8:9], s[12:13], 2
	s_add_u32 s4, s4, s8
	s_addc_u32 s5, s5, s9
	s_load_b32 s4, s[4:5], 0x0
	s_waitcnt lgkmcnt(0)
	s_sub_i32 s12, s4, s14
.LBB534_9:
	s_load_b32 s4, s[2:3], 0x4
	v_mul_u32_u24_e32 v0, 0xb22, v4
	v_mov_b32_e32 v2, 0
	v_mov_b32_e32 v3, 0
	s_delay_alu instid0(VALU_DEP_3) | instskip(NEXT) | instid1(VALU_DEP_1)
	v_lshrrev_b32_e32 v13, 16, v0
	v_mul_lo_u16 v0, v13, 23
	s_delay_alu instid0(VALU_DEP_1) | instskip(NEXT) | instid1(VALU_DEP_4)
	v_sub_nc_u16 v16, v4, v0
	v_dual_mov_b32 v0, v2 :: v_dual_mov_b32 v1, v3
	s_waitcnt lgkmcnt(0)
	s_cmp_eq_u32 s4, 1
	s_cselect_b32 vcc_lo, -1, 0
	s_cmp_lg_u32 s4, 1
	s_cselect_b32 s8, -1, 0
	s_ashr_i32 s13, s12, 31
	s_delay_alu instid0(SALU_CYCLE_1) | instskip(NEXT) | instid1(SALU_CYCLE_1)
	s_lshl_b64 s[4:5], s[12:13], 2
	s_add_u32 s6, s6, s4
	s_addc_u32 s7, s7, s5
	s_add_u32 s9, s6, 4
	s_addc_u32 s10, s7, 0
	;; [unrolled: 2-line block ×3, first 2 shown]
	s_cmp_eq_u64 s[0:1], 0
	s_cselect_b32 s1, s10, s5
	s_cselect_b32 s0, s9, s4
	s_load_b32 s6, s[6:7], 0x0
	s_load_b32 s7, s[0:1], 0x0
	s_load_b64 s[4:5], s[2:3], 0x60
	s_waitcnt lgkmcnt(0)
	s_cmp_ge_i32 s6, s7
	s_cbranch_scc1 .LBB534_14
; %bb.10:
	s_clause 0x1
	s_load_b128 s[16:19], s[2:3], 0x38
	s_load_b64 s[0:1], s[2:3], 0x48
	v_dual_mov_b32 v2, 0 :: v_dual_and_b32 v1, 0xffff, v13
	s_sub_i32 s2, s6, s14
	v_dual_mov_b32 v3, 0 :: v_dual_and_b32 v0, 0xffff, v16
	v_lshlrev_b32_e32 v14, 3, v4
	s_sub_i32 s9, s7, s14
	s_mul_i32 s7, s2, 0x1088
	s_delay_alu instid0(VALU_DEP_2)
	v_cndmask_b32_e32 v13, v0, v1, vcc_lo
	s_ashr_i32 s3, s2, 31
	s_mul_hi_i32 s6, s2, 0x1088
	v_dual_mov_b32 v0, v2 :: v_dual_mov_b32 v1, v3
	s_waitcnt lgkmcnt(0)
	s_add_u32 s10, s18, s7
	s_addc_u32 s11, s19, s6
	s_lshl_b64 s[6:7], s[2:3], 2
	v_add_co_u32 v14, s3, s10, v14
	s_delay_alu instid0(VALU_DEP_1)
	v_add_co_ci_u32_e64 v15, null, s11, 0, s3
	s_add_u32 s6, s16, s6
	s_addc_u32 s7, s17, s7
	s_set_inst_prefetch_distance 0x1
	s_branch .LBB534_12
	.p2align	6
.LBB534_11:                             ;   in Loop: Header=BB534_12 Depth=1
	s_add_i32 s2, s2, 1
	s_add_u32 s6, s6, 4
	s_addc_u32 s7, s7, 0
	s_cmp_lt_i32 s2, s9
	s_cbranch_scc0 .LBB534_14
.LBB534_12:                             ; =>This Inner Loop Header: Depth=1
	s_cmp_ge_i32 s2, s9
	s_cbranch_scc1 .LBB534_11
; %bb.13:                               ;   in Loop: Header=BB534_12 Depth=1
	s_load_b32 s3, s[6:7], 0x0
	global_load_b64 v[21:22], v[14:15], off
	s_waitcnt lgkmcnt(0)
	s_sub_i32 s3, s3, s14
	s_delay_alu instid0(SALU_CYCLE_1) | instskip(NEXT) | instid1(VALU_DEP_1)
	v_mad_u64_u32 v[17:18], null, s3, 23, v[13:14]
	v_ashrrev_i32_e32 v18, 31, v17
	s_delay_alu instid0(VALU_DEP_1) | instskip(NEXT) | instid1(VALU_DEP_1)
	v_lshlrev_b64 v[17:18], 4, v[17:18]
	v_add_co_u32 v17, vcc_lo, s0, v17
	s_delay_alu instid0(VALU_DEP_2)
	v_add_co_ci_u32_e32 v18, vcc_lo, s1, v18, vcc_lo
	v_add_co_u32 v14, vcc_lo, 0x1088, v14
	v_add_co_ci_u32_e32 v15, vcc_lo, 0, v15, vcc_lo
	global_load_b128 v[17:20], v[17:18], off
	s_waitcnt vmcnt(1)
	v_cvt_f64_f32_e32 v[23:24], v21
	v_cvt_f64_f32_e32 v[21:22], v22
	s_waitcnt vmcnt(0)
	s_delay_alu instid0(VALU_DEP_2) | instskip(NEXT) | instid1(VALU_DEP_2)
	v_fma_f64 v[0:1], v[23:24], v[17:18], v[0:1]
	v_fma_f64 v[2:3], v[21:22], v[17:18], v[2:3]
	s_delay_alu instid0(VALU_DEP_2) | instskip(NEXT) | instid1(VALU_DEP_2)
	v_fma_f64 v[0:1], -v[21:22], v[19:20], v[0:1]
	v_fma_f64 v[2:3], v[23:24], v[19:20], v[2:3]
	s_branch .LBB534_11
.LBB534_14:
	s_set_inst_prefetch_distance 0x2
	v_lshlrev_b32_e32 v17, 4, v4
	s_and_b32 vcc_lo, exec_lo, s8
	ds_store_b128 v17, v[0:3]
	s_waitcnt vmcnt(0) lgkmcnt(0)
	s_barrier
	buffer_gl0_inv
	s_cbranch_vccz .LBB534_26
; %bb.15:
	s_mov_b32 s0, exec_lo
	v_cmpx_gt_u16_e32 7, v16
	s_cbranch_execz .LBB534_17
; %bb.16:
	ds_load_b128 v[18:21], v17 offset:256
	ds_load_b128 v[22:25], v17
	s_waitcnt lgkmcnt(0)
	v_add_f64 v[18:19], v[18:19], v[22:23]
	v_add_f64 v[20:21], v[20:21], v[24:25]
	ds_store_b128 v17, v[18:21]
.LBB534_17:
	s_or_b32 exec_lo, exec_lo, s0
	s_delay_alu instid0(SALU_CYCLE_1)
	s_mov_b32 s0, exec_lo
	s_waitcnt lgkmcnt(0)
	s_barrier
	buffer_gl0_inv
	v_cmpx_gt_u16_e32 8, v16
	s_cbranch_execz .LBB534_19
; %bb.18:
	ds_load_b128 v[18:21], v17 offset:128
	ds_load_b128 v[22:25], v17
	s_waitcnt lgkmcnt(0)
	v_add_f64 v[18:19], v[18:19], v[22:23]
	v_add_f64 v[20:21], v[20:21], v[24:25]
	ds_store_b128 v17, v[18:21]
.LBB534_19:
	s_or_b32 exec_lo, exec_lo, s0
	s_delay_alu instid0(SALU_CYCLE_1)
	s_mov_b32 s0, exec_lo
	s_waitcnt lgkmcnt(0)
	s_barrier
	buffer_gl0_inv
	;; [unrolled: 16-line block ×3, first 2 shown]
	v_cmpx_gt_u16_e32 2, v16
	s_cbranch_execz .LBB534_23
; %bb.22:
	ds_load_b128 v[13:16], v17
	ds_load_b128 v[18:21], v17 offset:32
	s_waitcnt lgkmcnt(0)
	v_add_f64 v[13:14], v[18:19], v[13:14]
	v_add_f64 v[15:16], v[20:21], v[15:16]
	ds_store_b128 v17, v[13:16]
.LBB534_23:
	s_or_b32 exec_lo, exec_lo, s0
	v_dual_mov_b32 v16, v3 :: v_dual_mov_b32 v15, v2
	v_dual_mov_b32 v14, v1 :: v_dual_mov_b32 v13, v0
	s_mov_b32 s0, exec_lo
	s_waitcnt lgkmcnt(0)
	s_barrier
	buffer_gl0_inv
	v_cmpx_gt_u32_e32 23, v4
	s_cbranch_execz .LBB534_25
; %bb.24:
	v_mul_u32_u24_e32 v13, 23, v4
	s_delay_alu instid0(VALU_DEP_1)
	v_lshlrev_b32_e32 v18, 4, v13
	ds_load_b128 v[13:16], v18
	ds_load_b128 v[18:21], v18 offset:16
	s_waitcnt lgkmcnt(0)
	v_add_f64 v[13:14], v[18:19], v[13:14]
	v_add_f64 v[15:16], v[20:21], v[15:16]
.LBB534_25:
	s_or_b32 exec_lo, exec_lo, s0
	s_branch .LBB534_38
.LBB534_26:
                                        ; implicit-def: $vgpr15_vgpr16
                                        ; implicit-def: $vgpr13_vgpr14
	s_cbranch_execz .LBB534_38
; %bb.27:
	s_mov_b32 s0, exec_lo
	v_cmpx_gt_u32_e32 0xa1, v4
	s_cbranch_execz .LBB534_29
; %bb.28:
	ds_load_b128 v[13:16], v17 offset:5888
	ds_load_b128 v[18:21], v17
	s_waitcnt lgkmcnt(0)
	v_add_f64 v[13:14], v[13:14], v[18:19]
	v_add_f64 v[15:16], v[15:16], v[20:21]
	ds_store_b128 v17, v[13:16]
.LBB534_29:
	s_or_b32 exec_lo, exec_lo, s0
	s_delay_alu instid0(SALU_CYCLE_1)
	s_mov_b32 s0, exec_lo
	s_waitcnt lgkmcnt(0)
	s_barrier
	buffer_gl0_inv
	v_cmpx_gt_u32_e32 0xb8, v4
	s_cbranch_execz .LBB534_31
; %bb.30:
	ds_load_b128 v[13:16], v17 offset:2944
	ds_load_b128 v[18:21], v17
	s_waitcnt lgkmcnt(0)
	v_add_f64 v[13:14], v[13:14], v[18:19]
	v_add_f64 v[15:16], v[15:16], v[20:21]
	ds_store_b128 v17, v[13:16]
.LBB534_31:
	s_or_b32 exec_lo, exec_lo, s0
	s_delay_alu instid0(SALU_CYCLE_1)
	s_mov_b32 s0, exec_lo
	s_waitcnt lgkmcnt(0)
	s_barrier
	buffer_gl0_inv
	;; [unrolled: 16-line block ×3, first 2 shown]
	v_cmpx_gt_u32_e32 46, v4
	s_cbranch_execz .LBB534_35
; %bb.34:
	ds_load_b128 v[13:16], v17 offset:736
	ds_load_b128 v[18:21], v17
	s_waitcnt lgkmcnt(0)
	v_add_f64 v[13:14], v[13:14], v[18:19]
	v_add_f64 v[15:16], v[15:16], v[20:21]
	ds_store_b128 v17, v[13:16]
.LBB534_35:
	s_or_b32 exec_lo, exec_lo, s0
	s_delay_alu instid0(SALU_CYCLE_1)
	s_mov_b32 s0, exec_lo
	s_waitcnt lgkmcnt(0)
	buffer_gl0_inv
	v_cmpx_gt_u32_e32 23, v4
	s_cbranch_execz .LBB534_37
; %bb.36:
	ds_load_b128 v[0:3], v17 offset:368
	ds_load_b128 v[13:16], v17
	s_waitcnt lgkmcnt(0)
	v_add_f64 v[0:1], v[0:1], v[13:14]
	v_add_f64 v[2:3], v[2:3], v[15:16]
.LBB534_37:
	s_or_b32 exec_lo, exec_lo, s0
	s_delay_alu instid0(VALU_DEP_1) | instskip(NEXT) | instid1(VALU_DEP_3)
	v_dual_mov_b32 v16, v3 :: v_dual_mov_b32 v15, v2
	v_dual_mov_b32 v14, v1 :: v_dual_mov_b32 v13, v0
.LBB534_38:
	v_cmp_gt_u32_e32 vcc_lo, 23, v4
	s_and_b32 exec_lo, exec_lo, vcc_lo
	s_cbranch_execz .LBB534_43
; %bb.39:
	s_delay_alu instid0(VALU_DEP_2) | instskip(SKIP_3) | instid1(VALU_DEP_4)
	v_mul_f64 v[0:1], v[15:16], -v[11:12]
	v_mul_f64 v[2:3], v[9:10], v[15:16]
	v_cmp_eq_f64_e32 vcc_lo, 0, v[5:6]
	v_cmp_eq_f64_e64 s0, 0, v[7:8]
	v_fma_f64 v[0:1], v[9:10], v[13:14], v[0:1]
	s_delay_alu instid0(VALU_DEP_4) | instskip(NEXT) | instid1(VALU_DEP_3)
	v_fma_f64 v[2:3], v[11:12], v[13:14], v[2:3]
	s_and_b32 s0, vcc_lo, s0
	s_delay_alu instid0(SALU_CYCLE_1) | instskip(NEXT) | instid1(SALU_CYCLE_1)
	s_and_saveexec_b32 s1, s0
	s_xor_b32 s0, exec_lo, s1
	s_cbranch_execz .LBB534_41
; %bb.40:
	v_mad_u64_u32 v[5:6], null, s12, 23, v[4:5]
	v_mov_b32_e32 v6, 0
                                        ; implicit-def: $vgpr7_vgpr8
	s_delay_alu instid0(VALU_DEP_1) | instskip(NEXT) | instid1(VALU_DEP_1)
	v_lshlrev_b64 v[4:5], 4, v[5:6]
	v_add_co_u32 v4, vcc_lo, s4, v4
	s_delay_alu instid0(VALU_DEP_2)
	v_add_co_ci_u32_e32 v5, vcc_lo, s5, v5, vcc_lo
	global_store_b128 v[4:5], v[0:3], off
                                        ; implicit-def: $vgpr4
                                        ; implicit-def: $vgpr5_vgpr6
                                        ; implicit-def: $vgpr0_vgpr1
.LBB534_41:
	s_and_not1_saveexec_b32 s0, s0
	s_cbranch_execz .LBB534_43
; %bb.42:
	v_mad_u64_u32 v[9:10], null, s12, 23, v[4:5]
	v_mov_b32_e32 v10, 0
	s_delay_alu instid0(VALU_DEP_1) | instskip(NEXT) | instid1(VALU_DEP_1)
	v_lshlrev_b64 v[9:10], 4, v[9:10]
	v_add_co_u32 v13, vcc_lo, s4, v9
	s_delay_alu instid0(VALU_DEP_2) | instskip(SKIP_4) | instid1(VALU_DEP_2)
	v_add_co_ci_u32_e32 v14, vcc_lo, s5, v10, vcc_lo
	global_load_b128 v[9:12], v[13:14], off
	s_waitcnt vmcnt(0)
	v_fma_f64 v[0:1], v[5:6], v[9:10], v[0:1]
	v_fma_f64 v[2:3], v[7:8], v[9:10], v[2:3]
	v_fma_f64 v[0:1], -v[7:8], v[11:12], v[0:1]
	s_delay_alu instid0(VALU_DEP_2)
	v_fma_f64 v[2:3], v[5:6], v[11:12], v[2:3]
	global_store_b128 v[13:14], v[0:3], off
.LBB534_43:
	s_nop 0
	s_sendmsg sendmsg(MSG_DEALLOC_VGPRS)
	s_endpgm
	.section	.rodata,"a",@progbits
	.p2align	6, 0x0
	.amdhsa_kernel _ZN9rocsparseL20bsrxmvn_17_32_kernelILj23E21rocsparse_complex_numIdEiiS1_IfES2_S2_EEvT2_20rocsparse_direction_NS_24const_host_device_scalarIT0_EES4_PKS4_PKT1_SD_SA_PKT3_PKT4_S8_PT5_21rocsparse_index_base_b
		.amdhsa_group_segment_fixed_size 16928
		.amdhsa_private_segment_fixed_size 0
		.amdhsa_kernarg_size 112
		.amdhsa_user_sgpr_count 15
		.amdhsa_user_sgpr_dispatch_ptr 1
		.amdhsa_user_sgpr_queue_ptr 0
		.amdhsa_user_sgpr_kernarg_segment_ptr 1
		.amdhsa_user_sgpr_dispatch_id 0
		.amdhsa_user_sgpr_private_segment_size 0
		.amdhsa_wavefront_size32 1
		.amdhsa_uses_dynamic_stack 0
		.amdhsa_enable_private_segment 0
		.amdhsa_system_sgpr_workgroup_id_x 1
		.amdhsa_system_sgpr_workgroup_id_y 0
		.amdhsa_system_sgpr_workgroup_id_z 0
		.amdhsa_system_sgpr_workgroup_info 0
		.amdhsa_system_vgpr_workitem_id 2
		.amdhsa_next_free_vgpr 26
		.amdhsa_next_free_sgpr 20
		.amdhsa_reserve_vcc 1
		.amdhsa_float_round_mode_32 0
		.amdhsa_float_round_mode_16_64 0
		.amdhsa_float_denorm_mode_32 3
		.amdhsa_float_denorm_mode_16_64 3
		.amdhsa_dx10_clamp 1
		.amdhsa_ieee_mode 1
		.amdhsa_fp16_overflow 0
		.amdhsa_workgroup_processor_mode 1
		.amdhsa_memory_ordered 1
		.amdhsa_forward_progress 0
		.amdhsa_shared_vgpr_count 0
		.amdhsa_exception_fp_ieee_invalid_op 0
		.amdhsa_exception_fp_denorm_src 0
		.amdhsa_exception_fp_ieee_div_zero 0
		.amdhsa_exception_fp_ieee_overflow 0
		.amdhsa_exception_fp_ieee_underflow 0
		.amdhsa_exception_fp_ieee_inexact 0
		.amdhsa_exception_int_div_zero 0
	.end_amdhsa_kernel
	.section	.text._ZN9rocsparseL20bsrxmvn_17_32_kernelILj23E21rocsparse_complex_numIdEiiS1_IfES2_S2_EEvT2_20rocsparse_direction_NS_24const_host_device_scalarIT0_EES4_PKS4_PKT1_SD_SA_PKT3_PKT4_S8_PT5_21rocsparse_index_base_b,"axG",@progbits,_ZN9rocsparseL20bsrxmvn_17_32_kernelILj23E21rocsparse_complex_numIdEiiS1_IfES2_S2_EEvT2_20rocsparse_direction_NS_24const_host_device_scalarIT0_EES4_PKS4_PKT1_SD_SA_PKT3_PKT4_S8_PT5_21rocsparse_index_base_b,comdat
.Lfunc_end534:
	.size	_ZN9rocsparseL20bsrxmvn_17_32_kernelILj23E21rocsparse_complex_numIdEiiS1_IfES2_S2_EEvT2_20rocsparse_direction_NS_24const_host_device_scalarIT0_EES4_PKS4_PKT1_SD_SA_PKT3_PKT4_S8_PT5_21rocsparse_index_base_b, .Lfunc_end534-_ZN9rocsparseL20bsrxmvn_17_32_kernelILj23E21rocsparse_complex_numIdEiiS1_IfES2_S2_EEvT2_20rocsparse_direction_NS_24const_host_device_scalarIT0_EES4_PKS4_PKT1_SD_SA_PKT3_PKT4_S8_PT5_21rocsparse_index_base_b
                                        ; -- End function
	.section	.AMDGPU.csdata,"",@progbits
; Kernel info:
; codeLenInByte = 2012
; NumSgprs: 22
; NumVgprs: 26
; ScratchSize: 0
; MemoryBound: 0
; FloatMode: 240
; IeeeMode: 1
; LDSByteSize: 16928 bytes/workgroup (compile time only)
; SGPRBlocks: 2
; VGPRBlocks: 3
; NumSGPRsForWavesPerEU: 22
; NumVGPRsForWavesPerEU: 26
; Occupancy: 13
; WaveLimiterHint : 1
; COMPUTE_PGM_RSRC2:SCRATCH_EN: 0
; COMPUTE_PGM_RSRC2:USER_SGPR: 15
; COMPUTE_PGM_RSRC2:TRAP_HANDLER: 0
; COMPUTE_PGM_RSRC2:TGID_X_EN: 1
; COMPUTE_PGM_RSRC2:TGID_Y_EN: 0
; COMPUTE_PGM_RSRC2:TGID_Z_EN: 0
; COMPUTE_PGM_RSRC2:TIDIG_COMP_CNT: 2
	.section	.text._ZN9rocsparseL20bsrxmvn_17_32_kernelILj24E21rocsparse_complex_numIdEiiS1_IfES2_S2_EEvT2_20rocsparse_direction_NS_24const_host_device_scalarIT0_EES4_PKS4_PKT1_SD_SA_PKT3_PKT4_S8_PT5_21rocsparse_index_base_b,"axG",@progbits,_ZN9rocsparseL20bsrxmvn_17_32_kernelILj24E21rocsparse_complex_numIdEiiS1_IfES2_S2_EEvT2_20rocsparse_direction_NS_24const_host_device_scalarIT0_EES4_PKS4_PKT1_SD_SA_PKT3_PKT4_S8_PT5_21rocsparse_index_base_b,comdat
	.globl	_ZN9rocsparseL20bsrxmvn_17_32_kernelILj24E21rocsparse_complex_numIdEiiS1_IfES2_S2_EEvT2_20rocsparse_direction_NS_24const_host_device_scalarIT0_EES4_PKS4_PKT1_SD_SA_PKT3_PKT4_S8_PT5_21rocsparse_index_base_b ; -- Begin function _ZN9rocsparseL20bsrxmvn_17_32_kernelILj24E21rocsparse_complex_numIdEiiS1_IfES2_S2_EEvT2_20rocsparse_direction_NS_24const_host_device_scalarIT0_EES4_PKS4_PKT1_SD_SA_PKT3_PKT4_S8_PT5_21rocsparse_index_base_b
	.p2align	8
	.type	_ZN9rocsparseL20bsrxmvn_17_32_kernelILj24E21rocsparse_complex_numIdEiiS1_IfES2_S2_EEvT2_20rocsparse_direction_NS_24const_host_device_scalarIT0_EES4_PKS4_PKT1_SD_SA_PKT3_PKT4_S8_PT5_21rocsparse_index_base_b,@function
_ZN9rocsparseL20bsrxmvn_17_32_kernelILj24E21rocsparse_complex_numIdEiiS1_IfES2_S2_EEvT2_20rocsparse_direction_NS_24const_host_device_scalarIT0_EES4_PKS4_PKT1_SD_SA_PKT3_PKT4_S8_PT5_21rocsparse_index_base_b: ; @_ZN9rocsparseL20bsrxmvn_17_32_kernelILj24E21rocsparse_complex_numIdEiiS1_IfES2_S2_EEvT2_20rocsparse_direction_NS_24const_host_device_scalarIT0_EES4_PKS4_PKT1_SD_SA_PKT3_PKT4_S8_PT5_21rocsparse_index_base_b
; %bb.0:
	s_mov_b32 s12, s15
	s_clause 0x1
	s_load_b64 s[14:15], s[2:3], 0x68
	s_load_b128 s[4:7], s[2:3], 0x8
	s_load_b64 s[16:17], s[0:1], 0x4
	s_mov_b64 s[0:1], src_shared_base
	v_and_b32_e32 v4, 0x3ff, v0
	s_load_b128 s[8:11], s[2:3], 0x50
	v_bfe_u32 v2, v0, 10, 10
	v_bfe_u32 v0, v0, 20, 10
	s_waitcnt lgkmcnt(0)
	s_bitcmp1_b32 s15, 0
	v_mov_b32_e32 v12, s7
	s_cselect_b32 s0, -1, 0
	v_mov_b32_e32 v11, s6
	s_and_b32 vcc_lo, s0, exec_lo
	s_cselect_b32 s13, s1, s5
	s_lshr_b32 s15, s16, 16
	v_mov_b32_e32 v6, s13
	s_mul_i32 s15, s15, s17
	s_xor_b32 s6, s0, -1
	v_mul_lo_u32 v1, s15, v4
	s_delay_alu instid0(VALU_DEP_1) | instskip(SKIP_1) | instid1(VALU_DEP_2)
	v_mad_u32_u24 v1, v2, s17, v1
	v_dual_mov_b32 v2, s8 :: v_dual_mov_b32 v3, s9
	v_add_lshl_u32 v7, v1, v0, 3
	v_dual_mov_b32 v0, s4 :: v_dual_mov_b32 v1, s5
	s_delay_alu instid0(VALU_DEP_2)
	v_add_nc_u32_e32 v5, 0x3600, v7
	ds_store_2addr_stride64_b64 v7, v[2:3], v[0:1] offset0:18 offset1:27
	v_add_nc_u32_e32 v0, 0x2400, v7
	v_cndmask_b32_e64 v5, s4, v5, s0
	flat_load_b64 v[9:10], v[5:6]
	s_cbranch_vccnz .LBB535_2
; %bb.1:
	v_dual_mov_b32 v1, s4 :: v_dual_mov_b32 v2, s5
	flat_load_b64 v[11:12], v[1:2] offset:8
.LBB535_2:
	s_and_b32 s4, s0, exec_lo
	s_cselect_b32 s1, s1, s9
	v_cndmask_b32_e64 v0, s8, v0, s0
	v_mov_b32_e32 v1, s1
	v_dual_mov_b32 v7, s10 :: v_dual_mov_b32 v8, s11
	s_and_not1_b32 vcc_lo, exec_lo, s6
	flat_load_b64 v[5:6], v[0:1]
	s_cbranch_vccnz .LBB535_4
; %bb.3:
	v_dual_mov_b32 v0, s8 :: v_dual_mov_b32 v1, s9
	flat_load_b64 v[7:8], v[0:1] offset:8
.LBB535_4:
	s_waitcnt vmcnt(1) lgkmcnt(1)
	v_cmp_eq_f64_e32 vcc_lo, 0, v[9:10]
	v_cmp_eq_f64_e64 s0, 0, v[11:12]
	s_delay_alu instid0(VALU_DEP_1)
	s_and_b32 s4, vcc_lo, s0
	s_mov_b32 s0, -1
	s_and_saveexec_b32 s1, s4
	s_cbranch_execz .LBB535_6
; %bb.5:
	s_waitcnt vmcnt(0) lgkmcnt(0)
	v_cmp_neq_f64_e32 vcc_lo, 1.0, v[5:6]
	v_cmp_neq_f64_e64 s0, 0, v[7:8]
	s_delay_alu instid0(VALU_DEP_1) | instskip(NEXT) | instid1(SALU_CYCLE_1)
	s_or_b32 s0, vcc_lo, s0
	s_or_not1_b32 s0, s0, exec_lo
.LBB535_6:
	s_or_b32 exec_lo, exec_lo, s1
	s_and_saveexec_b32 s1, s0
	s_cbranch_execz .LBB535_43
; %bb.7:
	s_clause 0x1
	s_load_b128 s[4:7], s[2:3], 0x20
	s_load_b64 s[0:1], s[2:3], 0x30
	s_waitcnt lgkmcnt(0)
	s_cmp_eq_u64 s[4:5], 0
	s_cbranch_scc1 .LBB535_9
; %bb.8:
	s_ashr_i32 s13, s12, 31
	s_delay_alu instid0(SALU_CYCLE_1) | instskip(NEXT) | instid1(SALU_CYCLE_1)
	s_lshl_b64 s[8:9], s[12:13], 2
	s_add_u32 s4, s4, s8
	s_addc_u32 s5, s5, s9
	s_load_b32 s4, s[4:5], 0x0
	s_waitcnt lgkmcnt(0)
	s_sub_i32 s12, s4, s14
.LBB535_9:
	s_load_b32 s4, s[2:3], 0x4
	v_mul_u32_u24_e32 v0, 0xaab, v4
	v_mov_b32_e32 v2, 0
	v_mov_b32_e32 v3, 0
	s_delay_alu instid0(VALU_DEP_3) | instskip(NEXT) | instid1(VALU_DEP_1)
	v_lshrrev_b32_e32 v13, 16, v0
	v_mul_lo_u16 v0, v13, 24
	s_delay_alu instid0(VALU_DEP_1) | instskip(NEXT) | instid1(VALU_DEP_4)
	v_sub_nc_u16 v16, v4, v0
	v_dual_mov_b32 v0, v2 :: v_dual_mov_b32 v1, v3
	s_waitcnt lgkmcnt(0)
	s_cmp_eq_u32 s4, 1
	s_cselect_b32 vcc_lo, -1, 0
	s_cmp_lg_u32 s4, 1
	s_cselect_b32 s8, -1, 0
	s_ashr_i32 s13, s12, 31
	s_delay_alu instid0(SALU_CYCLE_1) | instskip(NEXT) | instid1(SALU_CYCLE_1)
	s_lshl_b64 s[4:5], s[12:13], 2
	s_add_u32 s6, s6, s4
	s_addc_u32 s7, s7, s5
	s_add_u32 s9, s6, 4
	s_addc_u32 s10, s7, 0
	;; [unrolled: 2-line block ×3, first 2 shown]
	s_cmp_eq_u64 s[0:1], 0
	s_cselect_b32 s1, s10, s5
	s_cselect_b32 s0, s9, s4
	s_load_b32 s6, s[6:7], 0x0
	s_load_b32 s7, s[0:1], 0x0
	s_load_b64 s[4:5], s[2:3], 0x60
	s_waitcnt lgkmcnt(0)
	s_cmp_ge_i32 s6, s7
	s_cbranch_scc1 .LBB535_14
; %bb.10:
	s_clause 0x1
	s_load_b128 s[16:19], s[2:3], 0x38
	s_load_b64 s[0:1], s[2:3], 0x48
	v_dual_mov_b32 v2, 0 :: v_dual_and_b32 v1, 0xffff, v13
	s_sub_i32 s2, s6, s14
	v_dual_mov_b32 v3, 0 :: v_dual_and_b32 v0, 0xffff, v16
	v_lshlrev_b32_e32 v14, 3, v4
	s_sub_i32 s9, s7, s14
	s_mul_i32 s7, s2, 0x1200
	s_delay_alu instid0(VALU_DEP_2)
	v_cndmask_b32_e32 v13, v0, v1, vcc_lo
	s_ashr_i32 s3, s2, 31
	s_mul_hi_i32 s6, s2, 0x1200
	v_dual_mov_b32 v0, v2 :: v_dual_mov_b32 v1, v3
	s_waitcnt lgkmcnt(0)
	s_add_u32 s10, s18, s7
	s_addc_u32 s11, s19, s6
	s_lshl_b64 s[6:7], s[2:3], 2
	v_add_co_u32 v14, s3, s10, v14
	s_delay_alu instid0(VALU_DEP_1)
	v_add_co_ci_u32_e64 v15, null, s11, 0, s3
	s_add_u32 s6, s16, s6
	s_addc_u32 s7, s17, s7
	s_set_inst_prefetch_distance 0x1
	s_branch .LBB535_12
	.p2align	6
.LBB535_11:                             ;   in Loop: Header=BB535_12 Depth=1
	s_add_i32 s2, s2, 1
	s_add_u32 s6, s6, 4
	s_addc_u32 s7, s7, 0
	s_cmp_lt_i32 s2, s9
	s_cbranch_scc0 .LBB535_14
.LBB535_12:                             ; =>This Inner Loop Header: Depth=1
	s_cmp_ge_i32 s2, s9
	s_cbranch_scc1 .LBB535_11
; %bb.13:                               ;   in Loop: Header=BB535_12 Depth=1
	s_load_b32 s3, s[6:7], 0x0
	global_load_b64 v[21:22], v[14:15], off
	s_waitcnt lgkmcnt(0)
	s_sub_i32 s3, s3, s14
	s_delay_alu instid0(SALU_CYCLE_1) | instskip(NEXT) | instid1(VALU_DEP_1)
	v_mad_u64_u32 v[17:18], null, s3, 24, v[13:14]
	v_ashrrev_i32_e32 v18, 31, v17
	s_delay_alu instid0(VALU_DEP_1) | instskip(NEXT) | instid1(VALU_DEP_1)
	v_lshlrev_b64 v[17:18], 4, v[17:18]
	v_add_co_u32 v17, vcc_lo, s0, v17
	s_delay_alu instid0(VALU_DEP_2)
	v_add_co_ci_u32_e32 v18, vcc_lo, s1, v18, vcc_lo
	v_add_co_u32 v14, vcc_lo, 0x1200, v14
	v_add_co_ci_u32_e32 v15, vcc_lo, 0, v15, vcc_lo
	global_load_b128 v[17:20], v[17:18], off
	s_waitcnt vmcnt(1)
	v_cvt_f64_f32_e32 v[23:24], v21
	v_cvt_f64_f32_e32 v[21:22], v22
	s_waitcnt vmcnt(0)
	s_delay_alu instid0(VALU_DEP_2) | instskip(NEXT) | instid1(VALU_DEP_2)
	v_fma_f64 v[0:1], v[23:24], v[17:18], v[0:1]
	v_fma_f64 v[2:3], v[21:22], v[17:18], v[2:3]
	s_delay_alu instid0(VALU_DEP_2) | instskip(NEXT) | instid1(VALU_DEP_2)
	v_fma_f64 v[0:1], -v[21:22], v[19:20], v[0:1]
	v_fma_f64 v[2:3], v[23:24], v[19:20], v[2:3]
	s_branch .LBB535_11
.LBB535_14:
	s_set_inst_prefetch_distance 0x2
	v_lshlrev_b32_e32 v17, 4, v4
	s_and_b32 vcc_lo, exec_lo, s8
	ds_store_b128 v17, v[0:3]
	s_waitcnt vmcnt(0) lgkmcnt(0)
	s_barrier
	buffer_gl0_inv
	s_cbranch_vccz .LBB535_26
; %bb.15:
	v_cmp_gt_u16_e32 vcc_lo, 8, v16
	s_and_saveexec_b32 s0, vcc_lo
	s_cbranch_execz .LBB535_17
; %bb.16:
	ds_load_b128 v[18:21], v17 offset:256
	ds_load_b128 v[22:25], v17
	s_waitcnt lgkmcnt(0)
	v_add_f64 v[18:19], v[18:19], v[22:23]
	v_add_f64 v[20:21], v[20:21], v[24:25]
	ds_store_b128 v17, v[18:21]
.LBB535_17:
	s_or_b32 exec_lo, exec_lo, s0
	s_waitcnt lgkmcnt(0)
	s_barrier
	buffer_gl0_inv
	s_and_saveexec_b32 s0, vcc_lo
	s_cbranch_execz .LBB535_19
; %bb.18:
	ds_load_b128 v[18:21], v17 offset:128
	ds_load_b128 v[22:25], v17
	s_waitcnt lgkmcnt(0)
	v_add_f64 v[18:19], v[18:19], v[22:23]
	v_add_f64 v[20:21], v[20:21], v[24:25]
	ds_store_b128 v17, v[18:21]
.LBB535_19:
	s_or_b32 exec_lo, exec_lo, s0
	s_delay_alu instid0(SALU_CYCLE_1)
	s_mov_b32 s0, exec_lo
	s_waitcnt lgkmcnt(0)
	s_barrier
	buffer_gl0_inv
	v_cmpx_gt_u16_e32 4, v16
	s_cbranch_execz .LBB535_21
; %bb.20:
	ds_load_b128 v[18:21], v17 offset:64
	ds_load_b128 v[22:25], v17
	s_waitcnt lgkmcnt(0)
	v_add_f64 v[18:19], v[18:19], v[22:23]
	v_add_f64 v[20:21], v[20:21], v[24:25]
	ds_store_b128 v17, v[18:21]
.LBB535_21:
	s_or_b32 exec_lo, exec_lo, s0
	s_delay_alu instid0(SALU_CYCLE_1)
	s_mov_b32 s0, exec_lo
	s_waitcnt lgkmcnt(0)
	s_barrier
	buffer_gl0_inv
	v_cmpx_gt_u16_e32 2, v16
	s_cbranch_execz .LBB535_23
; %bb.22:
	ds_load_b128 v[13:16], v17
	ds_load_b128 v[18:21], v17 offset:32
	s_waitcnt lgkmcnt(0)
	v_add_f64 v[13:14], v[18:19], v[13:14]
	v_add_f64 v[15:16], v[20:21], v[15:16]
	ds_store_b128 v17, v[13:16]
.LBB535_23:
	s_or_b32 exec_lo, exec_lo, s0
	v_dual_mov_b32 v16, v3 :: v_dual_mov_b32 v15, v2
	v_dual_mov_b32 v14, v1 :: v_dual_mov_b32 v13, v0
	s_mov_b32 s0, exec_lo
	s_waitcnt lgkmcnt(0)
	s_barrier
	buffer_gl0_inv
	v_cmpx_gt_u32_e32 24, v4
	s_cbranch_execz .LBB535_25
; %bb.24:
	v_mul_u32_u24_e32 v13, 24, v4
	s_delay_alu instid0(VALU_DEP_1)
	v_lshlrev_b32_e32 v18, 4, v13
	ds_load_b128 v[13:16], v18
	ds_load_b128 v[18:21], v18 offset:16
	s_waitcnt lgkmcnt(0)
	v_add_f64 v[13:14], v[18:19], v[13:14]
	v_add_f64 v[15:16], v[20:21], v[15:16]
.LBB535_25:
	s_or_b32 exec_lo, exec_lo, s0
	s_branch .LBB535_38
.LBB535_26:
                                        ; implicit-def: $vgpr15_vgpr16
                                        ; implicit-def: $vgpr13_vgpr14
	s_cbranch_execz .LBB535_38
; %bb.27:
	v_cmp_gt_u32_e32 vcc_lo, 0xc0, v4
	s_and_saveexec_b32 s0, vcc_lo
	s_cbranch_execz .LBB535_29
; %bb.28:
	ds_load_b128 v[13:16], v17 offset:6144
	ds_load_b128 v[18:21], v17
	s_waitcnt lgkmcnt(0)
	v_add_f64 v[13:14], v[13:14], v[18:19]
	v_add_f64 v[15:16], v[15:16], v[20:21]
	ds_store_b128 v17, v[13:16]
.LBB535_29:
	s_or_b32 exec_lo, exec_lo, s0
	s_waitcnt lgkmcnt(0)
	s_barrier
	buffer_gl0_inv
	s_and_saveexec_b32 s0, vcc_lo
	s_cbranch_execz .LBB535_31
; %bb.30:
	ds_load_b128 v[13:16], v17 offset:3072
	ds_load_b128 v[18:21], v17
	s_waitcnt lgkmcnt(0)
	v_add_f64 v[13:14], v[13:14], v[18:19]
	v_add_f64 v[15:16], v[15:16], v[20:21]
	ds_store_b128 v17, v[13:16]
.LBB535_31:
	s_or_b32 exec_lo, exec_lo, s0
	s_delay_alu instid0(SALU_CYCLE_1)
	s_mov_b32 s0, exec_lo
	s_waitcnt lgkmcnt(0)
	s_barrier
	buffer_gl0_inv
	v_cmpx_gt_u32_e32 0x60, v4
	s_cbranch_execz .LBB535_33
; %bb.32:
	ds_load_b128 v[13:16], v17 offset:1536
	ds_load_b128 v[18:21], v17
	s_waitcnt lgkmcnt(0)
	v_add_f64 v[13:14], v[13:14], v[18:19]
	v_add_f64 v[15:16], v[15:16], v[20:21]
	ds_store_b128 v17, v[13:16]
.LBB535_33:
	s_or_b32 exec_lo, exec_lo, s0
	s_delay_alu instid0(SALU_CYCLE_1)
	s_mov_b32 s0, exec_lo
	s_waitcnt lgkmcnt(0)
	s_barrier
	buffer_gl0_inv
	v_cmpx_gt_u32_e32 48, v4
	s_cbranch_execz .LBB535_35
; %bb.34:
	ds_load_b128 v[13:16], v17 offset:768
	ds_load_b128 v[18:21], v17
	s_waitcnt lgkmcnt(0)
	v_add_f64 v[13:14], v[13:14], v[18:19]
	v_add_f64 v[15:16], v[15:16], v[20:21]
	ds_store_b128 v17, v[13:16]
.LBB535_35:
	s_or_b32 exec_lo, exec_lo, s0
	s_delay_alu instid0(SALU_CYCLE_1)
	s_mov_b32 s0, exec_lo
	s_waitcnt lgkmcnt(0)
	buffer_gl0_inv
	v_cmpx_gt_u32_e32 24, v4
	s_cbranch_execz .LBB535_37
; %bb.36:
	ds_load_b128 v[0:3], v17 offset:384
	ds_load_b128 v[13:16], v17
	s_waitcnt lgkmcnt(0)
	v_add_f64 v[0:1], v[0:1], v[13:14]
	v_add_f64 v[2:3], v[2:3], v[15:16]
.LBB535_37:
	s_or_b32 exec_lo, exec_lo, s0
	s_delay_alu instid0(VALU_DEP_1) | instskip(NEXT) | instid1(VALU_DEP_3)
	v_dual_mov_b32 v16, v3 :: v_dual_mov_b32 v15, v2
	v_dual_mov_b32 v14, v1 :: v_dual_mov_b32 v13, v0
.LBB535_38:
	v_cmp_gt_u32_e32 vcc_lo, 24, v4
	s_and_b32 exec_lo, exec_lo, vcc_lo
	s_cbranch_execz .LBB535_43
; %bb.39:
	s_delay_alu instid0(VALU_DEP_2) | instskip(SKIP_3) | instid1(VALU_DEP_4)
	v_mul_f64 v[0:1], v[15:16], -v[11:12]
	v_mul_f64 v[2:3], v[9:10], v[15:16]
	v_cmp_eq_f64_e32 vcc_lo, 0, v[5:6]
	v_cmp_eq_f64_e64 s0, 0, v[7:8]
	v_fma_f64 v[0:1], v[9:10], v[13:14], v[0:1]
	s_delay_alu instid0(VALU_DEP_4) | instskip(NEXT) | instid1(VALU_DEP_3)
	v_fma_f64 v[2:3], v[11:12], v[13:14], v[2:3]
	s_and_b32 s0, vcc_lo, s0
	s_delay_alu instid0(SALU_CYCLE_1) | instskip(NEXT) | instid1(SALU_CYCLE_1)
	s_and_saveexec_b32 s1, s0
	s_xor_b32 s0, exec_lo, s1
	s_cbranch_execz .LBB535_41
; %bb.40:
	v_mad_u64_u32 v[5:6], null, s12, 24, v[4:5]
	v_mov_b32_e32 v6, 0
                                        ; implicit-def: $vgpr7_vgpr8
	s_delay_alu instid0(VALU_DEP_1) | instskip(NEXT) | instid1(VALU_DEP_1)
	v_lshlrev_b64 v[4:5], 4, v[5:6]
	v_add_co_u32 v4, vcc_lo, s4, v4
	s_delay_alu instid0(VALU_DEP_2)
	v_add_co_ci_u32_e32 v5, vcc_lo, s5, v5, vcc_lo
	global_store_b128 v[4:5], v[0:3], off
                                        ; implicit-def: $vgpr4
                                        ; implicit-def: $vgpr5_vgpr6
                                        ; implicit-def: $vgpr0_vgpr1
.LBB535_41:
	s_and_not1_saveexec_b32 s0, s0
	s_cbranch_execz .LBB535_43
; %bb.42:
	v_mad_u64_u32 v[9:10], null, s12, 24, v[4:5]
	v_mov_b32_e32 v10, 0
	s_delay_alu instid0(VALU_DEP_1) | instskip(NEXT) | instid1(VALU_DEP_1)
	v_lshlrev_b64 v[9:10], 4, v[9:10]
	v_add_co_u32 v13, vcc_lo, s4, v9
	s_delay_alu instid0(VALU_DEP_2) | instskip(SKIP_4) | instid1(VALU_DEP_2)
	v_add_co_ci_u32_e32 v14, vcc_lo, s5, v10, vcc_lo
	global_load_b128 v[9:12], v[13:14], off
	s_waitcnt vmcnt(0)
	v_fma_f64 v[0:1], v[5:6], v[9:10], v[0:1]
	v_fma_f64 v[2:3], v[7:8], v[9:10], v[2:3]
	v_fma_f64 v[0:1], -v[7:8], v[11:12], v[0:1]
	s_delay_alu instid0(VALU_DEP_2)
	v_fma_f64 v[2:3], v[5:6], v[11:12], v[2:3]
	global_store_b128 v[13:14], v[0:3], off
.LBB535_43:
	s_nop 0
	s_sendmsg sendmsg(MSG_DEALLOC_VGPRS)
	s_endpgm
	.section	.rodata,"a",@progbits
	.p2align	6, 0x0
	.amdhsa_kernel _ZN9rocsparseL20bsrxmvn_17_32_kernelILj24E21rocsparse_complex_numIdEiiS1_IfES2_S2_EEvT2_20rocsparse_direction_NS_24const_host_device_scalarIT0_EES4_PKS4_PKT1_SD_SA_PKT3_PKT4_S8_PT5_21rocsparse_index_base_b
		.amdhsa_group_segment_fixed_size 18432
		.amdhsa_private_segment_fixed_size 0
		.amdhsa_kernarg_size 112
		.amdhsa_user_sgpr_count 15
		.amdhsa_user_sgpr_dispatch_ptr 1
		.amdhsa_user_sgpr_queue_ptr 0
		.amdhsa_user_sgpr_kernarg_segment_ptr 1
		.amdhsa_user_sgpr_dispatch_id 0
		.amdhsa_user_sgpr_private_segment_size 0
		.amdhsa_wavefront_size32 1
		.amdhsa_uses_dynamic_stack 0
		.amdhsa_enable_private_segment 0
		.amdhsa_system_sgpr_workgroup_id_x 1
		.amdhsa_system_sgpr_workgroup_id_y 0
		.amdhsa_system_sgpr_workgroup_id_z 0
		.amdhsa_system_sgpr_workgroup_info 0
		.amdhsa_system_vgpr_workitem_id 2
		.amdhsa_next_free_vgpr 26
		.amdhsa_next_free_sgpr 20
		.amdhsa_reserve_vcc 1
		.amdhsa_float_round_mode_32 0
		.amdhsa_float_round_mode_16_64 0
		.amdhsa_float_denorm_mode_32 3
		.amdhsa_float_denorm_mode_16_64 3
		.amdhsa_dx10_clamp 1
		.amdhsa_ieee_mode 1
		.amdhsa_fp16_overflow 0
		.amdhsa_workgroup_processor_mode 1
		.amdhsa_memory_ordered 1
		.amdhsa_forward_progress 0
		.amdhsa_shared_vgpr_count 0
		.amdhsa_exception_fp_ieee_invalid_op 0
		.amdhsa_exception_fp_denorm_src 0
		.amdhsa_exception_fp_ieee_div_zero 0
		.amdhsa_exception_fp_ieee_overflow 0
		.amdhsa_exception_fp_ieee_underflow 0
		.amdhsa_exception_fp_ieee_inexact 0
		.amdhsa_exception_int_div_zero 0
	.end_amdhsa_kernel
	.section	.text._ZN9rocsparseL20bsrxmvn_17_32_kernelILj24E21rocsparse_complex_numIdEiiS1_IfES2_S2_EEvT2_20rocsparse_direction_NS_24const_host_device_scalarIT0_EES4_PKS4_PKT1_SD_SA_PKT3_PKT4_S8_PT5_21rocsparse_index_base_b,"axG",@progbits,_ZN9rocsparseL20bsrxmvn_17_32_kernelILj24E21rocsparse_complex_numIdEiiS1_IfES2_S2_EEvT2_20rocsparse_direction_NS_24const_host_device_scalarIT0_EES4_PKS4_PKT1_SD_SA_PKT3_PKT4_S8_PT5_21rocsparse_index_base_b,comdat
.Lfunc_end535:
	.size	_ZN9rocsparseL20bsrxmvn_17_32_kernelILj24E21rocsparse_complex_numIdEiiS1_IfES2_S2_EEvT2_20rocsparse_direction_NS_24const_host_device_scalarIT0_EES4_PKS4_PKT1_SD_SA_PKT3_PKT4_S8_PT5_21rocsparse_index_base_b, .Lfunc_end535-_ZN9rocsparseL20bsrxmvn_17_32_kernelILj24E21rocsparse_complex_numIdEiiS1_IfES2_S2_EEvT2_20rocsparse_direction_NS_24const_host_device_scalarIT0_EES4_PKS4_PKT1_SD_SA_PKT3_PKT4_S8_PT5_21rocsparse_index_base_b
                                        ; -- End function
	.section	.AMDGPU.csdata,"",@progbits
; Kernel info:
; codeLenInByte = 1984
; NumSgprs: 22
; NumVgprs: 26
; ScratchSize: 0
; MemoryBound: 0
; FloatMode: 240
; IeeeMode: 1
; LDSByteSize: 18432 bytes/workgroup (compile time only)
; SGPRBlocks: 2
; VGPRBlocks: 3
; NumSGPRsForWavesPerEU: 22
; NumVGPRsForWavesPerEU: 26
; Occupancy: 14
; WaveLimiterHint : 1
; COMPUTE_PGM_RSRC2:SCRATCH_EN: 0
; COMPUTE_PGM_RSRC2:USER_SGPR: 15
; COMPUTE_PGM_RSRC2:TRAP_HANDLER: 0
; COMPUTE_PGM_RSRC2:TGID_X_EN: 1
; COMPUTE_PGM_RSRC2:TGID_Y_EN: 0
; COMPUTE_PGM_RSRC2:TGID_Z_EN: 0
; COMPUTE_PGM_RSRC2:TIDIG_COMP_CNT: 2
	.section	.text._ZN9rocsparseL20bsrxmvn_17_32_kernelILj25E21rocsparse_complex_numIdEiiS1_IfES2_S2_EEvT2_20rocsparse_direction_NS_24const_host_device_scalarIT0_EES4_PKS4_PKT1_SD_SA_PKT3_PKT4_S8_PT5_21rocsparse_index_base_b,"axG",@progbits,_ZN9rocsparseL20bsrxmvn_17_32_kernelILj25E21rocsparse_complex_numIdEiiS1_IfES2_S2_EEvT2_20rocsparse_direction_NS_24const_host_device_scalarIT0_EES4_PKS4_PKT1_SD_SA_PKT3_PKT4_S8_PT5_21rocsparse_index_base_b,comdat
	.globl	_ZN9rocsparseL20bsrxmvn_17_32_kernelILj25E21rocsparse_complex_numIdEiiS1_IfES2_S2_EEvT2_20rocsparse_direction_NS_24const_host_device_scalarIT0_EES4_PKS4_PKT1_SD_SA_PKT3_PKT4_S8_PT5_21rocsparse_index_base_b ; -- Begin function _ZN9rocsparseL20bsrxmvn_17_32_kernelILj25E21rocsparse_complex_numIdEiiS1_IfES2_S2_EEvT2_20rocsparse_direction_NS_24const_host_device_scalarIT0_EES4_PKS4_PKT1_SD_SA_PKT3_PKT4_S8_PT5_21rocsparse_index_base_b
	.p2align	8
	.type	_ZN9rocsparseL20bsrxmvn_17_32_kernelILj25E21rocsparse_complex_numIdEiiS1_IfES2_S2_EEvT2_20rocsparse_direction_NS_24const_host_device_scalarIT0_EES4_PKS4_PKT1_SD_SA_PKT3_PKT4_S8_PT5_21rocsparse_index_base_b,@function
_ZN9rocsparseL20bsrxmvn_17_32_kernelILj25E21rocsparse_complex_numIdEiiS1_IfES2_S2_EEvT2_20rocsparse_direction_NS_24const_host_device_scalarIT0_EES4_PKS4_PKT1_SD_SA_PKT3_PKT4_S8_PT5_21rocsparse_index_base_b: ; @_ZN9rocsparseL20bsrxmvn_17_32_kernelILj25E21rocsparse_complex_numIdEiiS1_IfES2_S2_EEvT2_20rocsparse_direction_NS_24const_host_device_scalarIT0_EES4_PKS4_PKT1_SD_SA_PKT3_PKT4_S8_PT5_21rocsparse_index_base_b
; %bb.0:
	s_mov_b32 s12, s15
	s_clause 0x1
	s_load_b64 s[14:15], s[2:3], 0x68
	s_load_b128 s[4:7], s[2:3], 0x8
	s_load_b64 s[16:17], s[0:1], 0x4
	s_mov_b64 s[0:1], src_shared_base
	v_and_b32_e32 v4, 0x3ff, v0
	s_load_b128 s[8:11], s[2:3], 0x50
	v_bfe_u32 v2, v0, 10, 10
	v_bfe_u32 v0, v0, 20, 10
	s_waitcnt lgkmcnt(0)
	s_bitcmp1_b32 s15, 0
	v_mov_b32_e32 v12, s7
	s_cselect_b32 s0, -1, 0
	v_mov_b32_e32 v11, s6
	s_and_b32 vcc_lo, s0, exec_lo
	s_cselect_b32 s13, s1, s5
	s_lshr_b32 s15, s16, 16
	v_mov_b32_e32 v6, s13
	s_mul_i32 s15, s15, s17
	s_xor_b32 s6, s0, -1
	v_mul_lo_u32 v1, s15, v4
	s_delay_alu instid0(VALU_DEP_1) | instskip(SKIP_1) | instid1(VALU_DEP_2)
	v_mad_u32_u24 v1, v2, s17, v1
	v_dual_mov_b32 v2, s8 :: v_dual_mov_b32 v3, s9
	v_add_lshl_u32 v7, v1, v0, 3
	v_dual_mov_b32 v0, s4 :: v_dual_mov_b32 v1, s5
	ds_store_b64 v7, v[0:1] offset:15000
	ds_store_b64 v7, v[2:3] offset:10000
	v_add_nc_u32_e32 v5, 0x3a98, v7
	v_add_nc_u32_e32 v0, 0x2710, v7
	s_delay_alu instid0(VALU_DEP_2)
	v_cndmask_b32_e64 v5, s4, v5, s0
	flat_load_b64 v[9:10], v[5:6]
	s_cbranch_vccnz .LBB536_2
; %bb.1:
	v_dual_mov_b32 v1, s4 :: v_dual_mov_b32 v2, s5
	flat_load_b64 v[11:12], v[1:2] offset:8
.LBB536_2:
	s_and_b32 s4, s0, exec_lo
	s_cselect_b32 s1, s1, s9
	v_cndmask_b32_e64 v0, s8, v0, s0
	v_mov_b32_e32 v1, s1
	v_dual_mov_b32 v7, s10 :: v_dual_mov_b32 v8, s11
	s_and_not1_b32 vcc_lo, exec_lo, s6
	flat_load_b64 v[5:6], v[0:1]
	s_cbranch_vccnz .LBB536_4
; %bb.3:
	v_dual_mov_b32 v0, s8 :: v_dual_mov_b32 v1, s9
	flat_load_b64 v[7:8], v[0:1] offset:8
.LBB536_4:
	s_waitcnt vmcnt(1) lgkmcnt(1)
	v_cmp_eq_f64_e32 vcc_lo, 0, v[9:10]
	v_cmp_eq_f64_e64 s0, 0, v[11:12]
	s_delay_alu instid0(VALU_DEP_1)
	s_and_b32 s4, vcc_lo, s0
	s_mov_b32 s0, -1
	s_and_saveexec_b32 s1, s4
	s_cbranch_execz .LBB536_6
; %bb.5:
	s_waitcnt vmcnt(0) lgkmcnt(0)
	v_cmp_neq_f64_e32 vcc_lo, 1.0, v[5:6]
	v_cmp_neq_f64_e64 s0, 0, v[7:8]
	s_delay_alu instid0(VALU_DEP_1) | instskip(NEXT) | instid1(SALU_CYCLE_1)
	s_or_b32 s0, vcc_lo, s0
	s_or_not1_b32 s0, s0, exec_lo
.LBB536_6:
	s_or_b32 exec_lo, exec_lo, s1
	s_and_saveexec_b32 s1, s0
	s_cbranch_execz .LBB536_43
; %bb.7:
	s_clause 0x1
	s_load_b128 s[4:7], s[2:3], 0x20
	s_load_b64 s[0:1], s[2:3], 0x30
	s_waitcnt lgkmcnt(0)
	s_cmp_eq_u64 s[4:5], 0
	s_cbranch_scc1 .LBB536_9
; %bb.8:
	s_ashr_i32 s13, s12, 31
	s_delay_alu instid0(SALU_CYCLE_1) | instskip(NEXT) | instid1(SALU_CYCLE_1)
	s_lshl_b64 s[8:9], s[12:13], 2
	s_add_u32 s4, s4, s8
	s_addc_u32 s5, s5, s9
	s_load_b32 s4, s[4:5], 0x0
	s_waitcnt lgkmcnt(0)
	s_sub_i32 s12, s4, s14
.LBB536_9:
	s_load_b32 s4, s[2:3], 0x4
	v_mul_u32_u24_e32 v0, 0xa3e, v4
	v_mov_b32_e32 v2, 0
	v_mov_b32_e32 v3, 0
	s_delay_alu instid0(VALU_DEP_3) | instskip(NEXT) | instid1(VALU_DEP_1)
	v_lshrrev_b32_e32 v13, 16, v0
	v_mul_lo_u16 v0, v13, 25
	s_delay_alu instid0(VALU_DEP_1) | instskip(NEXT) | instid1(VALU_DEP_4)
	v_sub_nc_u16 v16, v4, v0
	v_dual_mov_b32 v0, v2 :: v_dual_mov_b32 v1, v3
	s_waitcnt lgkmcnt(0)
	s_cmp_eq_u32 s4, 1
	s_cselect_b32 vcc_lo, -1, 0
	s_cmp_lg_u32 s4, 1
	s_cselect_b32 s8, -1, 0
	s_ashr_i32 s13, s12, 31
	s_delay_alu instid0(SALU_CYCLE_1) | instskip(NEXT) | instid1(SALU_CYCLE_1)
	s_lshl_b64 s[4:5], s[12:13], 2
	s_add_u32 s6, s6, s4
	s_addc_u32 s7, s7, s5
	s_add_u32 s9, s6, 4
	s_addc_u32 s10, s7, 0
	s_add_u32 s4, s0, s4
	s_addc_u32 s5, s1, s5
	s_cmp_eq_u64 s[0:1], 0
	s_cselect_b32 s1, s10, s5
	s_cselect_b32 s0, s9, s4
	s_load_b32 s6, s[6:7], 0x0
	s_load_b32 s7, s[0:1], 0x0
	s_load_b64 s[4:5], s[2:3], 0x60
	s_waitcnt lgkmcnt(0)
	s_cmp_ge_i32 s6, s7
	s_cbranch_scc1 .LBB536_14
; %bb.10:
	s_clause 0x1
	s_load_b128 s[16:19], s[2:3], 0x38
	s_load_b64 s[0:1], s[2:3], 0x48
	v_dual_mov_b32 v2, 0 :: v_dual_and_b32 v1, 0xffff, v13
	s_sub_i32 s2, s6, s14
	v_dual_mov_b32 v3, 0 :: v_dual_and_b32 v0, 0xffff, v16
	v_lshlrev_b32_e32 v14, 3, v4
	s_sub_i32 s9, s7, s14
	s_mul_i32 s7, s2, 0x1388
	s_delay_alu instid0(VALU_DEP_2)
	v_cndmask_b32_e32 v13, v0, v1, vcc_lo
	s_ashr_i32 s3, s2, 31
	s_mul_hi_i32 s6, s2, 0x1388
	v_dual_mov_b32 v0, v2 :: v_dual_mov_b32 v1, v3
	s_waitcnt lgkmcnt(0)
	s_add_u32 s10, s18, s7
	s_addc_u32 s11, s19, s6
	s_lshl_b64 s[6:7], s[2:3], 2
	v_add_co_u32 v14, s3, s10, v14
	s_delay_alu instid0(VALU_DEP_1)
	v_add_co_ci_u32_e64 v15, null, s11, 0, s3
	s_add_u32 s6, s16, s6
	s_addc_u32 s7, s17, s7
	s_set_inst_prefetch_distance 0x1
	s_branch .LBB536_12
	.p2align	6
.LBB536_11:                             ;   in Loop: Header=BB536_12 Depth=1
	s_add_i32 s2, s2, 1
	s_add_u32 s6, s6, 4
	s_addc_u32 s7, s7, 0
	s_cmp_lt_i32 s2, s9
	s_cbranch_scc0 .LBB536_14
.LBB536_12:                             ; =>This Inner Loop Header: Depth=1
	s_cmp_ge_i32 s2, s9
	s_cbranch_scc1 .LBB536_11
; %bb.13:                               ;   in Loop: Header=BB536_12 Depth=1
	s_load_b32 s3, s[6:7], 0x0
	global_load_b64 v[21:22], v[14:15], off
	s_waitcnt lgkmcnt(0)
	s_sub_i32 s3, s3, s14
	s_delay_alu instid0(SALU_CYCLE_1) | instskip(NEXT) | instid1(VALU_DEP_1)
	v_mad_u64_u32 v[17:18], null, s3, 25, v[13:14]
	v_ashrrev_i32_e32 v18, 31, v17
	s_delay_alu instid0(VALU_DEP_1) | instskip(NEXT) | instid1(VALU_DEP_1)
	v_lshlrev_b64 v[17:18], 4, v[17:18]
	v_add_co_u32 v17, vcc_lo, s0, v17
	s_delay_alu instid0(VALU_DEP_2)
	v_add_co_ci_u32_e32 v18, vcc_lo, s1, v18, vcc_lo
	v_add_co_u32 v14, vcc_lo, 0x1388, v14
	v_add_co_ci_u32_e32 v15, vcc_lo, 0, v15, vcc_lo
	global_load_b128 v[17:20], v[17:18], off
	s_waitcnt vmcnt(1)
	v_cvt_f64_f32_e32 v[23:24], v21
	v_cvt_f64_f32_e32 v[21:22], v22
	s_waitcnt vmcnt(0)
	s_delay_alu instid0(VALU_DEP_2) | instskip(NEXT) | instid1(VALU_DEP_2)
	v_fma_f64 v[0:1], v[23:24], v[17:18], v[0:1]
	v_fma_f64 v[2:3], v[21:22], v[17:18], v[2:3]
	s_delay_alu instid0(VALU_DEP_2) | instskip(NEXT) | instid1(VALU_DEP_2)
	v_fma_f64 v[0:1], -v[21:22], v[19:20], v[0:1]
	v_fma_f64 v[2:3], v[23:24], v[19:20], v[2:3]
	s_branch .LBB536_11
.LBB536_14:
	s_set_inst_prefetch_distance 0x2
	v_lshlrev_b32_e32 v17, 4, v4
	s_and_b32 vcc_lo, exec_lo, s8
	ds_store_b128 v17, v[0:3]
	s_waitcnt vmcnt(0) lgkmcnt(0)
	s_barrier
	buffer_gl0_inv
	s_cbranch_vccz .LBB536_26
; %bb.15:
	s_mov_b32 s0, exec_lo
	v_cmpx_gt_u16_e32 9, v16
	s_cbranch_execz .LBB536_17
; %bb.16:
	ds_load_b128 v[18:21], v17 offset:256
	ds_load_b128 v[22:25], v17
	s_waitcnt lgkmcnt(0)
	v_add_f64 v[18:19], v[18:19], v[22:23]
	v_add_f64 v[20:21], v[20:21], v[24:25]
	ds_store_b128 v17, v[18:21]
.LBB536_17:
	s_or_b32 exec_lo, exec_lo, s0
	s_delay_alu instid0(SALU_CYCLE_1)
	s_mov_b32 s0, exec_lo
	s_waitcnt lgkmcnt(0)
	s_barrier
	buffer_gl0_inv
	v_cmpx_gt_u16_e32 8, v16
	s_cbranch_execz .LBB536_19
; %bb.18:
	ds_load_b128 v[18:21], v17 offset:128
	ds_load_b128 v[22:25], v17
	s_waitcnt lgkmcnt(0)
	v_add_f64 v[18:19], v[18:19], v[22:23]
	v_add_f64 v[20:21], v[20:21], v[24:25]
	ds_store_b128 v17, v[18:21]
.LBB536_19:
	s_or_b32 exec_lo, exec_lo, s0
	s_delay_alu instid0(SALU_CYCLE_1)
	s_mov_b32 s0, exec_lo
	s_waitcnt lgkmcnt(0)
	s_barrier
	buffer_gl0_inv
	;; [unrolled: 16-line block ×3, first 2 shown]
	v_cmpx_gt_u16_e32 2, v16
	s_cbranch_execz .LBB536_23
; %bb.22:
	ds_load_b128 v[13:16], v17
	ds_load_b128 v[18:21], v17 offset:32
	s_waitcnt lgkmcnt(0)
	v_add_f64 v[13:14], v[18:19], v[13:14]
	v_add_f64 v[15:16], v[20:21], v[15:16]
	ds_store_b128 v17, v[13:16]
.LBB536_23:
	s_or_b32 exec_lo, exec_lo, s0
	v_dual_mov_b32 v16, v3 :: v_dual_mov_b32 v15, v2
	v_dual_mov_b32 v14, v1 :: v_dual_mov_b32 v13, v0
	s_mov_b32 s0, exec_lo
	s_waitcnt lgkmcnt(0)
	s_barrier
	buffer_gl0_inv
	v_cmpx_gt_u32_e32 25, v4
	s_cbranch_execz .LBB536_25
; %bb.24:
	v_mul_u32_u24_e32 v13, 25, v4
	s_delay_alu instid0(VALU_DEP_1)
	v_lshlrev_b32_e32 v18, 4, v13
	ds_load_b128 v[13:16], v18
	ds_load_b128 v[18:21], v18 offset:16
	s_waitcnt lgkmcnt(0)
	v_add_f64 v[13:14], v[18:19], v[13:14]
	v_add_f64 v[15:16], v[20:21], v[15:16]
.LBB536_25:
	s_or_b32 exec_lo, exec_lo, s0
	s_branch .LBB536_38
.LBB536_26:
                                        ; implicit-def: $vgpr15_vgpr16
                                        ; implicit-def: $vgpr13_vgpr14
	s_cbranch_execz .LBB536_38
; %bb.27:
	s_mov_b32 s0, exec_lo
	v_cmpx_gt_u32_e32 0xe1, v4
	s_cbranch_execz .LBB536_29
; %bb.28:
	ds_load_b128 v[13:16], v17 offset:6400
	ds_load_b128 v[18:21], v17
	s_waitcnt lgkmcnt(0)
	v_add_f64 v[13:14], v[13:14], v[18:19]
	v_add_f64 v[15:16], v[15:16], v[20:21]
	ds_store_b128 v17, v[13:16]
.LBB536_29:
	s_or_b32 exec_lo, exec_lo, s0
	s_delay_alu instid0(SALU_CYCLE_1)
	s_mov_b32 s0, exec_lo
	s_waitcnt lgkmcnt(0)
	s_barrier
	buffer_gl0_inv
	v_cmpx_gt_u32_e32 0xc8, v4
	s_cbranch_execz .LBB536_31
; %bb.30:
	ds_load_b128 v[13:16], v17 offset:3200
	ds_load_b128 v[18:21], v17
	s_waitcnt lgkmcnt(0)
	v_add_f64 v[13:14], v[13:14], v[18:19]
	v_add_f64 v[15:16], v[15:16], v[20:21]
	ds_store_b128 v17, v[13:16]
.LBB536_31:
	s_or_b32 exec_lo, exec_lo, s0
	s_delay_alu instid0(SALU_CYCLE_1)
	s_mov_b32 s0, exec_lo
	s_waitcnt lgkmcnt(0)
	s_barrier
	buffer_gl0_inv
	;; [unrolled: 16-line block ×3, first 2 shown]
	v_cmpx_gt_u32_e32 50, v4
	s_cbranch_execz .LBB536_35
; %bb.34:
	ds_load_b128 v[13:16], v17 offset:800
	ds_load_b128 v[18:21], v17
	s_waitcnt lgkmcnt(0)
	v_add_f64 v[13:14], v[13:14], v[18:19]
	v_add_f64 v[15:16], v[15:16], v[20:21]
	ds_store_b128 v17, v[13:16]
.LBB536_35:
	s_or_b32 exec_lo, exec_lo, s0
	s_delay_alu instid0(SALU_CYCLE_1)
	s_mov_b32 s0, exec_lo
	s_waitcnt lgkmcnt(0)
	buffer_gl0_inv
	v_cmpx_gt_u32_e32 25, v4
	s_cbranch_execz .LBB536_37
; %bb.36:
	ds_load_b128 v[0:3], v17 offset:400
	ds_load_b128 v[13:16], v17
	s_waitcnt lgkmcnt(0)
	v_add_f64 v[0:1], v[0:1], v[13:14]
	v_add_f64 v[2:3], v[2:3], v[15:16]
.LBB536_37:
	s_or_b32 exec_lo, exec_lo, s0
	s_delay_alu instid0(VALU_DEP_1) | instskip(NEXT) | instid1(VALU_DEP_3)
	v_dual_mov_b32 v16, v3 :: v_dual_mov_b32 v15, v2
	v_dual_mov_b32 v14, v1 :: v_dual_mov_b32 v13, v0
.LBB536_38:
	v_cmp_gt_u32_e32 vcc_lo, 25, v4
	s_and_b32 exec_lo, exec_lo, vcc_lo
	s_cbranch_execz .LBB536_43
; %bb.39:
	s_delay_alu instid0(VALU_DEP_2) | instskip(SKIP_3) | instid1(VALU_DEP_4)
	v_mul_f64 v[0:1], v[15:16], -v[11:12]
	v_mul_f64 v[2:3], v[9:10], v[15:16]
	v_cmp_eq_f64_e32 vcc_lo, 0, v[5:6]
	v_cmp_eq_f64_e64 s0, 0, v[7:8]
	v_fma_f64 v[0:1], v[9:10], v[13:14], v[0:1]
	s_delay_alu instid0(VALU_DEP_4) | instskip(NEXT) | instid1(VALU_DEP_3)
	v_fma_f64 v[2:3], v[11:12], v[13:14], v[2:3]
	s_and_b32 s0, vcc_lo, s0
	s_delay_alu instid0(SALU_CYCLE_1) | instskip(NEXT) | instid1(SALU_CYCLE_1)
	s_and_saveexec_b32 s1, s0
	s_xor_b32 s0, exec_lo, s1
	s_cbranch_execz .LBB536_41
; %bb.40:
	v_mad_u64_u32 v[5:6], null, s12, 25, v[4:5]
	v_mov_b32_e32 v6, 0
                                        ; implicit-def: $vgpr7_vgpr8
	s_delay_alu instid0(VALU_DEP_1) | instskip(NEXT) | instid1(VALU_DEP_1)
	v_lshlrev_b64 v[4:5], 4, v[5:6]
	v_add_co_u32 v4, vcc_lo, s4, v4
	s_delay_alu instid0(VALU_DEP_2)
	v_add_co_ci_u32_e32 v5, vcc_lo, s5, v5, vcc_lo
	global_store_b128 v[4:5], v[0:3], off
                                        ; implicit-def: $vgpr4
                                        ; implicit-def: $vgpr5_vgpr6
                                        ; implicit-def: $vgpr0_vgpr1
.LBB536_41:
	s_and_not1_saveexec_b32 s0, s0
	s_cbranch_execz .LBB536_43
; %bb.42:
	v_mad_u64_u32 v[9:10], null, s12, 25, v[4:5]
	v_mov_b32_e32 v10, 0
	s_delay_alu instid0(VALU_DEP_1) | instskip(NEXT) | instid1(VALU_DEP_1)
	v_lshlrev_b64 v[9:10], 4, v[9:10]
	v_add_co_u32 v13, vcc_lo, s4, v9
	s_delay_alu instid0(VALU_DEP_2) | instskip(SKIP_4) | instid1(VALU_DEP_2)
	v_add_co_ci_u32_e32 v14, vcc_lo, s5, v10, vcc_lo
	global_load_b128 v[9:12], v[13:14], off
	s_waitcnt vmcnt(0)
	v_fma_f64 v[0:1], v[5:6], v[9:10], v[0:1]
	v_fma_f64 v[2:3], v[7:8], v[9:10], v[2:3]
	v_fma_f64 v[0:1], -v[7:8], v[11:12], v[0:1]
	s_delay_alu instid0(VALU_DEP_2)
	v_fma_f64 v[2:3], v[5:6], v[11:12], v[2:3]
	global_store_b128 v[13:14], v[0:3], off
.LBB536_43:
	s_nop 0
	s_sendmsg sendmsg(MSG_DEALLOC_VGPRS)
	s_endpgm
	.section	.rodata,"a",@progbits
	.p2align	6, 0x0
	.amdhsa_kernel _ZN9rocsparseL20bsrxmvn_17_32_kernelILj25E21rocsparse_complex_numIdEiiS1_IfES2_S2_EEvT2_20rocsparse_direction_NS_24const_host_device_scalarIT0_EES4_PKS4_PKT1_SD_SA_PKT3_PKT4_S8_PT5_21rocsparse_index_base_b
		.amdhsa_group_segment_fixed_size 20000
		.amdhsa_private_segment_fixed_size 0
		.amdhsa_kernarg_size 112
		.amdhsa_user_sgpr_count 15
		.amdhsa_user_sgpr_dispatch_ptr 1
		.amdhsa_user_sgpr_queue_ptr 0
		.amdhsa_user_sgpr_kernarg_segment_ptr 1
		.amdhsa_user_sgpr_dispatch_id 0
		.amdhsa_user_sgpr_private_segment_size 0
		.amdhsa_wavefront_size32 1
		.amdhsa_uses_dynamic_stack 0
		.amdhsa_enable_private_segment 0
		.amdhsa_system_sgpr_workgroup_id_x 1
		.amdhsa_system_sgpr_workgroup_id_y 0
		.amdhsa_system_sgpr_workgroup_id_z 0
		.amdhsa_system_sgpr_workgroup_info 0
		.amdhsa_system_vgpr_workitem_id 2
		.amdhsa_next_free_vgpr 26
		.amdhsa_next_free_sgpr 20
		.amdhsa_reserve_vcc 1
		.amdhsa_float_round_mode_32 0
		.amdhsa_float_round_mode_16_64 0
		.amdhsa_float_denorm_mode_32 3
		.amdhsa_float_denorm_mode_16_64 3
		.amdhsa_dx10_clamp 1
		.amdhsa_ieee_mode 1
		.amdhsa_fp16_overflow 0
		.amdhsa_workgroup_processor_mode 1
		.amdhsa_memory_ordered 1
		.amdhsa_forward_progress 0
		.amdhsa_shared_vgpr_count 0
		.amdhsa_exception_fp_ieee_invalid_op 0
		.amdhsa_exception_fp_denorm_src 0
		.amdhsa_exception_fp_ieee_div_zero 0
		.amdhsa_exception_fp_ieee_overflow 0
		.amdhsa_exception_fp_ieee_underflow 0
		.amdhsa_exception_fp_ieee_inexact 0
		.amdhsa_exception_int_div_zero 0
	.end_amdhsa_kernel
	.section	.text._ZN9rocsparseL20bsrxmvn_17_32_kernelILj25E21rocsparse_complex_numIdEiiS1_IfES2_S2_EEvT2_20rocsparse_direction_NS_24const_host_device_scalarIT0_EES4_PKS4_PKT1_SD_SA_PKT3_PKT4_S8_PT5_21rocsparse_index_base_b,"axG",@progbits,_ZN9rocsparseL20bsrxmvn_17_32_kernelILj25E21rocsparse_complex_numIdEiiS1_IfES2_S2_EEvT2_20rocsparse_direction_NS_24const_host_device_scalarIT0_EES4_PKS4_PKT1_SD_SA_PKT3_PKT4_S8_PT5_21rocsparse_index_base_b,comdat
.Lfunc_end536:
	.size	_ZN9rocsparseL20bsrxmvn_17_32_kernelILj25E21rocsparse_complex_numIdEiiS1_IfES2_S2_EEvT2_20rocsparse_direction_NS_24const_host_device_scalarIT0_EES4_PKS4_PKT1_SD_SA_PKT3_PKT4_S8_PT5_21rocsparse_index_base_b, .Lfunc_end536-_ZN9rocsparseL20bsrxmvn_17_32_kernelILj25E21rocsparse_complex_numIdEiiS1_IfES2_S2_EEvT2_20rocsparse_direction_NS_24const_host_device_scalarIT0_EES4_PKS4_PKT1_SD_SA_PKT3_PKT4_S8_PT5_21rocsparse_index_base_b
                                        ; -- End function
	.section	.AMDGPU.csdata,"",@progbits
; Kernel info:
; codeLenInByte = 2012
; NumSgprs: 22
; NumVgprs: 26
; ScratchSize: 0
; MemoryBound: 0
; FloatMode: 240
; IeeeMode: 1
; LDSByteSize: 20000 bytes/workgroup (compile time only)
; SGPRBlocks: 2
; VGPRBlocks: 3
; NumSGPRsForWavesPerEU: 22
; NumVGPRsForWavesPerEU: 26
; Occupancy: 15
; WaveLimiterHint : 1
; COMPUTE_PGM_RSRC2:SCRATCH_EN: 0
; COMPUTE_PGM_RSRC2:USER_SGPR: 15
; COMPUTE_PGM_RSRC2:TRAP_HANDLER: 0
; COMPUTE_PGM_RSRC2:TGID_X_EN: 1
; COMPUTE_PGM_RSRC2:TGID_Y_EN: 0
; COMPUTE_PGM_RSRC2:TGID_Z_EN: 0
; COMPUTE_PGM_RSRC2:TIDIG_COMP_CNT: 2
	.section	.text._ZN9rocsparseL20bsrxmvn_17_32_kernelILj26E21rocsparse_complex_numIdEiiS1_IfES2_S2_EEvT2_20rocsparse_direction_NS_24const_host_device_scalarIT0_EES4_PKS4_PKT1_SD_SA_PKT3_PKT4_S8_PT5_21rocsparse_index_base_b,"axG",@progbits,_ZN9rocsparseL20bsrxmvn_17_32_kernelILj26E21rocsparse_complex_numIdEiiS1_IfES2_S2_EEvT2_20rocsparse_direction_NS_24const_host_device_scalarIT0_EES4_PKS4_PKT1_SD_SA_PKT3_PKT4_S8_PT5_21rocsparse_index_base_b,comdat
	.globl	_ZN9rocsparseL20bsrxmvn_17_32_kernelILj26E21rocsparse_complex_numIdEiiS1_IfES2_S2_EEvT2_20rocsparse_direction_NS_24const_host_device_scalarIT0_EES4_PKS4_PKT1_SD_SA_PKT3_PKT4_S8_PT5_21rocsparse_index_base_b ; -- Begin function _ZN9rocsparseL20bsrxmvn_17_32_kernelILj26E21rocsparse_complex_numIdEiiS1_IfES2_S2_EEvT2_20rocsparse_direction_NS_24const_host_device_scalarIT0_EES4_PKS4_PKT1_SD_SA_PKT3_PKT4_S8_PT5_21rocsparse_index_base_b
	.p2align	8
	.type	_ZN9rocsparseL20bsrxmvn_17_32_kernelILj26E21rocsparse_complex_numIdEiiS1_IfES2_S2_EEvT2_20rocsparse_direction_NS_24const_host_device_scalarIT0_EES4_PKS4_PKT1_SD_SA_PKT3_PKT4_S8_PT5_21rocsparse_index_base_b,@function
_ZN9rocsparseL20bsrxmvn_17_32_kernelILj26E21rocsparse_complex_numIdEiiS1_IfES2_S2_EEvT2_20rocsparse_direction_NS_24const_host_device_scalarIT0_EES4_PKS4_PKT1_SD_SA_PKT3_PKT4_S8_PT5_21rocsparse_index_base_b: ; @_ZN9rocsparseL20bsrxmvn_17_32_kernelILj26E21rocsparse_complex_numIdEiiS1_IfES2_S2_EEvT2_20rocsparse_direction_NS_24const_host_device_scalarIT0_EES4_PKS4_PKT1_SD_SA_PKT3_PKT4_S8_PT5_21rocsparse_index_base_b
; %bb.0:
	s_mov_b32 s12, s15
	s_clause 0x1
	s_load_b64 s[14:15], s[2:3], 0x68
	s_load_b128 s[4:7], s[2:3], 0x8
	s_load_b64 s[16:17], s[0:1], 0x4
	s_mov_b64 s[0:1], src_shared_base
	v_and_b32_e32 v4, 0x3ff, v0
	s_load_b128 s[8:11], s[2:3], 0x50
	v_bfe_u32 v2, v0, 10, 10
	v_bfe_u32 v0, v0, 20, 10
	s_waitcnt lgkmcnt(0)
	s_bitcmp1_b32 s15, 0
	v_mov_b32_e32 v12, s7
	s_cselect_b32 s0, -1, 0
	v_mov_b32_e32 v11, s6
	s_and_b32 vcc_lo, s0, exec_lo
	s_cselect_b32 s13, s1, s5
	s_lshr_b32 s15, s16, 16
	v_mov_b32_e32 v6, s13
	s_mul_i32 s15, s15, s17
	s_xor_b32 s6, s0, -1
	v_mul_lo_u32 v1, s15, v4
	s_delay_alu instid0(VALU_DEP_1) | instskip(SKIP_1) | instid1(VALU_DEP_2)
	v_mad_u32_u24 v1, v2, s17, v1
	v_dual_mov_b32 v2, s8 :: v_dual_mov_b32 v3, s9
	v_add_lshl_u32 v7, v1, v0, 3
	v_dual_mov_b32 v0, s4 :: v_dual_mov_b32 v1, s5
	ds_store_b64 v7, v[0:1] offset:16224
	ds_store_b64 v7, v[2:3] offset:10816
	v_add_nc_u32_e32 v5, 0x3f60, v7
	v_add_nc_u32_e32 v0, 0x2a40, v7
	s_delay_alu instid0(VALU_DEP_2)
	v_cndmask_b32_e64 v5, s4, v5, s0
	flat_load_b64 v[9:10], v[5:6]
	s_cbranch_vccnz .LBB537_2
; %bb.1:
	v_dual_mov_b32 v1, s4 :: v_dual_mov_b32 v2, s5
	flat_load_b64 v[11:12], v[1:2] offset:8
.LBB537_2:
	s_and_b32 s4, s0, exec_lo
	s_cselect_b32 s1, s1, s9
	v_cndmask_b32_e64 v0, s8, v0, s0
	v_mov_b32_e32 v1, s1
	v_dual_mov_b32 v7, s10 :: v_dual_mov_b32 v8, s11
	s_and_not1_b32 vcc_lo, exec_lo, s6
	flat_load_b64 v[5:6], v[0:1]
	s_cbranch_vccnz .LBB537_4
; %bb.3:
	v_dual_mov_b32 v0, s8 :: v_dual_mov_b32 v1, s9
	flat_load_b64 v[7:8], v[0:1] offset:8
.LBB537_4:
	s_waitcnt vmcnt(1) lgkmcnt(1)
	v_cmp_eq_f64_e32 vcc_lo, 0, v[9:10]
	v_cmp_eq_f64_e64 s0, 0, v[11:12]
	s_delay_alu instid0(VALU_DEP_1)
	s_and_b32 s4, vcc_lo, s0
	s_mov_b32 s0, -1
	s_and_saveexec_b32 s1, s4
	s_cbranch_execz .LBB537_6
; %bb.5:
	s_waitcnt vmcnt(0) lgkmcnt(0)
	v_cmp_neq_f64_e32 vcc_lo, 1.0, v[5:6]
	v_cmp_neq_f64_e64 s0, 0, v[7:8]
	s_delay_alu instid0(VALU_DEP_1) | instskip(NEXT) | instid1(SALU_CYCLE_1)
	s_or_b32 s0, vcc_lo, s0
	s_or_not1_b32 s0, s0, exec_lo
.LBB537_6:
	s_or_b32 exec_lo, exec_lo, s1
	s_and_saveexec_b32 s1, s0
	s_cbranch_execz .LBB537_43
; %bb.7:
	s_clause 0x1
	s_load_b128 s[4:7], s[2:3], 0x20
	s_load_b64 s[0:1], s[2:3], 0x30
	s_waitcnt lgkmcnt(0)
	s_cmp_eq_u64 s[4:5], 0
	s_cbranch_scc1 .LBB537_9
; %bb.8:
	s_ashr_i32 s13, s12, 31
	s_delay_alu instid0(SALU_CYCLE_1) | instskip(NEXT) | instid1(SALU_CYCLE_1)
	s_lshl_b64 s[8:9], s[12:13], 2
	s_add_u32 s4, s4, s8
	s_addc_u32 s5, s5, s9
	s_load_b32 s4, s[4:5], 0x0
	s_waitcnt lgkmcnt(0)
	s_sub_i32 s12, s4, s14
.LBB537_9:
	s_load_b32 s4, s[2:3], 0x4
	v_mul_u32_u24_e32 v0, 0x9d9, v4
	v_mov_b32_e32 v2, 0
	v_mov_b32_e32 v3, 0
	s_delay_alu instid0(VALU_DEP_3) | instskip(NEXT) | instid1(VALU_DEP_1)
	v_lshrrev_b32_e32 v13, 16, v0
	v_mul_lo_u16 v0, v13, 26
	s_delay_alu instid0(VALU_DEP_1) | instskip(NEXT) | instid1(VALU_DEP_4)
	v_sub_nc_u16 v16, v4, v0
	v_dual_mov_b32 v0, v2 :: v_dual_mov_b32 v1, v3
	s_waitcnt lgkmcnt(0)
	s_cmp_eq_u32 s4, 1
	s_cselect_b32 vcc_lo, -1, 0
	s_cmp_lg_u32 s4, 1
	s_cselect_b32 s8, -1, 0
	s_ashr_i32 s13, s12, 31
	s_delay_alu instid0(SALU_CYCLE_1) | instskip(NEXT) | instid1(SALU_CYCLE_1)
	s_lshl_b64 s[4:5], s[12:13], 2
	s_add_u32 s6, s6, s4
	s_addc_u32 s7, s7, s5
	s_add_u32 s9, s6, 4
	s_addc_u32 s10, s7, 0
	;; [unrolled: 2-line block ×3, first 2 shown]
	s_cmp_eq_u64 s[0:1], 0
	s_cselect_b32 s1, s10, s5
	s_cselect_b32 s0, s9, s4
	s_load_b32 s6, s[6:7], 0x0
	s_load_b32 s7, s[0:1], 0x0
	s_load_b64 s[4:5], s[2:3], 0x60
	s_waitcnt lgkmcnt(0)
	s_cmp_ge_i32 s6, s7
	s_cbranch_scc1 .LBB537_14
; %bb.10:
	s_clause 0x1
	s_load_b128 s[16:19], s[2:3], 0x38
	s_load_b64 s[0:1], s[2:3], 0x48
	v_dual_mov_b32 v2, 0 :: v_dual_and_b32 v1, 0xffff, v13
	s_sub_i32 s2, s6, s14
	v_dual_mov_b32 v3, 0 :: v_dual_and_b32 v0, 0xffff, v16
	v_lshlrev_b32_e32 v14, 3, v4
	s_sub_i32 s9, s7, s14
	s_mul_i32 s7, s2, 0x1520
	s_delay_alu instid0(VALU_DEP_2)
	v_cndmask_b32_e32 v13, v0, v1, vcc_lo
	s_ashr_i32 s3, s2, 31
	s_mul_hi_i32 s6, s2, 0x1520
	v_dual_mov_b32 v0, v2 :: v_dual_mov_b32 v1, v3
	s_waitcnt lgkmcnt(0)
	s_add_u32 s10, s18, s7
	s_addc_u32 s11, s19, s6
	s_lshl_b64 s[6:7], s[2:3], 2
	v_add_co_u32 v14, s3, s10, v14
	s_delay_alu instid0(VALU_DEP_1)
	v_add_co_ci_u32_e64 v15, null, s11, 0, s3
	s_add_u32 s6, s16, s6
	s_addc_u32 s7, s17, s7
	s_set_inst_prefetch_distance 0x1
	s_branch .LBB537_12
	.p2align	6
.LBB537_11:                             ;   in Loop: Header=BB537_12 Depth=1
	s_add_i32 s2, s2, 1
	s_add_u32 s6, s6, 4
	s_addc_u32 s7, s7, 0
	s_cmp_lt_i32 s2, s9
	s_cbranch_scc0 .LBB537_14
.LBB537_12:                             ; =>This Inner Loop Header: Depth=1
	s_cmp_ge_i32 s2, s9
	s_cbranch_scc1 .LBB537_11
; %bb.13:                               ;   in Loop: Header=BB537_12 Depth=1
	s_load_b32 s3, s[6:7], 0x0
	global_load_b64 v[21:22], v[14:15], off
	s_waitcnt lgkmcnt(0)
	s_sub_i32 s3, s3, s14
	s_delay_alu instid0(SALU_CYCLE_1) | instskip(NEXT) | instid1(VALU_DEP_1)
	v_mad_u64_u32 v[17:18], null, s3, 26, v[13:14]
	v_ashrrev_i32_e32 v18, 31, v17
	s_delay_alu instid0(VALU_DEP_1) | instskip(NEXT) | instid1(VALU_DEP_1)
	v_lshlrev_b64 v[17:18], 4, v[17:18]
	v_add_co_u32 v17, vcc_lo, s0, v17
	s_delay_alu instid0(VALU_DEP_2)
	v_add_co_ci_u32_e32 v18, vcc_lo, s1, v18, vcc_lo
	v_add_co_u32 v14, vcc_lo, 0x1520, v14
	v_add_co_ci_u32_e32 v15, vcc_lo, 0, v15, vcc_lo
	global_load_b128 v[17:20], v[17:18], off
	s_waitcnt vmcnt(1)
	v_cvt_f64_f32_e32 v[23:24], v21
	v_cvt_f64_f32_e32 v[21:22], v22
	s_waitcnt vmcnt(0)
	s_delay_alu instid0(VALU_DEP_2) | instskip(NEXT) | instid1(VALU_DEP_2)
	v_fma_f64 v[0:1], v[23:24], v[17:18], v[0:1]
	v_fma_f64 v[2:3], v[21:22], v[17:18], v[2:3]
	s_delay_alu instid0(VALU_DEP_2) | instskip(NEXT) | instid1(VALU_DEP_2)
	v_fma_f64 v[0:1], -v[21:22], v[19:20], v[0:1]
	v_fma_f64 v[2:3], v[23:24], v[19:20], v[2:3]
	s_branch .LBB537_11
.LBB537_14:
	s_set_inst_prefetch_distance 0x2
	v_lshlrev_b32_e32 v17, 4, v4
	s_and_b32 vcc_lo, exec_lo, s8
	ds_store_b128 v17, v[0:3]
	s_waitcnt vmcnt(0) lgkmcnt(0)
	s_barrier
	buffer_gl0_inv
	s_cbranch_vccz .LBB537_26
; %bb.15:
	s_mov_b32 s0, exec_lo
	v_cmpx_gt_u16_e32 10, v16
	s_cbranch_execz .LBB537_17
; %bb.16:
	ds_load_b128 v[18:21], v17 offset:256
	ds_load_b128 v[22:25], v17
	s_waitcnt lgkmcnt(0)
	v_add_f64 v[18:19], v[18:19], v[22:23]
	v_add_f64 v[20:21], v[20:21], v[24:25]
	ds_store_b128 v17, v[18:21]
.LBB537_17:
	s_or_b32 exec_lo, exec_lo, s0
	s_delay_alu instid0(SALU_CYCLE_1)
	s_mov_b32 s0, exec_lo
	s_waitcnt lgkmcnt(0)
	s_barrier
	buffer_gl0_inv
	v_cmpx_gt_u16_e32 8, v16
	s_cbranch_execz .LBB537_19
; %bb.18:
	ds_load_b128 v[18:21], v17 offset:128
	ds_load_b128 v[22:25], v17
	s_waitcnt lgkmcnt(0)
	v_add_f64 v[18:19], v[18:19], v[22:23]
	v_add_f64 v[20:21], v[20:21], v[24:25]
	ds_store_b128 v17, v[18:21]
.LBB537_19:
	s_or_b32 exec_lo, exec_lo, s0
	s_delay_alu instid0(SALU_CYCLE_1)
	s_mov_b32 s0, exec_lo
	s_waitcnt lgkmcnt(0)
	s_barrier
	buffer_gl0_inv
	;; [unrolled: 16-line block ×3, first 2 shown]
	v_cmpx_gt_u16_e32 2, v16
	s_cbranch_execz .LBB537_23
; %bb.22:
	ds_load_b128 v[13:16], v17
	ds_load_b128 v[18:21], v17 offset:32
	s_waitcnt lgkmcnt(0)
	v_add_f64 v[13:14], v[18:19], v[13:14]
	v_add_f64 v[15:16], v[20:21], v[15:16]
	ds_store_b128 v17, v[13:16]
.LBB537_23:
	s_or_b32 exec_lo, exec_lo, s0
	v_dual_mov_b32 v16, v3 :: v_dual_mov_b32 v15, v2
	v_dual_mov_b32 v14, v1 :: v_dual_mov_b32 v13, v0
	s_mov_b32 s0, exec_lo
	s_waitcnt lgkmcnt(0)
	s_barrier
	buffer_gl0_inv
	v_cmpx_gt_u32_e32 26, v4
	s_cbranch_execz .LBB537_25
; %bb.24:
	v_mul_u32_u24_e32 v13, 26, v4
	s_delay_alu instid0(VALU_DEP_1)
	v_lshlrev_b32_e32 v18, 4, v13
	ds_load_b128 v[13:16], v18
	ds_load_b128 v[18:21], v18 offset:16
	s_waitcnt lgkmcnt(0)
	v_add_f64 v[13:14], v[18:19], v[13:14]
	v_add_f64 v[15:16], v[20:21], v[15:16]
.LBB537_25:
	s_or_b32 exec_lo, exec_lo, s0
	s_branch .LBB537_38
.LBB537_26:
                                        ; implicit-def: $vgpr15_vgpr16
                                        ; implicit-def: $vgpr13_vgpr14
	s_cbranch_execz .LBB537_38
; %bb.27:
	s_mov_b32 s0, exec_lo
	v_cmpx_gt_u32_e32 0x104, v4
	s_cbranch_execz .LBB537_29
; %bb.28:
	ds_load_b128 v[13:16], v17 offset:6656
	ds_load_b128 v[18:21], v17
	s_waitcnt lgkmcnt(0)
	v_add_f64 v[13:14], v[13:14], v[18:19]
	v_add_f64 v[15:16], v[15:16], v[20:21]
	ds_store_b128 v17, v[13:16]
.LBB537_29:
	s_or_b32 exec_lo, exec_lo, s0
	s_delay_alu instid0(SALU_CYCLE_1)
	s_mov_b32 s0, exec_lo
	s_waitcnt lgkmcnt(0)
	s_barrier
	buffer_gl0_inv
	v_cmpx_gt_u32_e32 0xd0, v4
	s_cbranch_execz .LBB537_31
; %bb.30:
	ds_load_b128 v[13:16], v17 offset:3328
	ds_load_b128 v[18:21], v17
	s_waitcnt lgkmcnt(0)
	v_add_f64 v[13:14], v[13:14], v[18:19]
	v_add_f64 v[15:16], v[15:16], v[20:21]
	ds_store_b128 v17, v[13:16]
.LBB537_31:
	s_or_b32 exec_lo, exec_lo, s0
	s_delay_alu instid0(SALU_CYCLE_1)
	s_mov_b32 s0, exec_lo
	s_waitcnt lgkmcnt(0)
	s_barrier
	buffer_gl0_inv
	;; [unrolled: 16-line block ×3, first 2 shown]
	v_cmpx_gt_u32_e32 52, v4
	s_cbranch_execz .LBB537_35
; %bb.34:
	ds_load_b128 v[13:16], v17 offset:832
	ds_load_b128 v[18:21], v17
	s_waitcnt lgkmcnt(0)
	v_add_f64 v[13:14], v[13:14], v[18:19]
	v_add_f64 v[15:16], v[15:16], v[20:21]
	ds_store_b128 v17, v[13:16]
.LBB537_35:
	s_or_b32 exec_lo, exec_lo, s0
	s_delay_alu instid0(SALU_CYCLE_1)
	s_mov_b32 s0, exec_lo
	s_waitcnt lgkmcnt(0)
	buffer_gl0_inv
	v_cmpx_gt_u32_e32 26, v4
	s_cbranch_execz .LBB537_37
; %bb.36:
	ds_load_b128 v[0:3], v17 offset:416
	ds_load_b128 v[13:16], v17
	s_waitcnt lgkmcnt(0)
	v_add_f64 v[0:1], v[0:1], v[13:14]
	v_add_f64 v[2:3], v[2:3], v[15:16]
.LBB537_37:
	s_or_b32 exec_lo, exec_lo, s0
	s_delay_alu instid0(VALU_DEP_1) | instskip(NEXT) | instid1(VALU_DEP_3)
	v_dual_mov_b32 v16, v3 :: v_dual_mov_b32 v15, v2
	v_dual_mov_b32 v14, v1 :: v_dual_mov_b32 v13, v0
.LBB537_38:
	v_cmp_gt_u32_e32 vcc_lo, 26, v4
	s_and_b32 exec_lo, exec_lo, vcc_lo
	s_cbranch_execz .LBB537_43
; %bb.39:
	s_delay_alu instid0(VALU_DEP_2) | instskip(SKIP_3) | instid1(VALU_DEP_4)
	v_mul_f64 v[0:1], v[15:16], -v[11:12]
	v_mul_f64 v[2:3], v[9:10], v[15:16]
	v_cmp_eq_f64_e32 vcc_lo, 0, v[5:6]
	v_cmp_eq_f64_e64 s0, 0, v[7:8]
	v_fma_f64 v[0:1], v[9:10], v[13:14], v[0:1]
	s_delay_alu instid0(VALU_DEP_4) | instskip(NEXT) | instid1(VALU_DEP_3)
	v_fma_f64 v[2:3], v[11:12], v[13:14], v[2:3]
	s_and_b32 s0, vcc_lo, s0
	s_delay_alu instid0(SALU_CYCLE_1) | instskip(NEXT) | instid1(SALU_CYCLE_1)
	s_and_saveexec_b32 s1, s0
	s_xor_b32 s0, exec_lo, s1
	s_cbranch_execz .LBB537_41
; %bb.40:
	v_mad_u64_u32 v[5:6], null, s12, 26, v[4:5]
	v_mov_b32_e32 v6, 0
                                        ; implicit-def: $vgpr7_vgpr8
	s_delay_alu instid0(VALU_DEP_1) | instskip(NEXT) | instid1(VALU_DEP_1)
	v_lshlrev_b64 v[4:5], 4, v[5:6]
	v_add_co_u32 v4, vcc_lo, s4, v4
	s_delay_alu instid0(VALU_DEP_2)
	v_add_co_ci_u32_e32 v5, vcc_lo, s5, v5, vcc_lo
	global_store_b128 v[4:5], v[0:3], off
                                        ; implicit-def: $vgpr4
                                        ; implicit-def: $vgpr5_vgpr6
                                        ; implicit-def: $vgpr0_vgpr1
.LBB537_41:
	s_and_not1_saveexec_b32 s0, s0
	s_cbranch_execz .LBB537_43
; %bb.42:
	v_mad_u64_u32 v[9:10], null, s12, 26, v[4:5]
	v_mov_b32_e32 v10, 0
	s_delay_alu instid0(VALU_DEP_1) | instskip(NEXT) | instid1(VALU_DEP_1)
	v_lshlrev_b64 v[9:10], 4, v[9:10]
	v_add_co_u32 v13, vcc_lo, s4, v9
	s_delay_alu instid0(VALU_DEP_2) | instskip(SKIP_4) | instid1(VALU_DEP_2)
	v_add_co_ci_u32_e32 v14, vcc_lo, s5, v10, vcc_lo
	global_load_b128 v[9:12], v[13:14], off
	s_waitcnt vmcnt(0)
	v_fma_f64 v[0:1], v[5:6], v[9:10], v[0:1]
	v_fma_f64 v[2:3], v[7:8], v[9:10], v[2:3]
	v_fma_f64 v[0:1], -v[7:8], v[11:12], v[0:1]
	s_delay_alu instid0(VALU_DEP_2)
	v_fma_f64 v[2:3], v[5:6], v[11:12], v[2:3]
	global_store_b128 v[13:14], v[0:3], off
.LBB537_43:
	s_nop 0
	s_sendmsg sendmsg(MSG_DEALLOC_VGPRS)
	s_endpgm
	.section	.rodata,"a",@progbits
	.p2align	6, 0x0
	.amdhsa_kernel _ZN9rocsparseL20bsrxmvn_17_32_kernelILj26E21rocsparse_complex_numIdEiiS1_IfES2_S2_EEvT2_20rocsparse_direction_NS_24const_host_device_scalarIT0_EES4_PKS4_PKT1_SD_SA_PKT3_PKT4_S8_PT5_21rocsparse_index_base_b
		.amdhsa_group_segment_fixed_size 21632
		.amdhsa_private_segment_fixed_size 0
		.amdhsa_kernarg_size 112
		.amdhsa_user_sgpr_count 15
		.amdhsa_user_sgpr_dispatch_ptr 1
		.amdhsa_user_sgpr_queue_ptr 0
		.amdhsa_user_sgpr_kernarg_segment_ptr 1
		.amdhsa_user_sgpr_dispatch_id 0
		.amdhsa_user_sgpr_private_segment_size 0
		.amdhsa_wavefront_size32 1
		.amdhsa_uses_dynamic_stack 0
		.amdhsa_enable_private_segment 0
		.amdhsa_system_sgpr_workgroup_id_x 1
		.amdhsa_system_sgpr_workgroup_id_y 0
		.amdhsa_system_sgpr_workgroup_id_z 0
		.amdhsa_system_sgpr_workgroup_info 0
		.amdhsa_system_vgpr_workitem_id 2
		.amdhsa_next_free_vgpr 26
		.amdhsa_next_free_sgpr 20
		.amdhsa_reserve_vcc 1
		.amdhsa_float_round_mode_32 0
		.amdhsa_float_round_mode_16_64 0
		.amdhsa_float_denorm_mode_32 3
		.amdhsa_float_denorm_mode_16_64 3
		.amdhsa_dx10_clamp 1
		.amdhsa_ieee_mode 1
		.amdhsa_fp16_overflow 0
		.amdhsa_workgroup_processor_mode 1
		.amdhsa_memory_ordered 1
		.amdhsa_forward_progress 0
		.amdhsa_shared_vgpr_count 0
		.amdhsa_exception_fp_ieee_invalid_op 0
		.amdhsa_exception_fp_denorm_src 0
		.amdhsa_exception_fp_ieee_div_zero 0
		.amdhsa_exception_fp_ieee_overflow 0
		.amdhsa_exception_fp_ieee_underflow 0
		.amdhsa_exception_fp_ieee_inexact 0
		.amdhsa_exception_int_div_zero 0
	.end_amdhsa_kernel
	.section	.text._ZN9rocsparseL20bsrxmvn_17_32_kernelILj26E21rocsparse_complex_numIdEiiS1_IfES2_S2_EEvT2_20rocsparse_direction_NS_24const_host_device_scalarIT0_EES4_PKS4_PKT1_SD_SA_PKT3_PKT4_S8_PT5_21rocsparse_index_base_b,"axG",@progbits,_ZN9rocsparseL20bsrxmvn_17_32_kernelILj26E21rocsparse_complex_numIdEiiS1_IfES2_S2_EEvT2_20rocsparse_direction_NS_24const_host_device_scalarIT0_EES4_PKS4_PKT1_SD_SA_PKT3_PKT4_S8_PT5_21rocsparse_index_base_b,comdat
.Lfunc_end537:
	.size	_ZN9rocsparseL20bsrxmvn_17_32_kernelILj26E21rocsparse_complex_numIdEiiS1_IfES2_S2_EEvT2_20rocsparse_direction_NS_24const_host_device_scalarIT0_EES4_PKS4_PKT1_SD_SA_PKT3_PKT4_S8_PT5_21rocsparse_index_base_b, .Lfunc_end537-_ZN9rocsparseL20bsrxmvn_17_32_kernelILj26E21rocsparse_complex_numIdEiiS1_IfES2_S2_EEvT2_20rocsparse_direction_NS_24const_host_device_scalarIT0_EES4_PKS4_PKT1_SD_SA_PKT3_PKT4_S8_PT5_21rocsparse_index_base_b
                                        ; -- End function
	.section	.AMDGPU.csdata,"",@progbits
; Kernel info:
; codeLenInByte = 2012
; NumSgprs: 22
; NumVgprs: 26
; ScratchSize: 0
; MemoryBound: 0
; FloatMode: 240
; IeeeMode: 1
; LDSByteSize: 21632 bytes/workgroup (compile time only)
; SGPRBlocks: 2
; VGPRBlocks: 3
; NumSGPRsForWavesPerEU: 22
; NumVGPRsForWavesPerEU: 26
; Occupancy: 11
; WaveLimiterHint : 1
; COMPUTE_PGM_RSRC2:SCRATCH_EN: 0
; COMPUTE_PGM_RSRC2:USER_SGPR: 15
; COMPUTE_PGM_RSRC2:TRAP_HANDLER: 0
; COMPUTE_PGM_RSRC2:TGID_X_EN: 1
; COMPUTE_PGM_RSRC2:TGID_Y_EN: 0
; COMPUTE_PGM_RSRC2:TGID_Z_EN: 0
; COMPUTE_PGM_RSRC2:TIDIG_COMP_CNT: 2
	.section	.text._ZN9rocsparseL20bsrxmvn_17_32_kernelILj27E21rocsparse_complex_numIdEiiS1_IfES2_S2_EEvT2_20rocsparse_direction_NS_24const_host_device_scalarIT0_EES4_PKS4_PKT1_SD_SA_PKT3_PKT4_S8_PT5_21rocsparse_index_base_b,"axG",@progbits,_ZN9rocsparseL20bsrxmvn_17_32_kernelILj27E21rocsparse_complex_numIdEiiS1_IfES2_S2_EEvT2_20rocsparse_direction_NS_24const_host_device_scalarIT0_EES4_PKS4_PKT1_SD_SA_PKT3_PKT4_S8_PT5_21rocsparse_index_base_b,comdat
	.globl	_ZN9rocsparseL20bsrxmvn_17_32_kernelILj27E21rocsparse_complex_numIdEiiS1_IfES2_S2_EEvT2_20rocsparse_direction_NS_24const_host_device_scalarIT0_EES4_PKS4_PKT1_SD_SA_PKT3_PKT4_S8_PT5_21rocsparse_index_base_b ; -- Begin function _ZN9rocsparseL20bsrxmvn_17_32_kernelILj27E21rocsparse_complex_numIdEiiS1_IfES2_S2_EEvT2_20rocsparse_direction_NS_24const_host_device_scalarIT0_EES4_PKS4_PKT1_SD_SA_PKT3_PKT4_S8_PT5_21rocsparse_index_base_b
	.p2align	8
	.type	_ZN9rocsparseL20bsrxmvn_17_32_kernelILj27E21rocsparse_complex_numIdEiiS1_IfES2_S2_EEvT2_20rocsparse_direction_NS_24const_host_device_scalarIT0_EES4_PKS4_PKT1_SD_SA_PKT3_PKT4_S8_PT5_21rocsparse_index_base_b,@function
_ZN9rocsparseL20bsrxmvn_17_32_kernelILj27E21rocsparse_complex_numIdEiiS1_IfES2_S2_EEvT2_20rocsparse_direction_NS_24const_host_device_scalarIT0_EES4_PKS4_PKT1_SD_SA_PKT3_PKT4_S8_PT5_21rocsparse_index_base_b: ; @_ZN9rocsparseL20bsrxmvn_17_32_kernelILj27E21rocsparse_complex_numIdEiiS1_IfES2_S2_EEvT2_20rocsparse_direction_NS_24const_host_device_scalarIT0_EES4_PKS4_PKT1_SD_SA_PKT3_PKT4_S8_PT5_21rocsparse_index_base_b
; %bb.0:
	s_mov_b32 s12, s15
	s_clause 0x1
	s_load_b64 s[14:15], s[2:3], 0x68
	s_load_b128 s[4:7], s[2:3], 0x8
	s_load_b64 s[16:17], s[0:1], 0x4
	s_mov_b64 s[0:1], src_shared_base
	v_and_b32_e32 v4, 0x3ff, v0
	s_load_b128 s[8:11], s[2:3], 0x50
	v_bfe_u32 v2, v0, 10, 10
	v_bfe_u32 v0, v0, 20, 10
	s_waitcnt lgkmcnt(0)
	s_bitcmp1_b32 s15, 0
	v_mov_b32_e32 v12, s7
	s_cselect_b32 s0, -1, 0
	v_mov_b32_e32 v11, s6
	s_and_b32 vcc_lo, s0, exec_lo
	s_cselect_b32 s13, s1, s5
	s_lshr_b32 s15, s16, 16
	v_mov_b32_e32 v6, s13
	s_mul_i32 s15, s15, s17
	s_xor_b32 s6, s0, -1
	v_mul_lo_u32 v1, s15, v4
	s_delay_alu instid0(VALU_DEP_1) | instskip(SKIP_1) | instid1(VALU_DEP_2)
	v_mad_u32_u24 v1, v2, s17, v1
	v_dual_mov_b32 v2, s8 :: v_dual_mov_b32 v3, s9
	v_add_lshl_u32 v7, v1, v0, 3
	v_dual_mov_b32 v0, s4 :: v_dual_mov_b32 v1, s5
	ds_store_b64 v7, v[0:1] offset:17496
	ds_store_b64 v7, v[2:3] offset:11664
	v_add_nc_u32_e32 v5, 0x4458, v7
	v_add_nc_u32_e32 v0, 0x2d90, v7
	s_delay_alu instid0(VALU_DEP_2)
	v_cndmask_b32_e64 v5, s4, v5, s0
	flat_load_b64 v[9:10], v[5:6]
	s_cbranch_vccnz .LBB538_2
; %bb.1:
	v_dual_mov_b32 v1, s4 :: v_dual_mov_b32 v2, s5
	flat_load_b64 v[11:12], v[1:2] offset:8
.LBB538_2:
	s_and_b32 s4, s0, exec_lo
	s_cselect_b32 s1, s1, s9
	v_cndmask_b32_e64 v0, s8, v0, s0
	v_mov_b32_e32 v1, s1
	v_dual_mov_b32 v7, s10 :: v_dual_mov_b32 v8, s11
	s_and_not1_b32 vcc_lo, exec_lo, s6
	flat_load_b64 v[5:6], v[0:1]
	s_cbranch_vccnz .LBB538_4
; %bb.3:
	v_dual_mov_b32 v0, s8 :: v_dual_mov_b32 v1, s9
	flat_load_b64 v[7:8], v[0:1] offset:8
.LBB538_4:
	s_waitcnt vmcnt(1) lgkmcnt(1)
	v_cmp_eq_f64_e32 vcc_lo, 0, v[9:10]
	v_cmp_eq_f64_e64 s0, 0, v[11:12]
	s_delay_alu instid0(VALU_DEP_1)
	s_and_b32 s4, vcc_lo, s0
	s_mov_b32 s0, -1
	s_and_saveexec_b32 s1, s4
	s_cbranch_execz .LBB538_6
; %bb.5:
	s_waitcnt vmcnt(0) lgkmcnt(0)
	v_cmp_neq_f64_e32 vcc_lo, 1.0, v[5:6]
	v_cmp_neq_f64_e64 s0, 0, v[7:8]
	s_delay_alu instid0(VALU_DEP_1) | instskip(NEXT) | instid1(SALU_CYCLE_1)
	s_or_b32 s0, vcc_lo, s0
	s_or_not1_b32 s0, s0, exec_lo
.LBB538_6:
	s_or_b32 exec_lo, exec_lo, s1
	s_and_saveexec_b32 s1, s0
	s_cbranch_execz .LBB538_43
; %bb.7:
	s_clause 0x1
	s_load_b128 s[4:7], s[2:3], 0x20
	s_load_b64 s[0:1], s[2:3], 0x30
	s_waitcnt lgkmcnt(0)
	s_cmp_eq_u64 s[4:5], 0
	s_cbranch_scc1 .LBB538_9
; %bb.8:
	s_ashr_i32 s13, s12, 31
	s_delay_alu instid0(SALU_CYCLE_1) | instskip(NEXT) | instid1(SALU_CYCLE_1)
	s_lshl_b64 s[8:9], s[12:13], 2
	s_add_u32 s4, s4, s8
	s_addc_u32 s5, s5, s9
	s_load_b32 s4, s[4:5], 0x0
	s_waitcnt lgkmcnt(0)
	s_sub_i32 s12, s4, s14
.LBB538_9:
	s_load_b32 s4, s[2:3], 0x4
	v_mul_u32_u24_e32 v0, 0x97c, v4
	v_mov_b32_e32 v2, 0
	v_mov_b32_e32 v3, 0
	s_delay_alu instid0(VALU_DEP_3) | instskip(NEXT) | instid1(VALU_DEP_1)
	v_lshrrev_b32_e32 v13, 16, v0
	v_mul_lo_u16 v0, v13, 27
	s_delay_alu instid0(VALU_DEP_1) | instskip(NEXT) | instid1(VALU_DEP_4)
	v_sub_nc_u16 v16, v4, v0
	v_dual_mov_b32 v0, v2 :: v_dual_mov_b32 v1, v3
	s_waitcnt lgkmcnt(0)
	s_cmp_eq_u32 s4, 1
	s_cselect_b32 vcc_lo, -1, 0
	s_cmp_lg_u32 s4, 1
	s_cselect_b32 s8, -1, 0
	s_ashr_i32 s13, s12, 31
	s_delay_alu instid0(SALU_CYCLE_1) | instskip(NEXT) | instid1(SALU_CYCLE_1)
	s_lshl_b64 s[4:5], s[12:13], 2
	s_add_u32 s6, s6, s4
	s_addc_u32 s7, s7, s5
	s_add_u32 s9, s6, 4
	s_addc_u32 s10, s7, 0
	s_add_u32 s4, s0, s4
	s_addc_u32 s5, s1, s5
	s_cmp_eq_u64 s[0:1], 0
	s_cselect_b32 s1, s10, s5
	s_cselect_b32 s0, s9, s4
	s_load_b32 s6, s[6:7], 0x0
	s_load_b32 s7, s[0:1], 0x0
	s_load_b64 s[4:5], s[2:3], 0x60
	s_waitcnt lgkmcnt(0)
	s_cmp_ge_i32 s6, s7
	s_cbranch_scc1 .LBB538_14
; %bb.10:
	s_clause 0x1
	s_load_b128 s[16:19], s[2:3], 0x38
	s_load_b64 s[0:1], s[2:3], 0x48
	v_dual_mov_b32 v2, 0 :: v_dual_and_b32 v1, 0xffff, v13
	s_sub_i32 s2, s6, s14
	v_dual_mov_b32 v3, 0 :: v_dual_and_b32 v0, 0xffff, v16
	v_lshlrev_b32_e32 v14, 3, v4
	s_sub_i32 s9, s7, s14
	s_mul_i32 s7, s2, 0x16c8
	s_delay_alu instid0(VALU_DEP_2)
	v_cndmask_b32_e32 v13, v0, v1, vcc_lo
	s_ashr_i32 s3, s2, 31
	s_mul_hi_i32 s6, s2, 0x16c8
	v_dual_mov_b32 v0, v2 :: v_dual_mov_b32 v1, v3
	s_waitcnt lgkmcnt(0)
	s_add_u32 s10, s18, s7
	s_addc_u32 s11, s19, s6
	s_lshl_b64 s[6:7], s[2:3], 2
	v_add_co_u32 v14, s3, s10, v14
	s_delay_alu instid0(VALU_DEP_1)
	v_add_co_ci_u32_e64 v15, null, s11, 0, s3
	s_add_u32 s6, s16, s6
	s_addc_u32 s7, s17, s7
	s_set_inst_prefetch_distance 0x1
	s_branch .LBB538_12
	.p2align	6
.LBB538_11:                             ;   in Loop: Header=BB538_12 Depth=1
	s_add_i32 s2, s2, 1
	s_add_u32 s6, s6, 4
	s_addc_u32 s7, s7, 0
	s_cmp_lt_i32 s2, s9
	s_cbranch_scc0 .LBB538_14
.LBB538_12:                             ; =>This Inner Loop Header: Depth=1
	s_cmp_ge_i32 s2, s9
	s_cbranch_scc1 .LBB538_11
; %bb.13:                               ;   in Loop: Header=BB538_12 Depth=1
	s_load_b32 s3, s[6:7], 0x0
	global_load_b64 v[21:22], v[14:15], off
	s_waitcnt lgkmcnt(0)
	s_sub_i32 s3, s3, s14
	s_delay_alu instid0(SALU_CYCLE_1) | instskip(NEXT) | instid1(VALU_DEP_1)
	v_mad_u64_u32 v[17:18], null, s3, 27, v[13:14]
	v_ashrrev_i32_e32 v18, 31, v17
	s_delay_alu instid0(VALU_DEP_1) | instskip(NEXT) | instid1(VALU_DEP_1)
	v_lshlrev_b64 v[17:18], 4, v[17:18]
	v_add_co_u32 v17, vcc_lo, s0, v17
	s_delay_alu instid0(VALU_DEP_2)
	v_add_co_ci_u32_e32 v18, vcc_lo, s1, v18, vcc_lo
	v_add_co_u32 v14, vcc_lo, 0x16c8, v14
	v_add_co_ci_u32_e32 v15, vcc_lo, 0, v15, vcc_lo
	global_load_b128 v[17:20], v[17:18], off
	s_waitcnt vmcnt(1)
	v_cvt_f64_f32_e32 v[23:24], v21
	v_cvt_f64_f32_e32 v[21:22], v22
	s_waitcnt vmcnt(0)
	s_delay_alu instid0(VALU_DEP_2) | instskip(NEXT) | instid1(VALU_DEP_2)
	v_fma_f64 v[0:1], v[23:24], v[17:18], v[0:1]
	v_fma_f64 v[2:3], v[21:22], v[17:18], v[2:3]
	s_delay_alu instid0(VALU_DEP_2) | instskip(NEXT) | instid1(VALU_DEP_2)
	v_fma_f64 v[0:1], -v[21:22], v[19:20], v[0:1]
	v_fma_f64 v[2:3], v[23:24], v[19:20], v[2:3]
	s_branch .LBB538_11
.LBB538_14:
	s_set_inst_prefetch_distance 0x2
	v_lshlrev_b32_e32 v17, 4, v4
	s_and_b32 vcc_lo, exec_lo, s8
	ds_store_b128 v17, v[0:3]
	s_waitcnt vmcnt(0) lgkmcnt(0)
	s_barrier
	buffer_gl0_inv
	s_cbranch_vccz .LBB538_26
; %bb.15:
	s_mov_b32 s0, exec_lo
	v_cmpx_gt_u16_e32 11, v16
	s_cbranch_execz .LBB538_17
; %bb.16:
	ds_load_b128 v[18:21], v17 offset:256
	ds_load_b128 v[22:25], v17
	s_waitcnt lgkmcnt(0)
	v_add_f64 v[18:19], v[18:19], v[22:23]
	v_add_f64 v[20:21], v[20:21], v[24:25]
	ds_store_b128 v17, v[18:21]
.LBB538_17:
	s_or_b32 exec_lo, exec_lo, s0
	s_delay_alu instid0(SALU_CYCLE_1)
	s_mov_b32 s0, exec_lo
	s_waitcnt lgkmcnt(0)
	s_barrier
	buffer_gl0_inv
	v_cmpx_gt_u16_e32 8, v16
	s_cbranch_execz .LBB538_19
; %bb.18:
	ds_load_b128 v[18:21], v17 offset:128
	ds_load_b128 v[22:25], v17
	s_waitcnt lgkmcnt(0)
	v_add_f64 v[18:19], v[18:19], v[22:23]
	v_add_f64 v[20:21], v[20:21], v[24:25]
	ds_store_b128 v17, v[18:21]
.LBB538_19:
	s_or_b32 exec_lo, exec_lo, s0
	s_delay_alu instid0(SALU_CYCLE_1)
	s_mov_b32 s0, exec_lo
	s_waitcnt lgkmcnt(0)
	s_barrier
	buffer_gl0_inv
	;; [unrolled: 16-line block ×3, first 2 shown]
	v_cmpx_gt_u16_e32 2, v16
	s_cbranch_execz .LBB538_23
; %bb.22:
	ds_load_b128 v[13:16], v17
	ds_load_b128 v[18:21], v17 offset:32
	s_waitcnt lgkmcnt(0)
	v_add_f64 v[13:14], v[18:19], v[13:14]
	v_add_f64 v[15:16], v[20:21], v[15:16]
	ds_store_b128 v17, v[13:16]
.LBB538_23:
	s_or_b32 exec_lo, exec_lo, s0
	v_dual_mov_b32 v16, v3 :: v_dual_mov_b32 v15, v2
	v_dual_mov_b32 v14, v1 :: v_dual_mov_b32 v13, v0
	s_mov_b32 s0, exec_lo
	s_waitcnt lgkmcnt(0)
	s_barrier
	buffer_gl0_inv
	v_cmpx_gt_u32_e32 27, v4
	s_cbranch_execz .LBB538_25
; %bb.24:
	v_mul_u32_u24_e32 v13, 27, v4
	s_delay_alu instid0(VALU_DEP_1)
	v_lshlrev_b32_e32 v18, 4, v13
	ds_load_b128 v[13:16], v18
	ds_load_b128 v[18:21], v18 offset:16
	s_waitcnt lgkmcnt(0)
	v_add_f64 v[13:14], v[18:19], v[13:14]
	v_add_f64 v[15:16], v[20:21], v[15:16]
.LBB538_25:
	s_or_b32 exec_lo, exec_lo, s0
	s_branch .LBB538_38
.LBB538_26:
                                        ; implicit-def: $vgpr15_vgpr16
                                        ; implicit-def: $vgpr13_vgpr14
	s_cbranch_execz .LBB538_38
; %bb.27:
	s_mov_b32 s0, exec_lo
	v_cmpx_gt_u32_e32 0x129, v4
	s_cbranch_execz .LBB538_29
; %bb.28:
	ds_load_b128 v[13:16], v17 offset:6912
	ds_load_b128 v[18:21], v17
	s_waitcnt lgkmcnt(0)
	v_add_f64 v[13:14], v[13:14], v[18:19]
	v_add_f64 v[15:16], v[15:16], v[20:21]
	ds_store_b128 v17, v[13:16]
.LBB538_29:
	s_or_b32 exec_lo, exec_lo, s0
	s_delay_alu instid0(SALU_CYCLE_1)
	s_mov_b32 s0, exec_lo
	s_waitcnt lgkmcnt(0)
	s_barrier
	buffer_gl0_inv
	v_cmpx_gt_u32_e32 0xd8, v4
	s_cbranch_execz .LBB538_31
; %bb.30:
	ds_load_b128 v[13:16], v17 offset:3456
	ds_load_b128 v[18:21], v17
	s_waitcnt lgkmcnt(0)
	v_add_f64 v[13:14], v[13:14], v[18:19]
	v_add_f64 v[15:16], v[15:16], v[20:21]
	ds_store_b128 v17, v[13:16]
.LBB538_31:
	s_or_b32 exec_lo, exec_lo, s0
	s_delay_alu instid0(SALU_CYCLE_1)
	s_mov_b32 s0, exec_lo
	s_waitcnt lgkmcnt(0)
	s_barrier
	buffer_gl0_inv
	;; [unrolled: 16-line block ×3, first 2 shown]
	v_cmpx_gt_u32_e32 54, v4
	s_cbranch_execz .LBB538_35
; %bb.34:
	ds_load_b128 v[13:16], v17 offset:864
	ds_load_b128 v[18:21], v17
	s_waitcnt lgkmcnt(0)
	v_add_f64 v[13:14], v[13:14], v[18:19]
	v_add_f64 v[15:16], v[15:16], v[20:21]
	ds_store_b128 v17, v[13:16]
.LBB538_35:
	s_or_b32 exec_lo, exec_lo, s0
	s_delay_alu instid0(SALU_CYCLE_1)
	s_mov_b32 s0, exec_lo
	s_waitcnt lgkmcnt(0)
	buffer_gl0_inv
	v_cmpx_gt_u32_e32 27, v4
	s_cbranch_execz .LBB538_37
; %bb.36:
	ds_load_b128 v[0:3], v17 offset:432
	ds_load_b128 v[13:16], v17
	s_waitcnt lgkmcnt(0)
	v_add_f64 v[0:1], v[0:1], v[13:14]
	v_add_f64 v[2:3], v[2:3], v[15:16]
.LBB538_37:
	s_or_b32 exec_lo, exec_lo, s0
	s_delay_alu instid0(VALU_DEP_1) | instskip(NEXT) | instid1(VALU_DEP_3)
	v_dual_mov_b32 v16, v3 :: v_dual_mov_b32 v15, v2
	v_dual_mov_b32 v14, v1 :: v_dual_mov_b32 v13, v0
.LBB538_38:
	v_cmp_gt_u32_e32 vcc_lo, 27, v4
	s_and_b32 exec_lo, exec_lo, vcc_lo
	s_cbranch_execz .LBB538_43
; %bb.39:
	s_delay_alu instid0(VALU_DEP_2) | instskip(SKIP_3) | instid1(VALU_DEP_4)
	v_mul_f64 v[0:1], v[15:16], -v[11:12]
	v_mul_f64 v[2:3], v[9:10], v[15:16]
	v_cmp_eq_f64_e32 vcc_lo, 0, v[5:6]
	v_cmp_eq_f64_e64 s0, 0, v[7:8]
	v_fma_f64 v[0:1], v[9:10], v[13:14], v[0:1]
	s_delay_alu instid0(VALU_DEP_4) | instskip(NEXT) | instid1(VALU_DEP_3)
	v_fma_f64 v[2:3], v[11:12], v[13:14], v[2:3]
	s_and_b32 s0, vcc_lo, s0
	s_delay_alu instid0(SALU_CYCLE_1) | instskip(NEXT) | instid1(SALU_CYCLE_1)
	s_and_saveexec_b32 s1, s0
	s_xor_b32 s0, exec_lo, s1
	s_cbranch_execz .LBB538_41
; %bb.40:
	v_mad_u64_u32 v[5:6], null, s12, 27, v[4:5]
	v_mov_b32_e32 v6, 0
                                        ; implicit-def: $vgpr7_vgpr8
	s_delay_alu instid0(VALU_DEP_1) | instskip(NEXT) | instid1(VALU_DEP_1)
	v_lshlrev_b64 v[4:5], 4, v[5:6]
	v_add_co_u32 v4, vcc_lo, s4, v4
	s_delay_alu instid0(VALU_DEP_2)
	v_add_co_ci_u32_e32 v5, vcc_lo, s5, v5, vcc_lo
	global_store_b128 v[4:5], v[0:3], off
                                        ; implicit-def: $vgpr4
                                        ; implicit-def: $vgpr5_vgpr6
                                        ; implicit-def: $vgpr0_vgpr1
.LBB538_41:
	s_and_not1_saveexec_b32 s0, s0
	s_cbranch_execz .LBB538_43
; %bb.42:
	v_mad_u64_u32 v[9:10], null, s12, 27, v[4:5]
	v_mov_b32_e32 v10, 0
	s_delay_alu instid0(VALU_DEP_1) | instskip(NEXT) | instid1(VALU_DEP_1)
	v_lshlrev_b64 v[9:10], 4, v[9:10]
	v_add_co_u32 v13, vcc_lo, s4, v9
	s_delay_alu instid0(VALU_DEP_2) | instskip(SKIP_4) | instid1(VALU_DEP_2)
	v_add_co_ci_u32_e32 v14, vcc_lo, s5, v10, vcc_lo
	global_load_b128 v[9:12], v[13:14], off
	s_waitcnt vmcnt(0)
	v_fma_f64 v[0:1], v[5:6], v[9:10], v[0:1]
	v_fma_f64 v[2:3], v[7:8], v[9:10], v[2:3]
	v_fma_f64 v[0:1], -v[7:8], v[11:12], v[0:1]
	s_delay_alu instid0(VALU_DEP_2)
	v_fma_f64 v[2:3], v[5:6], v[11:12], v[2:3]
	global_store_b128 v[13:14], v[0:3], off
.LBB538_43:
	s_nop 0
	s_sendmsg sendmsg(MSG_DEALLOC_VGPRS)
	s_endpgm
	.section	.rodata,"a",@progbits
	.p2align	6, 0x0
	.amdhsa_kernel _ZN9rocsparseL20bsrxmvn_17_32_kernelILj27E21rocsparse_complex_numIdEiiS1_IfES2_S2_EEvT2_20rocsparse_direction_NS_24const_host_device_scalarIT0_EES4_PKS4_PKT1_SD_SA_PKT3_PKT4_S8_PT5_21rocsparse_index_base_b
		.amdhsa_group_segment_fixed_size 23328
		.amdhsa_private_segment_fixed_size 0
		.amdhsa_kernarg_size 112
		.amdhsa_user_sgpr_count 15
		.amdhsa_user_sgpr_dispatch_ptr 1
		.amdhsa_user_sgpr_queue_ptr 0
		.amdhsa_user_sgpr_kernarg_segment_ptr 1
		.amdhsa_user_sgpr_dispatch_id 0
		.amdhsa_user_sgpr_private_segment_size 0
		.amdhsa_wavefront_size32 1
		.amdhsa_uses_dynamic_stack 0
		.amdhsa_enable_private_segment 0
		.amdhsa_system_sgpr_workgroup_id_x 1
		.amdhsa_system_sgpr_workgroup_id_y 0
		.amdhsa_system_sgpr_workgroup_id_z 0
		.amdhsa_system_sgpr_workgroup_info 0
		.amdhsa_system_vgpr_workitem_id 2
		.amdhsa_next_free_vgpr 26
		.amdhsa_next_free_sgpr 20
		.amdhsa_reserve_vcc 1
		.amdhsa_float_round_mode_32 0
		.amdhsa_float_round_mode_16_64 0
		.amdhsa_float_denorm_mode_32 3
		.amdhsa_float_denorm_mode_16_64 3
		.amdhsa_dx10_clamp 1
		.amdhsa_ieee_mode 1
		.amdhsa_fp16_overflow 0
		.amdhsa_workgroup_processor_mode 1
		.amdhsa_memory_ordered 1
		.amdhsa_forward_progress 0
		.amdhsa_shared_vgpr_count 0
		.amdhsa_exception_fp_ieee_invalid_op 0
		.amdhsa_exception_fp_denorm_src 0
		.amdhsa_exception_fp_ieee_div_zero 0
		.amdhsa_exception_fp_ieee_overflow 0
		.amdhsa_exception_fp_ieee_underflow 0
		.amdhsa_exception_fp_ieee_inexact 0
		.amdhsa_exception_int_div_zero 0
	.end_amdhsa_kernel
	.section	.text._ZN9rocsparseL20bsrxmvn_17_32_kernelILj27E21rocsparse_complex_numIdEiiS1_IfES2_S2_EEvT2_20rocsparse_direction_NS_24const_host_device_scalarIT0_EES4_PKS4_PKT1_SD_SA_PKT3_PKT4_S8_PT5_21rocsparse_index_base_b,"axG",@progbits,_ZN9rocsparseL20bsrxmvn_17_32_kernelILj27E21rocsparse_complex_numIdEiiS1_IfES2_S2_EEvT2_20rocsparse_direction_NS_24const_host_device_scalarIT0_EES4_PKS4_PKT1_SD_SA_PKT3_PKT4_S8_PT5_21rocsparse_index_base_b,comdat
.Lfunc_end538:
	.size	_ZN9rocsparseL20bsrxmvn_17_32_kernelILj27E21rocsparse_complex_numIdEiiS1_IfES2_S2_EEvT2_20rocsparse_direction_NS_24const_host_device_scalarIT0_EES4_PKS4_PKT1_SD_SA_PKT3_PKT4_S8_PT5_21rocsparse_index_base_b, .Lfunc_end538-_ZN9rocsparseL20bsrxmvn_17_32_kernelILj27E21rocsparse_complex_numIdEiiS1_IfES2_S2_EEvT2_20rocsparse_direction_NS_24const_host_device_scalarIT0_EES4_PKS4_PKT1_SD_SA_PKT3_PKT4_S8_PT5_21rocsparse_index_base_b
                                        ; -- End function
	.section	.AMDGPU.csdata,"",@progbits
; Kernel info:
; codeLenInByte = 2012
; NumSgprs: 22
; NumVgprs: 26
; ScratchSize: 0
; MemoryBound: 0
; FloatMode: 240
; IeeeMode: 1
; LDSByteSize: 23328 bytes/workgroup (compile time only)
; SGPRBlocks: 2
; VGPRBlocks: 3
; NumSGPRsForWavesPerEU: 22
; NumVGPRsForWavesPerEU: 26
; Occupancy: 12
; WaveLimiterHint : 1
; COMPUTE_PGM_RSRC2:SCRATCH_EN: 0
; COMPUTE_PGM_RSRC2:USER_SGPR: 15
; COMPUTE_PGM_RSRC2:TRAP_HANDLER: 0
; COMPUTE_PGM_RSRC2:TGID_X_EN: 1
; COMPUTE_PGM_RSRC2:TGID_Y_EN: 0
; COMPUTE_PGM_RSRC2:TGID_Z_EN: 0
; COMPUTE_PGM_RSRC2:TIDIG_COMP_CNT: 2
	.section	.text._ZN9rocsparseL20bsrxmvn_17_32_kernelILj28E21rocsparse_complex_numIdEiiS1_IfES2_S2_EEvT2_20rocsparse_direction_NS_24const_host_device_scalarIT0_EES4_PKS4_PKT1_SD_SA_PKT3_PKT4_S8_PT5_21rocsparse_index_base_b,"axG",@progbits,_ZN9rocsparseL20bsrxmvn_17_32_kernelILj28E21rocsparse_complex_numIdEiiS1_IfES2_S2_EEvT2_20rocsparse_direction_NS_24const_host_device_scalarIT0_EES4_PKS4_PKT1_SD_SA_PKT3_PKT4_S8_PT5_21rocsparse_index_base_b,comdat
	.globl	_ZN9rocsparseL20bsrxmvn_17_32_kernelILj28E21rocsparse_complex_numIdEiiS1_IfES2_S2_EEvT2_20rocsparse_direction_NS_24const_host_device_scalarIT0_EES4_PKS4_PKT1_SD_SA_PKT3_PKT4_S8_PT5_21rocsparse_index_base_b ; -- Begin function _ZN9rocsparseL20bsrxmvn_17_32_kernelILj28E21rocsparse_complex_numIdEiiS1_IfES2_S2_EEvT2_20rocsparse_direction_NS_24const_host_device_scalarIT0_EES4_PKS4_PKT1_SD_SA_PKT3_PKT4_S8_PT5_21rocsparse_index_base_b
	.p2align	8
	.type	_ZN9rocsparseL20bsrxmvn_17_32_kernelILj28E21rocsparse_complex_numIdEiiS1_IfES2_S2_EEvT2_20rocsparse_direction_NS_24const_host_device_scalarIT0_EES4_PKS4_PKT1_SD_SA_PKT3_PKT4_S8_PT5_21rocsparse_index_base_b,@function
_ZN9rocsparseL20bsrxmvn_17_32_kernelILj28E21rocsparse_complex_numIdEiiS1_IfES2_S2_EEvT2_20rocsparse_direction_NS_24const_host_device_scalarIT0_EES4_PKS4_PKT1_SD_SA_PKT3_PKT4_S8_PT5_21rocsparse_index_base_b: ; @_ZN9rocsparseL20bsrxmvn_17_32_kernelILj28E21rocsparse_complex_numIdEiiS1_IfES2_S2_EEvT2_20rocsparse_direction_NS_24const_host_device_scalarIT0_EES4_PKS4_PKT1_SD_SA_PKT3_PKT4_S8_PT5_21rocsparse_index_base_b
; %bb.0:
	s_mov_b32 s12, s15
	s_clause 0x1
	s_load_b64 s[14:15], s[2:3], 0x68
	s_load_b128 s[4:7], s[2:3], 0x8
	s_load_b64 s[16:17], s[0:1], 0x4
	s_mov_b64 s[0:1], src_shared_base
	v_and_b32_e32 v4, 0x3ff, v0
	s_load_b128 s[8:11], s[2:3], 0x50
	v_bfe_u32 v2, v0, 10, 10
	v_bfe_u32 v0, v0, 20, 10
	s_waitcnt lgkmcnt(0)
	s_bitcmp1_b32 s15, 0
	v_mov_b32_e32 v12, s7
	s_cselect_b32 s0, -1, 0
	v_mov_b32_e32 v11, s6
	s_and_b32 vcc_lo, s0, exec_lo
	s_cselect_b32 s13, s1, s5
	s_lshr_b32 s15, s16, 16
	v_mov_b32_e32 v6, s13
	s_mul_i32 s15, s15, s17
	s_xor_b32 s6, s0, -1
	v_mul_lo_u32 v1, s15, v4
	s_delay_alu instid0(VALU_DEP_1) | instskip(SKIP_1) | instid1(VALU_DEP_2)
	v_mad_u32_u24 v1, v2, s17, v1
	v_dual_mov_b32 v2, s8 :: v_dual_mov_b32 v3, s9
	v_add_lshl_u32 v7, v1, v0, 3
	v_dual_mov_b32 v0, s4 :: v_dual_mov_b32 v1, s5
	ds_store_b64 v7, v[0:1] offset:18816
	ds_store_b64 v7, v[2:3] offset:12544
	v_add_nc_u32_e32 v5, 0x4980, v7
	v_add_nc_u32_e32 v0, 0x3100, v7
	s_delay_alu instid0(VALU_DEP_2)
	v_cndmask_b32_e64 v5, s4, v5, s0
	flat_load_b64 v[9:10], v[5:6]
	s_cbranch_vccnz .LBB539_2
; %bb.1:
	v_dual_mov_b32 v1, s4 :: v_dual_mov_b32 v2, s5
	flat_load_b64 v[11:12], v[1:2] offset:8
.LBB539_2:
	s_and_b32 s4, s0, exec_lo
	s_cselect_b32 s1, s1, s9
	v_cndmask_b32_e64 v0, s8, v0, s0
	v_mov_b32_e32 v1, s1
	v_dual_mov_b32 v7, s10 :: v_dual_mov_b32 v8, s11
	s_and_not1_b32 vcc_lo, exec_lo, s6
	flat_load_b64 v[5:6], v[0:1]
	s_cbranch_vccnz .LBB539_4
; %bb.3:
	v_dual_mov_b32 v0, s8 :: v_dual_mov_b32 v1, s9
	flat_load_b64 v[7:8], v[0:1] offset:8
.LBB539_4:
	s_waitcnt vmcnt(1) lgkmcnt(1)
	v_cmp_eq_f64_e32 vcc_lo, 0, v[9:10]
	v_cmp_eq_f64_e64 s0, 0, v[11:12]
	s_delay_alu instid0(VALU_DEP_1)
	s_and_b32 s4, vcc_lo, s0
	s_mov_b32 s0, -1
	s_and_saveexec_b32 s1, s4
	s_cbranch_execz .LBB539_6
; %bb.5:
	s_waitcnt vmcnt(0) lgkmcnt(0)
	v_cmp_neq_f64_e32 vcc_lo, 1.0, v[5:6]
	v_cmp_neq_f64_e64 s0, 0, v[7:8]
	s_delay_alu instid0(VALU_DEP_1) | instskip(NEXT) | instid1(SALU_CYCLE_1)
	s_or_b32 s0, vcc_lo, s0
	s_or_not1_b32 s0, s0, exec_lo
.LBB539_6:
	s_or_b32 exec_lo, exec_lo, s1
	s_and_saveexec_b32 s1, s0
	s_cbranch_execz .LBB539_43
; %bb.7:
	s_clause 0x1
	s_load_b128 s[4:7], s[2:3], 0x20
	s_load_b64 s[0:1], s[2:3], 0x30
	s_waitcnt lgkmcnt(0)
	s_cmp_eq_u64 s[4:5], 0
	s_cbranch_scc1 .LBB539_9
; %bb.8:
	s_ashr_i32 s13, s12, 31
	s_delay_alu instid0(SALU_CYCLE_1) | instskip(NEXT) | instid1(SALU_CYCLE_1)
	s_lshl_b64 s[8:9], s[12:13], 2
	s_add_u32 s4, s4, s8
	s_addc_u32 s5, s5, s9
	s_load_b32 s4, s[4:5], 0x0
	s_waitcnt lgkmcnt(0)
	s_sub_i32 s12, s4, s14
.LBB539_9:
	s_load_b32 s4, s[2:3], 0x4
	v_mul_u32_u24_e32 v0, 0x925, v4
	v_mov_b32_e32 v2, 0
	v_mov_b32_e32 v3, 0
	s_delay_alu instid0(VALU_DEP_3) | instskip(NEXT) | instid1(VALU_DEP_1)
	v_lshrrev_b32_e32 v13, 16, v0
	v_mul_lo_u16 v0, v13, 28
	s_delay_alu instid0(VALU_DEP_1) | instskip(NEXT) | instid1(VALU_DEP_4)
	v_sub_nc_u16 v16, v4, v0
	v_dual_mov_b32 v0, v2 :: v_dual_mov_b32 v1, v3
	s_waitcnt lgkmcnt(0)
	s_cmp_eq_u32 s4, 1
	s_cselect_b32 vcc_lo, -1, 0
	s_cmp_lg_u32 s4, 1
	s_cselect_b32 s8, -1, 0
	s_ashr_i32 s13, s12, 31
	s_delay_alu instid0(SALU_CYCLE_1) | instskip(NEXT) | instid1(SALU_CYCLE_1)
	s_lshl_b64 s[4:5], s[12:13], 2
	s_add_u32 s6, s6, s4
	s_addc_u32 s7, s7, s5
	s_add_u32 s9, s6, 4
	s_addc_u32 s10, s7, 0
	;; [unrolled: 2-line block ×3, first 2 shown]
	s_cmp_eq_u64 s[0:1], 0
	s_cselect_b32 s1, s10, s5
	s_cselect_b32 s0, s9, s4
	s_load_b32 s6, s[6:7], 0x0
	s_load_b32 s7, s[0:1], 0x0
	s_load_b64 s[4:5], s[2:3], 0x60
	s_waitcnt lgkmcnt(0)
	s_cmp_ge_i32 s6, s7
	s_cbranch_scc1 .LBB539_14
; %bb.10:
	s_clause 0x1
	s_load_b128 s[16:19], s[2:3], 0x38
	s_load_b64 s[0:1], s[2:3], 0x48
	v_dual_mov_b32 v2, 0 :: v_dual_and_b32 v1, 0xffff, v13
	s_sub_i32 s2, s6, s14
	v_dual_mov_b32 v3, 0 :: v_dual_and_b32 v0, 0xffff, v16
	v_lshlrev_b32_e32 v14, 3, v4
	s_sub_i32 s9, s7, s14
	s_mul_i32 s7, s2, 0x1880
	s_delay_alu instid0(VALU_DEP_2)
	v_cndmask_b32_e32 v13, v0, v1, vcc_lo
	s_ashr_i32 s3, s2, 31
	s_mul_hi_i32 s6, s2, 0x1880
	v_dual_mov_b32 v0, v2 :: v_dual_mov_b32 v1, v3
	s_waitcnt lgkmcnt(0)
	s_add_u32 s10, s18, s7
	s_addc_u32 s11, s19, s6
	s_lshl_b64 s[6:7], s[2:3], 2
	v_add_co_u32 v14, s3, s10, v14
	s_delay_alu instid0(VALU_DEP_1)
	v_add_co_ci_u32_e64 v15, null, s11, 0, s3
	s_add_u32 s6, s16, s6
	s_addc_u32 s7, s17, s7
	s_set_inst_prefetch_distance 0x1
	s_branch .LBB539_12
	.p2align	6
.LBB539_11:                             ;   in Loop: Header=BB539_12 Depth=1
	s_add_i32 s2, s2, 1
	s_add_u32 s6, s6, 4
	s_addc_u32 s7, s7, 0
	s_cmp_lt_i32 s2, s9
	s_cbranch_scc0 .LBB539_14
.LBB539_12:                             ; =>This Inner Loop Header: Depth=1
	s_cmp_ge_i32 s2, s9
	s_cbranch_scc1 .LBB539_11
; %bb.13:                               ;   in Loop: Header=BB539_12 Depth=1
	s_load_b32 s3, s[6:7], 0x0
	global_load_b64 v[21:22], v[14:15], off
	s_waitcnt lgkmcnt(0)
	s_sub_i32 s3, s3, s14
	s_delay_alu instid0(SALU_CYCLE_1) | instskip(NEXT) | instid1(VALU_DEP_1)
	v_mad_u64_u32 v[17:18], null, s3, 28, v[13:14]
	v_ashrrev_i32_e32 v18, 31, v17
	s_delay_alu instid0(VALU_DEP_1) | instskip(NEXT) | instid1(VALU_DEP_1)
	v_lshlrev_b64 v[17:18], 4, v[17:18]
	v_add_co_u32 v17, vcc_lo, s0, v17
	s_delay_alu instid0(VALU_DEP_2)
	v_add_co_ci_u32_e32 v18, vcc_lo, s1, v18, vcc_lo
	v_add_co_u32 v14, vcc_lo, 0x1880, v14
	v_add_co_ci_u32_e32 v15, vcc_lo, 0, v15, vcc_lo
	global_load_b128 v[17:20], v[17:18], off
	s_waitcnt vmcnt(1)
	v_cvt_f64_f32_e32 v[23:24], v21
	v_cvt_f64_f32_e32 v[21:22], v22
	s_waitcnt vmcnt(0)
	s_delay_alu instid0(VALU_DEP_2) | instskip(NEXT) | instid1(VALU_DEP_2)
	v_fma_f64 v[0:1], v[23:24], v[17:18], v[0:1]
	v_fma_f64 v[2:3], v[21:22], v[17:18], v[2:3]
	s_delay_alu instid0(VALU_DEP_2) | instskip(NEXT) | instid1(VALU_DEP_2)
	v_fma_f64 v[0:1], -v[21:22], v[19:20], v[0:1]
	v_fma_f64 v[2:3], v[23:24], v[19:20], v[2:3]
	s_branch .LBB539_11
.LBB539_14:
	s_set_inst_prefetch_distance 0x2
	v_lshlrev_b32_e32 v17, 4, v4
	s_and_b32 vcc_lo, exec_lo, s8
	ds_store_b128 v17, v[0:3]
	s_waitcnt vmcnt(0) lgkmcnt(0)
	s_barrier
	buffer_gl0_inv
	s_cbranch_vccz .LBB539_26
; %bb.15:
	s_mov_b32 s0, exec_lo
	v_cmpx_gt_u16_e32 12, v16
	s_cbranch_execz .LBB539_17
; %bb.16:
	ds_load_b128 v[18:21], v17 offset:256
	ds_load_b128 v[22:25], v17
	s_waitcnt lgkmcnt(0)
	v_add_f64 v[18:19], v[18:19], v[22:23]
	v_add_f64 v[20:21], v[20:21], v[24:25]
	ds_store_b128 v17, v[18:21]
.LBB539_17:
	s_or_b32 exec_lo, exec_lo, s0
	s_delay_alu instid0(SALU_CYCLE_1)
	s_mov_b32 s0, exec_lo
	s_waitcnt lgkmcnt(0)
	s_barrier
	buffer_gl0_inv
	v_cmpx_gt_u16_e32 8, v16
	s_cbranch_execz .LBB539_19
; %bb.18:
	ds_load_b128 v[18:21], v17 offset:128
	ds_load_b128 v[22:25], v17
	s_waitcnt lgkmcnt(0)
	v_add_f64 v[18:19], v[18:19], v[22:23]
	v_add_f64 v[20:21], v[20:21], v[24:25]
	ds_store_b128 v17, v[18:21]
.LBB539_19:
	s_or_b32 exec_lo, exec_lo, s0
	s_delay_alu instid0(SALU_CYCLE_1)
	s_mov_b32 s0, exec_lo
	s_waitcnt lgkmcnt(0)
	s_barrier
	buffer_gl0_inv
	;; [unrolled: 16-line block ×3, first 2 shown]
	v_cmpx_gt_u16_e32 2, v16
	s_cbranch_execz .LBB539_23
; %bb.22:
	ds_load_b128 v[13:16], v17
	ds_load_b128 v[18:21], v17 offset:32
	s_waitcnt lgkmcnt(0)
	v_add_f64 v[13:14], v[18:19], v[13:14]
	v_add_f64 v[15:16], v[20:21], v[15:16]
	ds_store_b128 v17, v[13:16]
.LBB539_23:
	s_or_b32 exec_lo, exec_lo, s0
	v_dual_mov_b32 v16, v3 :: v_dual_mov_b32 v15, v2
	v_dual_mov_b32 v14, v1 :: v_dual_mov_b32 v13, v0
	s_mov_b32 s0, exec_lo
	s_waitcnt lgkmcnt(0)
	s_barrier
	buffer_gl0_inv
	v_cmpx_gt_u32_e32 28, v4
	s_cbranch_execz .LBB539_25
; %bb.24:
	v_mul_u32_u24_e32 v13, 28, v4
	s_delay_alu instid0(VALU_DEP_1)
	v_lshlrev_b32_e32 v18, 4, v13
	ds_load_b128 v[13:16], v18
	ds_load_b128 v[18:21], v18 offset:16
	s_waitcnt lgkmcnt(0)
	v_add_f64 v[13:14], v[18:19], v[13:14]
	v_add_f64 v[15:16], v[20:21], v[15:16]
.LBB539_25:
	s_or_b32 exec_lo, exec_lo, s0
	s_branch .LBB539_38
.LBB539_26:
                                        ; implicit-def: $vgpr15_vgpr16
                                        ; implicit-def: $vgpr13_vgpr14
	s_cbranch_execz .LBB539_38
; %bb.27:
	s_mov_b32 s0, exec_lo
	v_cmpx_gt_u32_e32 0x150, v4
	s_cbranch_execz .LBB539_29
; %bb.28:
	ds_load_b128 v[13:16], v17 offset:7168
	ds_load_b128 v[18:21], v17
	s_waitcnt lgkmcnt(0)
	v_add_f64 v[13:14], v[13:14], v[18:19]
	v_add_f64 v[15:16], v[15:16], v[20:21]
	ds_store_b128 v17, v[13:16]
.LBB539_29:
	s_or_b32 exec_lo, exec_lo, s0
	s_delay_alu instid0(SALU_CYCLE_1)
	s_mov_b32 s0, exec_lo
	s_waitcnt lgkmcnt(0)
	s_barrier
	buffer_gl0_inv
	v_cmpx_gt_u32_e32 0xe0, v4
	s_cbranch_execz .LBB539_31
; %bb.30:
	ds_load_b128 v[13:16], v17 offset:3584
	ds_load_b128 v[18:21], v17
	s_waitcnt lgkmcnt(0)
	v_add_f64 v[13:14], v[13:14], v[18:19]
	v_add_f64 v[15:16], v[15:16], v[20:21]
	ds_store_b128 v17, v[13:16]
.LBB539_31:
	s_or_b32 exec_lo, exec_lo, s0
	s_delay_alu instid0(SALU_CYCLE_1)
	s_mov_b32 s0, exec_lo
	s_waitcnt lgkmcnt(0)
	s_barrier
	buffer_gl0_inv
	;; [unrolled: 16-line block ×3, first 2 shown]
	v_cmpx_gt_u32_e32 56, v4
	s_cbranch_execz .LBB539_35
; %bb.34:
	ds_load_b128 v[13:16], v17 offset:896
	ds_load_b128 v[18:21], v17
	s_waitcnt lgkmcnt(0)
	v_add_f64 v[13:14], v[13:14], v[18:19]
	v_add_f64 v[15:16], v[15:16], v[20:21]
	ds_store_b128 v17, v[13:16]
.LBB539_35:
	s_or_b32 exec_lo, exec_lo, s0
	s_delay_alu instid0(SALU_CYCLE_1)
	s_mov_b32 s0, exec_lo
	s_waitcnt lgkmcnt(0)
	buffer_gl0_inv
	v_cmpx_gt_u32_e32 28, v4
	s_cbranch_execz .LBB539_37
; %bb.36:
	ds_load_b128 v[0:3], v17 offset:448
	ds_load_b128 v[13:16], v17
	s_waitcnt lgkmcnt(0)
	v_add_f64 v[0:1], v[0:1], v[13:14]
	v_add_f64 v[2:3], v[2:3], v[15:16]
.LBB539_37:
	s_or_b32 exec_lo, exec_lo, s0
	s_delay_alu instid0(VALU_DEP_1) | instskip(NEXT) | instid1(VALU_DEP_3)
	v_dual_mov_b32 v16, v3 :: v_dual_mov_b32 v15, v2
	v_dual_mov_b32 v14, v1 :: v_dual_mov_b32 v13, v0
.LBB539_38:
	v_cmp_gt_u32_e32 vcc_lo, 28, v4
	s_and_b32 exec_lo, exec_lo, vcc_lo
	s_cbranch_execz .LBB539_43
; %bb.39:
	s_delay_alu instid0(VALU_DEP_2) | instskip(SKIP_3) | instid1(VALU_DEP_4)
	v_mul_f64 v[0:1], v[15:16], -v[11:12]
	v_mul_f64 v[2:3], v[9:10], v[15:16]
	v_cmp_eq_f64_e32 vcc_lo, 0, v[5:6]
	v_cmp_eq_f64_e64 s0, 0, v[7:8]
	v_fma_f64 v[0:1], v[9:10], v[13:14], v[0:1]
	s_delay_alu instid0(VALU_DEP_4) | instskip(NEXT) | instid1(VALU_DEP_3)
	v_fma_f64 v[2:3], v[11:12], v[13:14], v[2:3]
	s_and_b32 s0, vcc_lo, s0
	s_delay_alu instid0(SALU_CYCLE_1) | instskip(NEXT) | instid1(SALU_CYCLE_1)
	s_and_saveexec_b32 s1, s0
	s_xor_b32 s0, exec_lo, s1
	s_cbranch_execz .LBB539_41
; %bb.40:
	v_mad_u64_u32 v[5:6], null, s12, 28, v[4:5]
	v_mov_b32_e32 v6, 0
                                        ; implicit-def: $vgpr7_vgpr8
	s_delay_alu instid0(VALU_DEP_1) | instskip(NEXT) | instid1(VALU_DEP_1)
	v_lshlrev_b64 v[4:5], 4, v[5:6]
	v_add_co_u32 v4, vcc_lo, s4, v4
	s_delay_alu instid0(VALU_DEP_2)
	v_add_co_ci_u32_e32 v5, vcc_lo, s5, v5, vcc_lo
	global_store_b128 v[4:5], v[0:3], off
                                        ; implicit-def: $vgpr4
                                        ; implicit-def: $vgpr5_vgpr6
                                        ; implicit-def: $vgpr0_vgpr1
.LBB539_41:
	s_and_not1_saveexec_b32 s0, s0
	s_cbranch_execz .LBB539_43
; %bb.42:
	v_mad_u64_u32 v[9:10], null, s12, 28, v[4:5]
	v_mov_b32_e32 v10, 0
	s_delay_alu instid0(VALU_DEP_1) | instskip(NEXT) | instid1(VALU_DEP_1)
	v_lshlrev_b64 v[9:10], 4, v[9:10]
	v_add_co_u32 v13, vcc_lo, s4, v9
	s_delay_alu instid0(VALU_DEP_2) | instskip(SKIP_4) | instid1(VALU_DEP_2)
	v_add_co_ci_u32_e32 v14, vcc_lo, s5, v10, vcc_lo
	global_load_b128 v[9:12], v[13:14], off
	s_waitcnt vmcnt(0)
	v_fma_f64 v[0:1], v[5:6], v[9:10], v[0:1]
	v_fma_f64 v[2:3], v[7:8], v[9:10], v[2:3]
	v_fma_f64 v[0:1], -v[7:8], v[11:12], v[0:1]
	s_delay_alu instid0(VALU_DEP_2)
	v_fma_f64 v[2:3], v[5:6], v[11:12], v[2:3]
	global_store_b128 v[13:14], v[0:3], off
.LBB539_43:
	s_nop 0
	s_sendmsg sendmsg(MSG_DEALLOC_VGPRS)
	s_endpgm
	.section	.rodata,"a",@progbits
	.p2align	6, 0x0
	.amdhsa_kernel _ZN9rocsparseL20bsrxmvn_17_32_kernelILj28E21rocsparse_complex_numIdEiiS1_IfES2_S2_EEvT2_20rocsparse_direction_NS_24const_host_device_scalarIT0_EES4_PKS4_PKT1_SD_SA_PKT3_PKT4_S8_PT5_21rocsparse_index_base_b
		.amdhsa_group_segment_fixed_size 25088
		.amdhsa_private_segment_fixed_size 0
		.amdhsa_kernarg_size 112
		.amdhsa_user_sgpr_count 15
		.amdhsa_user_sgpr_dispatch_ptr 1
		.amdhsa_user_sgpr_queue_ptr 0
		.amdhsa_user_sgpr_kernarg_segment_ptr 1
		.amdhsa_user_sgpr_dispatch_id 0
		.amdhsa_user_sgpr_private_segment_size 0
		.amdhsa_wavefront_size32 1
		.amdhsa_uses_dynamic_stack 0
		.amdhsa_enable_private_segment 0
		.amdhsa_system_sgpr_workgroup_id_x 1
		.amdhsa_system_sgpr_workgroup_id_y 0
		.amdhsa_system_sgpr_workgroup_id_z 0
		.amdhsa_system_sgpr_workgroup_info 0
		.amdhsa_system_vgpr_workitem_id 2
		.amdhsa_next_free_vgpr 26
		.amdhsa_next_free_sgpr 20
		.amdhsa_reserve_vcc 1
		.amdhsa_float_round_mode_32 0
		.amdhsa_float_round_mode_16_64 0
		.amdhsa_float_denorm_mode_32 3
		.amdhsa_float_denorm_mode_16_64 3
		.amdhsa_dx10_clamp 1
		.amdhsa_ieee_mode 1
		.amdhsa_fp16_overflow 0
		.amdhsa_workgroup_processor_mode 1
		.amdhsa_memory_ordered 1
		.amdhsa_forward_progress 0
		.amdhsa_shared_vgpr_count 0
		.amdhsa_exception_fp_ieee_invalid_op 0
		.amdhsa_exception_fp_denorm_src 0
		.amdhsa_exception_fp_ieee_div_zero 0
		.amdhsa_exception_fp_ieee_overflow 0
		.amdhsa_exception_fp_ieee_underflow 0
		.amdhsa_exception_fp_ieee_inexact 0
		.amdhsa_exception_int_div_zero 0
	.end_amdhsa_kernel
	.section	.text._ZN9rocsparseL20bsrxmvn_17_32_kernelILj28E21rocsparse_complex_numIdEiiS1_IfES2_S2_EEvT2_20rocsparse_direction_NS_24const_host_device_scalarIT0_EES4_PKS4_PKT1_SD_SA_PKT3_PKT4_S8_PT5_21rocsparse_index_base_b,"axG",@progbits,_ZN9rocsparseL20bsrxmvn_17_32_kernelILj28E21rocsparse_complex_numIdEiiS1_IfES2_S2_EEvT2_20rocsparse_direction_NS_24const_host_device_scalarIT0_EES4_PKS4_PKT1_SD_SA_PKT3_PKT4_S8_PT5_21rocsparse_index_base_b,comdat
.Lfunc_end539:
	.size	_ZN9rocsparseL20bsrxmvn_17_32_kernelILj28E21rocsparse_complex_numIdEiiS1_IfES2_S2_EEvT2_20rocsparse_direction_NS_24const_host_device_scalarIT0_EES4_PKS4_PKT1_SD_SA_PKT3_PKT4_S8_PT5_21rocsparse_index_base_b, .Lfunc_end539-_ZN9rocsparseL20bsrxmvn_17_32_kernelILj28E21rocsparse_complex_numIdEiiS1_IfES2_S2_EEvT2_20rocsparse_direction_NS_24const_host_device_scalarIT0_EES4_PKS4_PKT1_SD_SA_PKT3_PKT4_S8_PT5_21rocsparse_index_base_b
                                        ; -- End function
	.section	.AMDGPU.csdata,"",@progbits
; Kernel info:
; codeLenInByte = 2012
; NumSgprs: 22
; NumVgprs: 26
; ScratchSize: 0
; MemoryBound: 0
; FloatMode: 240
; IeeeMode: 1
; LDSByteSize: 25088 bytes/workgroup (compile time only)
; SGPRBlocks: 2
; VGPRBlocks: 3
; NumSGPRsForWavesPerEU: 22
; NumVGPRsForWavesPerEU: 26
; Occupancy: 13
; WaveLimiterHint : 1
; COMPUTE_PGM_RSRC2:SCRATCH_EN: 0
; COMPUTE_PGM_RSRC2:USER_SGPR: 15
; COMPUTE_PGM_RSRC2:TRAP_HANDLER: 0
; COMPUTE_PGM_RSRC2:TGID_X_EN: 1
; COMPUTE_PGM_RSRC2:TGID_Y_EN: 0
; COMPUTE_PGM_RSRC2:TGID_Z_EN: 0
; COMPUTE_PGM_RSRC2:TIDIG_COMP_CNT: 2
	.section	.text._ZN9rocsparseL20bsrxmvn_17_32_kernelILj29E21rocsparse_complex_numIdEiiS1_IfES2_S2_EEvT2_20rocsparse_direction_NS_24const_host_device_scalarIT0_EES4_PKS4_PKT1_SD_SA_PKT3_PKT4_S8_PT5_21rocsparse_index_base_b,"axG",@progbits,_ZN9rocsparseL20bsrxmvn_17_32_kernelILj29E21rocsparse_complex_numIdEiiS1_IfES2_S2_EEvT2_20rocsparse_direction_NS_24const_host_device_scalarIT0_EES4_PKS4_PKT1_SD_SA_PKT3_PKT4_S8_PT5_21rocsparse_index_base_b,comdat
	.globl	_ZN9rocsparseL20bsrxmvn_17_32_kernelILj29E21rocsparse_complex_numIdEiiS1_IfES2_S2_EEvT2_20rocsparse_direction_NS_24const_host_device_scalarIT0_EES4_PKS4_PKT1_SD_SA_PKT3_PKT4_S8_PT5_21rocsparse_index_base_b ; -- Begin function _ZN9rocsparseL20bsrxmvn_17_32_kernelILj29E21rocsparse_complex_numIdEiiS1_IfES2_S2_EEvT2_20rocsparse_direction_NS_24const_host_device_scalarIT0_EES4_PKS4_PKT1_SD_SA_PKT3_PKT4_S8_PT5_21rocsparse_index_base_b
	.p2align	8
	.type	_ZN9rocsparseL20bsrxmvn_17_32_kernelILj29E21rocsparse_complex_numIdEiiS1_IfES2_S2_EEvT2_20rocsparse_direction_NS_24const_host_device_scalarIT0_EES4_PKS4_PKT1_SD_SA_PKT3_PKT4_S8_PT5_21rocsparse_index_base_b,@function
_ZN9rocsparseL20bsrxmvn_17_32_kernelILj29E21rocsparse_complex_numIdEiiS1_IfES2_S2_EEvT2_20rocsparse_direction_NS_24const_host_device_scalarIT0_EES4_PKS4_PKT1_SD_SA_PKT3_PKT4_S8_PT5_21rocsparse_index_base_b: ; @_ZN9rocsparseL20bsrxmvn_17_32_kernelILj29E21rocsparse_complex_numIdEiiS1_IfES2_S2_EEvT2_20rocsparse_direction_NS_24const_host_device_scalarIT0_EES4_PKS4_PKT1_SD_SA_PKT3_PKT4_S8_PT5_21rocsparse_index_base_b
; %bb.0:
	s_mov_b32 s12, s15
	s_clause 0x1
	s_load_b64 s[14:15], s[2:3], 0x68
	s_load_b128 s[4:7], s[2:3], 0x8
	s_load_b64 s[16:17], s[0:1], 0x4
	s_mov_b64 s[0:1], src_shared_base
	v_and_b32_e32 v4, 0x3ff, v0
	s_load_b128 s[8:11], s[2:3], 0x50
	v_bfe_u32 v2, v0, 10, 10
	v_bfe_u32 v0, v0, 20, 10
	s_waitcnt lgkmcnt(0)
	s_bitcmp1_b32 s15, 0
	v_mov_b32_e32 v12, s7
	s_cselect_b32 s0, -1, 0
	v_mov_b32_e32 v11, s6
	s_and_b32 vcc_lo, s0, exec_lo
	s_cselect_b32 s13, s1, s5
	s_lshr_b32 s15, s16, 16
	v_mov_b32_e32 v6, s13
	s_mul_i32 s15, s15, s17
	s_xor_b32 s6, s0, -1
	v_mul_lo_u32 v1, s15, v4
	s_delay_alu instid0(VALU_DEP_1) | instskip(SKIP_1) | instid1(VALU_DEP_2)
	v_mad_u32_u24 v1, v2, s17, v1
	v_dual_mov_b32 v2, s8 :: v_dual_mov_b32 v3, s9
	v_add_lshl_u32 v7, v1, v0, 3
	v_dual_mov_b32 v0, s4 :: v_dual_mov_b32 v1, s5
	ds_store_b64 v7, v[0:1] offset:20184
	ds_store_b64 v7, v[2:3] offset:13456
	v_add_nc_u32_e32 v5, 0x4ed8, v7
	v_add_nc_u32_e32 v0, 0x3490, v7
	s_delay_alu instid0(VALU_DEP_2)
	v_cndmask_b32_e64 v5, s4, v5, s0
	flat_load_b64 v[9:10], v[5:6]
	s_cbranch_vccnz .LBB540_2
; %bb.1:
	v_dual_mov_b32 v1, s4 :: v_dual_mov_b32 v2, s5
	flat_load_b64 v[11:12], v[1:2] offset:8
.LBB540_2:
	s_and_b32 s4, s0, exec_lo
	s_cselect_b32 s1, s1, s9
	v_cndmask_b32_e64 v0, s8, v0, s0
	v_mov_b32_e32 v1, s1
	v_dual_mov_b32 v7, s10 :: v_dual_mov_b32 v8, s11
	s_and_not1_b32 vcc_lo, exec_lo, s6
	flat_load_b64 v[5:6], v[0:1]
	s_cbranch_vccnz .LBB540_4
; %bb.3:
	v_dual_mov_b32 v0, s8 :: v_dual_mov_b32 v1, s9
	flat_load_b64 v[7:8], v[0:1] offset:8
.LBB540_4:
	s_waitcnt vmcnt(1) lgkmcnt(1)
	v_cmp_eq_f64_e32 vcc_lo, 0, v[9:10]
	v_cmp_eq_f64_e64 s0, 0, v[11:12]
	s_delay_alu instid0(VALU_DEP_1)
	s_and_b32 s4, vcc_lo, s0
	s_mov_b32 s0, -1
	s_and_saveexec_b32 s1, s4
	s_cbranch_execz .LBB540_6
; %bb.5:
	s_waitcnt vmcnt(0) lgkmcnt(0)
	v_cmp_neq_f64_e32 vcc_lo, 1.0, v[5:6]
	v_cmp_neq_f64_e64 s0, 0, v[7:8]
	s_delay_alu instid0(VALU_DEP_1) | instskip(NEXT) | instid1(SALU_CYCLE_1)
	s_or_b32 s0, vcc_lo, s0
	s_or_not1_b32 s0, s0, exec_lo
.LBB540_6:
	s_or_b32 exec_lo, exec_lo, s1
	s_and_saveexec_b32 s1, s0
	s_cbranch_execz .LBB540_43
; %bb.7:
	s_clause 0x1
	s_load_b128 s[4:7], s[2:3], 0x20
	s_load_b64 s[0:1], s[2:3], 0x30
	s_waitcnt lgkmcnt(0)
	s_cmp_eq_u64 s[4:5], 0
	s_cbranch_scc1 .LBB540_9
; %bb.8:
	s_ashr_i32 s13, s12, 31
	s_delay_alu instid0(SALU_CYCLE_1) | instskip(NEXT) | instid1(SALU_CYCLE_1)
	s_lshl_b64 s[8:9], s[12:13], 2
	s_add_u32 s4, s4, s8
	s_addc_u32 s5, s5, s9
	s_load_b32 s4, s[4:5], 0x0
	s_waitcnt lgkmcnt(0)
	s_sub_i32 s12, s4, s14
.LBB540_9:
	s_load_b32 s4, s[2:3], 0x4
	v_mul_u32_u24_e32 v0, 0x8d4, v4
	v_mov_b32_e32 v2, 0
	v_mov_b32_e32 v3, 0
	s_delay_alu instid0(VALU_DEP_3) | instskip(NEXT) | instid1(VALU_DEP_1)
	v_lshrrev_b32_e32 v13, 16, v0
	v_mul_lo_u16 v0, v13, 29
	s_delay_alu instid0(VALU_DEP_1) | instskip(NEXT) | instid1(VALU_DEP_4)
	v_sub_nc_u16 v16, v4, v0
	v_dual_mov_b32 v0, v2 :: v_dual_mov_b32 v1, v3
	s_waitcnt lgkmcnt(0)
	s_cmp_eq_u32 s4, 1
	s_cselect_b32 vcc_lo, -1, 0
	s_cmp_lg_u32 s4, 1
	s_cselect_b32 s8, -1, 0
	s_ashr_i32 s13, s12, 31
	s_delay_alu instid0(SALU_CYCLE_1) | instskip(NEXT) | instid1(SALU_CYCLE_1)
	s_lshl_b64 s[4:5], s[12:13], 2
	s_add_u32 s6, s6, s4
	s_addc_u32 s7, s7, s5
	s_add_u32 s9, s6, 4
	s_addc_u32 s10, s7, 0
	;; [unrolled: 2-line block ×3, first 2 shown]
	s_cmp_eq_u64 s[0:1], 0
	s_cselect_b32 s1, s10, s5
	s_cselect_b32 s0, s9, s4
	s_load_b32 s6, s[6:7], 0x0
	s_load_b32 s7, s[0:1], 0x0
	s_load_b64 s[4:5], s[2:3], 0x60
	s_waitcnt lgkmcnt(0)
	s_cmp_ge_i32 s6, s7
	s_cbranch_scc1 .LBB540_14
; %bb.10:
	s_clause 0x1
	s_load_b128 s[16:19], s[2:3], 0x38
	s_load_b64 s[0:1], s[2:3], 0x48
	v_dual_mov_b32 v2, 0 :: v_dual_and_b32 v1, 0xffff, v13
	s_sub_i32 s2, s6, s14
	v_dual_mov_b32 v3, 0 :: v_dual_and_b32 v0, 0xffff, v16
	v_lshlrev_b32_e32 v14, 3, v4
	s_sub_i32 s9, s7, s14
	s_mul_i32 s7, s2, 0x1a48
	s_delay_alu instid0(VALU_DEP_2)
	v_cndmask_b32_e32 v13, v0, v1, vcc_lo
	s_ashr_i32 s3, s2, 31
	s_mul_hi_i32 s6, s2, 0x1a48
	v_dual_mov_b32 v0, v2 :: v_dual_mov_b32 v1, v3
	s_waitcnt lgkmcnt(0)
	s_add_u32 s10, s18, s7
	s_addc_u32 s11, s19, s6
	s_lshl_b64 s[6:7], s[2:3], 2
	v_add_co_u32 v14, s3, s10, v14
	s_delay_alu instid0(VALU_DEP_1)
	v_add_co_ci_u32_e64 v15, null, s11, 0, s3
	s_add_u32 s6, s16, s6
	s_addc_u32 s7, s17, s7
	s_set_inst_prefetch_distance 0x1
	s_branch .LBB540_12
	.p2align	6
.LBB540_11:                             ;   in Loop: Header=BB540_12 Depth=1
	s_add_i32 s2, s2, 1
	s_add_u32 s6, s6, 4
	s_addc_u32 s7, s7, 0
	s_cmp_lt_i32 s2, s9
	s_cbranch_scc0 .LBB540_14
.LBB540_12:                             ; =>This Inner Loop Header: Depth=1
	s_cmp_ge_i32 s2, s9
	s_cbranch_scc1 .LBB540_11
; %bb.13:                               ;   in Loop: Header=BB540_12 Depth=1
	s_load_b32 s3, s[6:7], 0x0
	global_load_b64 v[21:22], v[14:15], off
	s_waitcnt lgkmcnt(0)
	s_sub_i32 s3, s3, s14
	s_delay_alu instid0(SALU_CYCLE_1) | instskip(NEXT) | instid1(VALU_DEP_1)
	v_mad_u64_u32 v[17:18], null, s3, 29, v[13:14]
	v_ashrrev_i32_e32 v18, 31, v17
	s_delay_alu instid0(VALU_DEP_1) | instskip(NEXT) | instid1(VALU_DEP_1)
	v_lshlrev_b64 v[17:18], 4, v[17:18]
	v_add_co_u32 v17, vcc_lo, s0, v17
	s_delay_alu instid0(VALU_DEP_2)
	v_add_co_ci_u32_e32 v18, vcc_lo, s1, v18, vcc_lo
	v_add_co_u32 v14, vcc_lo, 0x1a48, v14
	v_add_co_ci_u32_e32 v15, vcc_lo, 0, v15, vcc_lo
	global_load_b128 v[17:20], v[17:18], off
	s_waitcnt vmcnt(1)
	v_cvt_f64_f32_e32 v[23:24], v21
	v_cvt_f64_f32_e32 v[21:22], v22
	s_waitcnt vmcnt(0)
	s_delay_alu instid0(VALU_DEP_2) | instskip(NEXT) | instid1(VALU_DEP_2)
	v_fma_f64 v[0:1], v[23:24], v[17:18], v[0:1]
	v_fma_f64 v[2:3], v[21:22], v[17:18], v[2:3]
	s_delay_alu instid0(VALU_DEP_2) | instskip(NEXT) | instid1(VALU_DEP_2)
	v_fma_f64 v[0:1], -v[21:22], v[19:20], v[0:1]
	v_fma_f64 v[2:3], v[23:24], v[19:20], v[2:3]
	s_branch .LBB540_11
.LBB540_14:
	s_set_inst_prefetch_distance 0x2
	v_lshlrev_b32_e32 v17, 4, v4
	s_and_b32 vcc_lo, exec_lo, s8
	ds_store_b128 v17, v[0:3]
	s_waitcnt vmcnt(0) lgkmcnt(0)
	s_barrier
	buffer_gl0_inv
	s_cbranch_vccz .LBB540_26
; %bb.15:
	s_mov_b32 s0, exec_lo
	v_cmpx_gt_u16_e32 13, v16
	s_cbranch_execz .LBB540_17
; %bb.16:
	ds_load_b128 v[18:21], v17 offset:256
	ds_load_b128 v[22:25], v17
	s_waitcnt lgkmcnt(0)
	v_add_f64 v[18:19], v[18:19], v[22:23]
	v_add_f64 v[20:21], v[20:21], v[24:25]
	ds_store_b128 v17, v[18:21]
.LBB540_17:
	s_or_b32 exec_lo, exec_lo, s0
	s_delay_alu instid0(SALU_CYCLE_1)
	s_mov_b32 s0, exec_lo
	s_waitcnt lgkmcnt(0)
	s_barrier
	buffer_gl0_inv
	v_cmpx_gt_u16_e32 8, v16
	s_cbranch_execz .LBB540_19
; %bb.18:
	ds_load_b128 v[18:21], v17 offset:128
	ds_load_b128 v[22:25], v17
	s_waitcnt lgkmcnt(0)
	v_add_f64 v[18:19], v[18:19], v[22:23]
	v_add_f64 v[20:21], v[20:21], v[24:25]
	ds_store_b128 v17, v[18:21]
.LBB540_19:
	s_or_b32 exec_lo, exec_lo, s0
	s_delay_alu instid0(SALU_CYCLE_1)
	s_mov_b32 s0, exec_lo
	s_waitcnt lgkmcnt(0)
	s_barrier
	buffer_gl0_inv
	;; [unrolled: 16-line block ×3, first 2 shown]
	v_cmpx_gt_u16_e32 2, v16
	s_cbranch_execz .LBB540_23
; %bb.22:
	ds_load_b128 v[13:16], v17
	ds_load_b128 v[18:21], v17 offset:32
	s_waitcnt lgkmcnt(0)
	v_add_f64 v[13:14], v[18:19], v[13:14]
	v_add_f64 v[15:16], v[20:21], v[15:16]
	ds_store_b128 v17, v[13:16]
.LBB540_23:
	s_or_b32 exec_lo, exec_lo, s0
	v_dual_mov_b32 v16, v3 :: v_dual_mov_b32 v15, v2
	v_dual_mov_b32 v14, v1 :: v_dual_mov_b32 v13, v0
	s_mov_b32 s0, exec_lo
	s_waitcnt lgkmcnt(0)
	s_barrier
	buffer_gl0_inv
	v_cmpx_gt_u32_e32 29, v4
	s_cbranch_execz .LBB540_25
; %bb.24:
	v_mul_u32_u24_e32 v13, 29, v4
	s_delay_alu instid0(VALU_DEP_1)
	v_lshlrev_b32_e32 v18, 4, v13
	ds_load_b128 v[13:16], v18
	ds_load_b128 v[18:21], v18 offset:16
	s_waitcnt lgkmcnt(0)
	v_add_f64 v[13:14], v[18:19], v[13:14]
	v_add_f64 v[15:16], v[20:21], v[15:16]
.LBB540_25:
	s_or_b32 exec_lo, exec_lo, s0
	s_branch .LBB540_38
.LBB540_26:
                                        ; implicit-def: $vgpr15_vgpr16
                                        ; implicit-def: $vgpr13_vgpr14
	s_cbranch_execz .LBB540_38
; %bb.27:
	s_mov_b32 s0, exec_lo
	v_cmpx_gt_u32_e32 0x179, v4
	s_cbranch_execz .LBB540_29
; %bb.28:
	ds_load_b128 v[13:16], v17 offset:7424
	ds_load_b128 v[18:21], v17
	s_waitcnt lgkmcnt(0)
	v_add_f64 v[13:14], v[13:14], v[18:19]
	v_add_f64 v[15:16], v[15:16], v[20:21]
	ds_store_b128 v17, v[13:16]
.LBB540_29:
	s_or_b32 exec_lo, exec_lo, s0
	s_delay_alu instid0(SALU_CYCLE_1)
	s_mov_b32 s0, exec_lo
	s_waitcnt lgkmcnt(0)
	s_barrier
	buffer_gl0_inv
	v_cmpx_gt_u32_e32 0xe8, v4
	s_cbranch_execz .LBB540_31
; %bb.30:
	ds_load_b128 v[13:16], v17 offset:3712
	ds_load_b128 v[18:21], v17
	s_waitcnt lgkmcnt(0)
	v_add_f64 v[13:14], v[13:14], v[18:19]
	v_add_f64 v[15:16], v[15:16], v[20:21]
	ds_store_b128 v17, v[13:16]
.LBB540_31:
	s_or_b32 exec_lo, exec_lo, s0
	s_delay_alu instid0(SALU_CYCLE_1)
	s_mov_b32 s0, exec_lo
	s_waitcnt lgkmcnt(0)
	s_barrier
	buffer_gl0_inv
	;; [unrolled: 16-line block ×3, first 2 shown]
	v_cmpx_gt_u32_e32 58, v4
	s_cbranch_execz .LBB540_35
; %bb.34:
	ds_load_b128 v[13:16], v17 offset:928
	ds_load_b128 v[18:21], v17
	s_waitcnt lgkmcnt(0)
	v_add_f64 v[13:14], v[13:14], v[18:19]
	v_add_f64 v[15:16], v[15:16], v[20:21]
	ds_store_b128 v17, v[13:16]
.LBB540_35:
	s_or_b32 exec_lo, exec_lo, s0
	s_delay_alu instid0(SALU_CYCLE_1)
	s_mov_b32 s0, exec_lo
	s_waitcnt lgkmcnt(0)
	buffer_gl0_inv
	v_cmpx_gt_u32_e32 29, v4
	s_cbranch_execz .LBB540_37
; %bb.36:
	ds_load_b128 v[0:3], v17 offset:464
	ds_load_b128 v[13:16], v17
	s_waitcnt lgkmcnt(0)
	v_add_f64 v[0:1], v[0:1], v[13:14]
	v_add_f64 v[2:3], v[2:3], v[15:16]
.LBB540_37:
	s_or_b32 exec_lo, exec_lo, s0
	s_delay_alu instid0(VALU_DEP_1) | instskip(NEXT) | instid1(VALU_DEP_3)
	v_dual_mov_b32 v16, v3 :: v_dual_mov_b32 v15, v2
	v_dual_mov_b32 v14, v1 :: v_dual_mov_b32 v13, v0
.LBB540_38:
	v_cmp_gt_u32_e32 vcc_lo, 29, v4
	s_and_b32 exec_lo, exec_lo, vcc_lo
	s_cbranch_execz .LBB540_43
; %bb.39:
	s_delay_alu instid0(VALU_DEP_2) | instskip(SKIP_3) | instid1(VALU_DEP_4)
	v_mul_f64 v[0:1], v[15:16], -v[11:12]
	v_mul_f64 v[2:3], v[9:10], v[15:16]
	v_cmp_eq_f64_e32 vcc_lo, 0, v[5:6]
	v_cmp_eq_f64_e64 s0, 0, v[7:8]
	v_fma_f64 v[0:1], v[9:10], v[13:14], v[0:1]
	s_delay_alu instid0(VALU_DEP_4) | instskip(NEXT) | instid1(VALU_DEP_3)
	v_fma_f64 v[2:3], v[11:12], v[13:14], v[2:3]
	s_and_b32 s0, vcc_lo, s0
	s_delay_alu instid0(SALU_CYCLE_1) | instskip(NEXT) | instid1(SALU_CYCLE_1)
	s_and_saveexec_b32 s1, s0
	s_xor_b32 s0, exec_lo, s1
	s_cbranch_execz .LBB540_41
; %bb.40:
	v_mad_u64_u32 v[5:6], null, s12, 29, v[4:5]
	v_mov_b32_e32 v6, 0
                                        ; implicit-def: $vgpr7_vgpr8
	s_delay_alu instid0(VALU_DEP_1) | instskip(NEXT) | instid1(VALU_DEP_1)
	v_lshlrev_b64 v[4:5], 4, v[5:6]
	v_add_co_u32 v4, vcc_lo, s4, v4
	s_delay_alu instid0(VALU_DEP_2)
	v_add_co_ci_u32_e32 v5, vcc_lo, s5, v5, vcc_lo
	global_store_b128 v[4:5], v[0:3], off
                                        ; implicit-def: $vgpr4
                                        ; implicit-def: $vgpr5_vgpr6
                                        ; implicit-def: $vgpr0_vgpr1
.LBB540_41:
	s_and_not1_saveexec_b32 s0, s0
	s_cbranch_execz .LBB540_43
; %bb.42:
	v_mad_u64_u32 v[9:10], null, s12, 29, v[4:5]
	v_mov_b32_e32 v10, 0
	s_delay_alu instid0(VALU_DEP_1) | instskip(NEXT) | instid1(VALU_DEP_1)
	v_lshlrev_b64 v[9:10], 4, v[9:10]
	v_add_co_u32 v13, vcc_lo, s4, v9
	s_delay_alu instid0(VALU_DEP_2) | instskip(SKIP_4) | instid1(VALU_DEP_2)
	v_add_co_ci_u32_e32 v14, vcc_lo, s5, v10, vcc_lo
	global_load_b128 v[9:12], v[13:14], off
	s_waitcnt vmcnt(0)
	v_fma_f64 v[0:1], v[5:6], v[9:10], v[0:1]
	v_fma_f64 v[2:3], v[7:8], v[9:10], v[2:3]
	v_fma_f64 v[0:1], -v[7:8], v[11:12], v[0:1]
	s_delay_alu instid0(VALU_DEP_2)
	v_fma_f64 v[2:3], v[5:6], v[11:12], v[2:3]
	global_store_b128 v[13:14], v[0:3], off
.LBB540_43:
	s_nop 0
	s_sendmsg sendmsg(MSG_DEALLOC_VGPRS)
	s_endpgm
	.section	.rodata,"a",@progbits
	.p2align	6, 0x0
	.amdhsa_kernel _ZN9rocsparseL20bsrxmvn_17_32_kernelILj29E21rocsparse_complex_numIdEiiS1_IfES2_S2_EEvT2_20rocsparse_direction_NS_24const_host_device_scalarIT0_EES4_PKS4_PKT1_SD_SA_PKT3_PKT4_S8_PT5_21rocsparse_index_base_b
		.amdhsa_group_segment_fixed_size 26912
		.amdhsa_private_segment_fixed_size 0
		.amdhsa_kernarg_size 112
		.amdhsa_user_sgpr_count 15
		.amdhsa_user_sgpr_dispatch_ptr 1
		.amdhsa_user_sgpr_queue_ptr 0
		.amdhsa_user_sgpr_kernarg_segment_ptr 1
		.amdhsa_user_sgpr_dispatch_id 0
		.amdhsa_user_sgpr_private_segment_size 0
		.amdhsa_wavefront_size32 1
		.amdhsa_uses_dynamic_stack 0
		.amdhsa_enable_private_segment 0
		.amdhsa_system_sgpr_workgroup_id_x 1
		.amdhsa_system_sgpr_workgroup_id_y 0
		.amdhsa_system_sgpr_workgroup_id_z 0
		.amdhsa_system_sgpr_workgroup_info 0
		.amdhsa_system_vgpr_workitem_id 2
		.amdhsa_next_free_vgpr 26
		.amdhsa_next_free_sgpr 20
		.amdhsa_reserve_vcc 1
		.amdhsa_float_round_mode_32 0
		.amdhsa_float_round_mode_16_64 0
		.amdhsa_float_denorm_mode_32 3
		.amdhsa_float_denorm_mode_16_64 3
		.amdhsa_dx10_clamp 1
		.amdhsa_ieee_mode 1
		.amdhsa_fp16_overflow 0
		.amdhsa_workgroup_processor_mode 1
		.amdhsa_memory_ordered 1
		.amdhsa_forward_progress 0
		.amdhsa_shared_vgpr_count 0
		.amdhsa_exception_fp_ieee_invalid_op 0
		.amdhsa_exception_fp_denorm_src 0
		.amdhsa_exception_fp_ieee_div_zero 0
		.amdhsa_exception_fp_ieee_overflow 0
		.amdhsa_exception_fp_ieee_underflow 0
		.amdhsa_exception_fp_ieee_inexact 0
		.amdhsa_exception_int_div_zero 0
	.end_amdhsa_kernel
	.section	.text._ZN9rocsparseL20bsrxmvn_17_32_kernelILj29E21rocsparse_complex_numIdEiiS1_IfES2_S2_EEvT2_20rocsparse_direction_NS_24const_host_device_scalarIT0_EES4_PKS4_PKT1_SD_SA_PKT3_PKT4_S8_PT5_21rocsparse_index_base_b,"axG",@progbits,_ZN9rocsparseL20bsrxmvn_17_32_kernelILj29E21rocsparse_complex_numIdEiiS1_IfES2_S2_EEvT2_20rocsparse_direction_NS_24const_host_device_scalarIT0_EES4_PKS4_PKT1_SD_SA_PKT3_PKT4_S8_PT5_21rocsparse_index_base_b,comdat
.Lfunc_end540:
	.size	_ZN9rocsparseL20bsrxmvn_17_32_kernelILj29E21rocsparse_complex_numIdEiiS1_IfES2_S2_EEvT2_20rocsparse_direction_NS_24const_host_device_scalarIT0_EES4_PKS4_PKT1_SD_SA_PKT3_PKT4_S8_PT5_21rocsparse_index_base_b, .Lfunc_end540-_ZN9rocsparseL20bsrxmvn_17_32_kernelILj29E21rocsparse_complex_numIdEiiS1_IfES2_S2_EEvT2_20rocsparse_direction_NS_24const_host_device_scalarIT0_EES4_PKS4_PKT1_SD_SA_PKT3_PKT4_S8_PT5_21rocsparse_index_base_b
                                        ; -- End function
	.section	.AMDGPU.csdata,"",@progbits
; Kernel info:
; codeLenInByte = 2012
; NumSgprs: 22
; NumVgprs: 26
; ScratchSize: 0
; MemoryBound: 0
; FloatMode: 240
; IeeeMode: 1
; LDSByteSize: 26912 bytes/workgroup (compile time only)
; SGPRBlocks: 2
; VGPRBlocks: 3
; NumSGPRsForWavesPerEU: 22
; NumVGPRsForWavesPerEU: 26
; Occupancy: 14
; WaveLimiterHint : 1
; COMPUTE_PGM_RSRC2:SCRATCH_EN: 0
; COMPUTE_PGM_RSRC2:USER_SGPR: 15
; COMPUTE_PGM_RSRC2:TRAP_HANDLER: 0
; COMPUTE_PGM_RSRC2:TGID_X_EN: 1
; COMPUTE_PGM_RSRC2:TGID_Y_EN: 0
; COMPUTE_PGM_RSRC2:TGID_Z_EN: 0
; COMPUTE_PGM_RSRC2:TIDIG_COMP_CNT: 2
	.section	.text._ZN9rocsparseL20bsrxmvn_17_32_kernelILj30E21rocsparse_complex_numIdEiiS1_IfES2_S2_EEvT2_20rocsparse_direction_NS_24const_host_device_scalarIT0_EES4_PKS4_PKT1_SD_SA_PKT3_PKT4_S8_PT5_21rocsparse_index_base_b,"axG",@progbits,_ZN9rocsparseL20bsrxmvn_17_32_kernelILj30E21rocsparse_complex_numIdEiiS1_IfES2_S2_EEvT2_20rocsparse_direction_NS_24const_host_device_scalarIT0_EES4_PKS4_PKT1_SD_SA_PKT3_PKT4_S8_PT5_21rocsparse_index_base_b,comdat
	.globl	_ZN9rocsparseL20bsrxmvn_17_32_kernelILj30E21rocsparse_complex_numIdEiiS1_IfES2_S2_EEvT2_20rocsparse_direction_NS_24const_host_device_scalarIT0_EES4_PKS4_PKT1_SD_SA_PKT3_PKT4_S8_PT5_21rocsparse_index_base_b ; -- Begin function _ZN9rocsparseL20bsrxmvn_17_32_kernelILj30E21rocsparse_complex_numIdEiiS1_IfES2_S2_EEvT2_20rocsparse_direction_NS_24const_host_device_scalarIT0_EES4_PKS4_PKT1_SD_SA_PKT3_PKT4_S8_PT5_21rocsparse_index_base_b
	.p2align	8
	.type	_ZN9rocsparseL20bsrxmvn_17_32_kernelILj30E21rocsparse_complex_numIdEiiS1_IfES2_S2_EEvT2_20rocsparse_direction_NS_24const_host_device_scalarIT0_EES4_PKS4_PKT1_SD_SA_PKT3_PKT4_S8_PT5_21rocsparse_index_base_b,@function
_ZN9rocsparseL20bsrxmvn_17_32_kernelILj30E21rocsparse_complex_numIdEiiS1_IfES2_S2_EEvT2_20rocsparse_direction_NS_24const_host_device_scalarIT0_EES4_PKS4_PKT1_SD_SA_PKT3_PKT4_S8_PT5_21rocsparse_index_base_b: ; @_ZN9rocsparseL20bsrxmvn_17_32_kernelILj30E21rocsparse_complex_numIdEiiS1_IfES2_S2_EEvT2_20rocsparse_direction_NS_24const_host_device_scalarIT0_EES4_PKS4_PKT1_SD_SA_PKT3_PKT4_S8_PT5_21rocsparse_index_base_b
; %bb.0:
	s_mov_b32 s12, s15
	s_clause 0x1
	s_load_b64 s[14:15], s[2:3], 0x68
	s_load_b128 s[4:7], s[2:3], 0x8
	s_load_b64 s[16:17], s[0:1], 0x4
	s_mov_b64 s[0:1], src_shared_base
	v_and_b32_e32 v4, 0x3ff, v0
	s_load_b128 s[8:11], s[2:3], 0x50
	v_bfe_u32 v2, v0, 10, 10
	v_bfe_u32 v0, v0, 20, 10
	s_waitcnt lgkmcnt(0)
	s_bitcmp1_b32 s15, 0
	v_mov_b32_e32 v12, s7
	s_cselect_b32 s0, -1, 0
	v_mov_b32_e32 v11, s6
	s_and_b32 vcc_lo, s0, exec_lo
	s_cselect_b32 s13, s1, s5
	s_lshr_b32 s15, s16, 16
	v_mov_b32_e32 v6, s13
	s_mul_i32 s15, s15, s17
	s_xor_b32 s6, s0, -1
	v_mul_lo_u32 v1, s15, v4
	s_delay_alu instid0(VALU_DEP_1) | instskip(SKIP_1) | instid1(VALU_DEP_2)
	v_mad_u32_u24 v1, v2, s17, v1
	v_dual_mov_b32 v2, s8 :: v_dual_mov_b32 v3, s9
	v_add_lshl_u32 v7, v1, v0, 3
	v_dual_mov_b32 v0, s4 :: v_dual_mov_b32 v1, s5
	ds_store_b64 v7, v[0:1] offset:21600
	ds_store_b64 v7, v[2:3] offset:14400
	v_add_nc_u32_e32 v5, 0x5460, v7
	v_add_nc_u32_e32 v0, 0x3840, v7
	s_delay_alu instid0(VALU_DEP_2)
	v_cndmask_b32_e64 v5, s4, v5, s0
	flat_load_b64 v[9:10], v[5:6]
	s_cbranch_vccnz .LBB541_2
; %bb.1:
	v_dual_mov_b32 v1, s4 :: v_dual_mov_b32 v2, s5
	flat_load_b64 v[11:12], v[1:2] offset:8
.LBB541_2:
	s_and_b32 s4, s0, exec_lo
	s_cselect_b32 s1, s1, s9
	v_cndmask_b32_e64 v0, s8, v0, s0
	v_mov_b32_e32 v1, s1
	v_dual_mov_b32 v7, s10 :: v_dual_mov_b32 v8, s11
	s_and_not1_b32 vcc_lo, exec_lo, s6
	flat_load_b64 v[5:6], v[0:1]
	s_cbranch_vccnz .LBB541_4
; %bb.3:
	v_dual_mov_b32 v0, s8 :: v_dual_mov_b32 v1, s9
	flat_load_b64 v[7:8], v[0:1] offset:8
.LBB541_4:
	s_waitcnt vmcnt(1) lgkmcnt(1)
	v_cmp_eq_f64_e32 vcc_lo, 0, v[9:10]
	v_cmp_eq_f64_e64 s0, 0, v[11:12]
	s_delay_alu instid0(VALU_DEP_1)
	s_and_b32 s4, vcc_lo, s0
	s_mov_b32 s0, -1
	s_and_saveexec_b32 s1, s4
	s_cbranch_execz .LBB541_6
; %bb.5:
	s_waitcnt vmcnt(0) lgkmcnt(0)
	v_cmp_neq_f64_e32 vcc_lo, 1.0, v[5:6]
	v_cmp_neq_f64_e64 s0, 0, v[7:8]
	s_delay_alu instid0(VALU_DEP_1) | instskip(NEXT) | instid1(SALU_CYCLE_1)
	s_or_b32 s0, vcc_lo, s0
	s_or_not1_b32 s0, s0, exec_lo
.LBB541_6:
	s_or_b32 exec_lo, exec_lo, s1
	s_and_saveexec_b32 s1, s0
	s_cbranch_execz .LBB541_43
; %bb.7:
	s_clause 0x1
	s_load_b128 s[4:7], s[2:3], 0x20
	s_load_b64 s[0:1], s[2:3], 0x30
	s_waitcnt lgkmcnt(0)
	s_cmp_eq_u64 s[4:5], 0
	s_cbranch_scc1 .LBB541_9
; %bb.8:
	s_ashr_i32 s13, s12, 31
	s_delay_alu instid0(SALU_CYCLE_1) | instskip(NEXT) | instid1(SALU_CYCLE_1)
	s_lshl_b64 s[8:9], s[12:13], 2
	s_add_u32 s4, s4, s8
	s_addc_u32 s5, s5, s9
	s_load_b32 s4, s[4:5], 0x0
	s_waitcnt lgkmcnt(0)
	s_sub_i32 s12, s4, s14
.LBB541_9:
	s_load_b32 s4, s[2:3], 0x4
	v_mul_u32_u24_e32 v0, 0x889, v4
	v_mov_b32_e32 v2, 0
	v_mov_b32_e32 v3, 0
	s_delay_alu instid0(VALU_DEP_3) | instskip(NEXT) | instid1(VALU_DEP_1)
	v_lshrrev_b32_e32 v13, 16, v0
	v_mul_lo_u16 v0, v13, 30
	s_delay_alu instid0(VALU_DEP_1) | instskip(NEXT) | instid1(VALU_DEP_4)
	v_sub_nc_u16 v16, v4, v0
	v_dual_mov_b32 v0, v2 :: v_dual_mov_b32 v1, v3
	s_waitcnt lgkmcnt(0)
	s_cmp_eq_u32 s4, 1
	s_cselect_b32 vcc_lo, -1, 0
	s_cmp_lg_u32 s4, 1
	s_cselect_b32 s8, -1, 0
	s_ashr_i32 s13, s12, 31
	s_delay_alu instid0(SALU_CYCLE_1) | instskip(NEXT) | instid1(SALU_CYCLE_1)
	s_lshl_b64 s[4:5], s[12:13], 2
	s_add_u32 s6, s6, s4
	s_addc_u32 s7, s7, s5
	s_add_u32 s9, s6, 4
	s_addc_u32 s10, s7, 0
	;; [unrolled: 2-line block ×3, first 2 shown]
	s_cmp_eq_u64 s[0:1], 0
	s_cselect_b32 s1, s10, s5
	s_cselect_b32 s0, s9, s4
	s_load_b32 s6, s[6:7], 0x0
	s_load_b32 s7, s[0:1], 0x0
	s_load_b64 s[4:5], s[2:3], 0x60
	s_waitcnt lgkmcnt(0)
	s_cmp_ge_i32 s6, s7
	s_cbranch_scc1 .LBB541_14
; %bb.10:
	s_clause 0x1
	s_load_b128 s[16:19], s[2:3], 0x38
	s_load_b64 s[0:1], s[2:3], 0x48
	v_dual_mov_b32 v2, 0 :: v_dual_and_b32 v1, 0xffff, v13
	s_sub_i32 s2, s6, s14
	v_dual_mov_b32 v3, 0 :: v_dual_and_b32 v0, 0xffff, v16
	v_lshlrev_b32_e32 v14, 3, v4
	s_sub_i32 s9, s7, s14
	s_mul_i32 s7, s2, 0x1c20
	s_delay_alu instid0(VALU_DEP_2)
	v_cndmask_b32_e32 v13, v0, v1, vcc_lo
	s_ashr_i32 s3, s2, 31
	s_mul_hi_i32 s6, s2, 0x1c20
	v_dual_mov_b32 v0, v2 :: v_dual_mov_b32 v1, v3
	s_waitcnt lgkmcnt(0)
	s_add_u32 s10, s18, s7
	s_addc_u32 s11, s19, s6
	s_lshl_b64 s[6:7], s[2:3], 2
	v_add_co_u32 v14, s3, s10, v14
	s_delay_alu instid0(VALU_DEP_1)
	v_add_co_ci_u32_e64 v15, null, s11, 0, s3
	s_add_u32 s6, s16, s6
	s_addc_u32 s7, s17, s7
	s_set_inst_prefetch_distance 0x1
	s_branch .LBB541_12
	.p2align	6
.LBB541_11:                             ;   in Loop: Header=BB541_12 Depth=1
	s_add_i32 s2, s2, 1
	s_add_u32 s6, s6, 4
	s_addc_u32 s7, s7, 0
	s_cmp_lt_i32 s2, s9
	s_cbranch_scc0 .LBB541_14
.LBB541_12:                             ; =>This Inner Loop Header: Depth=1
	s_cmp_ge_i32 s2, s9
	s_cbranch_scc1 .LBB541_11
; %bb.13:                               ;   in Loop: Header=BB541_12 Depth=1
	s_load_b32 s3, s[6:7], 0x0
	global_load_b64 v[21:22], v[14:15], off
	s_waitcnt lgkmcnt(0)
	s_sub_i32 s3, s3, s14
	s_delay_alu instid0(SALU_CYCLE_1) | instskip(NEXT) | instid1(VALU_DEP_1)
	v_mad_u64_u32 v[17:18], null, s3, 30, v[13:14]
	v_ashrrev_i32_e32 v18, 31, v17
	s_delay_alu instid0(VALU_DEP_1) | instskip(NEXT) | instid1(VALU_DEP_1)
	v_lshlrev_b64 v[17:18], 4, v[17:18]
	v_add_co_u32 v17, vcc_lo, s0, v17
	s_delay_alu instid0(VALU_DEP_2)
	v_add_co_ci_u32_e32 v18, vcc_lo, s1, v18, vcc_lo
	v_add_co_u32 v14, vcc_lo, 0x1c20, v14
	v_add_co_ci_u32_e32 v15, vcc_lo, 0, v15, vcc_lo
	global_load_b128 v[17:20], v[17:18], off
	s_waitcnt vmcnt(1)
	v_cvt_f64_f32_e32 v[23:24], v21
	v_cvt_f64_f32_e32 v[21:22], v22
	s_waitcnt vmcnt(0)
	s_delay_alu instid0(VALU_DEP_2) | instskip(NEXT) | instid1(VALU_DEP_2)
	v_fma_f64 v[0:1], v[23:24], v[17:18], v[0:1]
	v_fma_f64 v[2:3], v[21:22], v[17:18], v[2:3]
	s_delay_alu instid0(VALU_DEP_2) | instskip(NEXT) | instid1(VALU_DEP_2)
	v_fma_f64 v[0:1], -v[21:22], v[19:20], v[0:1]
	v_fma_f64 v[2:3], v[23:24], v[19:20], v[2:3]
	s_branch .LBB541_11
.LBB541_14:
	s_set_inst_prefetch_distance 0x2
	v_lshlrev_b32_e32 v17, 4, v4
	s_and_b32 vcc_lo, exec_lo, s8
	ds_store_b128 v17, v[0:3]
	s_waitcnt vmcnt(0) lgkmcnt(0)
	s_barrier
	buffer_gl0_inv
	s_cbranch_vccz .LBB541_26
; %bb.15:
	s_mov_b32 s0, exec_lo
	v_cmpx_gt_u16_e32 14, v16
	s_cbranch_execz .LBB541_17
; %bb.16:
	ds_load_b128 v[18:21], v17 offset:256
	ds_load_b128 v[22:25], v17
	s_waitcnt lgkmcnt(0)
	v_add_f64 v[18:19], v[18:19], v[22:23]
	v_add_f64 v[20:21], v[20:21], v[24:25]
	ds_store_b128 v17, v[18:21]
.LBB541_17:
	s_or_b32 exec_lo, exec_lo, s0
	s_delay_alu instid0(SALU_CYCLE_1)
	s_mov_b32 s0, exec_lo
	s_waitcnt lgkmcnt(0)
	s_barrier
	buffer_gl0_inv
	v_cmpx_gt_u16_e32 8, v16
	s_cbranch_execz .LBB541_19
; %bb.18:
	ds_load_b128 v[18:21], v17 offset:128
	ds_load_b128 v[22:25], v17
	s_waitcnt lgkmcnt(0)
	v_add_f64 v[18:19], v[18:19], v[22:23]
	v_add_f64 v[20:21], v[20:21], v[24:25]
	ds_store_b128 v17, v[18:21]
.LBB541_19:
	s_or_b32 exec_lo, exec_lo, s0
	s_delay_alu instid0(SALU_CYCLE_1)
	s_mov_b32 s0, exec_lo
	s_waitcnt lgkmcnt(0)
	s_barrier
	buffer_gl0_inv
	;; [unrolled: 16-line block ×3, first 2 shown]
	v_cmpx_gt_u16_e32 2, v16
	s_cbranch_execz .LBB541_23
; %bb.22:
	ds_load_b128 v[13:16], v17
	ds_load_b128 v[18:21], v17 offset:32
	s_waitcnt lgkmcnt(0)
	v_add_f64 v[13:14], v[18:19], v[13:14]
	v_add_f64 v[15:16], v[20:21], v[15:16]
	ds_store_b128 v17, v[13:16]
.LBB541_23:
	s_or_b32 exec_lo, exec_lo, s0
	v_dual_mov_b32 v16, v3 :: v_dual_mov_b32 v15, v2
	v_dual_mov_b32 v14, v1 :: v_dual_mov_b32 v13, v0
	s_mov_b32 s0, exec_lo
	s_waitcnt lgkmcnt(0)
	s_barrier
	buffer_gl0_inv
	v_cmpx_gt_u32_e32 30, v4
	s_cbranch_execz .LBB541_25
; %bb.24:
	v_mul_u32_u24_e32 v13, 30, v4
	s_delay_alu instid0(VALU_DEP_1)
	v_lshlrev_b32_e32 v18, 4, v13
	ds_load_b128 v[13:16], v18
	ds_load_b128 v[18:21], v18 offset:16
	s_waitcnt lgkmcnt(0)
	v_add_f64 v[13:14], v[18:19], v[13:14]
	v_add_f64 v[15:16], v[20:21], v[15:16]
.LBB541_25:
	s_or_b32 exec_lo, exec_lo, s0
	s_branch .LBB541_38
.LBB541_26:
                                        ; implicit-def: $vgpr15_vgpr16
                                        ; implicit-def: $vgpr13_vgpr14
	s_cbranch_execz .LBB541_38
; %bb.27:
	s_mov_b32 s0, exec_lo
	v_cmpx_gt_u32_e32 0x1a4, v4
	s_cbranch_execz .LBB541_29
; %bb.28:
	ds_load_b128 v[13:16], v17 offset:7680
	ds_load_b128 v[18:21], v17
	s_waitcnt lgkmcnt(0)
	v_add_f64 v[13:14], v[13:14], v[18:19]
	v_add_f64 v[15:16], v[15:16], v[20:21]
	ds_store_b128 v17, v[13:16]
.LBB541_29:
	s_or_b32 exec_lo, exec_lo, s0
	s_delay_alu instid0(SALU_CYCLE_1)
	s_mov_b32 s0, exec_lo
	s_waitcnt lgkmcnt(0)
	s_barrier
	buffer_gl0_inv
	v_cmpx_gt_u32_e32 0xf0, v4
	s_cbranch_execz .LBB541_31
; %bb.30:
	ds_load_b128 v[13:16], v17 offset:3840
	ds_load_b128 v[18:21], v17
	s_waitcnt lgkmcnt(0)
	v_add_f64 v[13:14], v[13:14], v[18:19]
	v_add_f64 v[15:16], v[15:16], v[20:21]
	ds_store_b128 v17, v[13:16]
.LBB541_31:
	s_or_b32 exec_lo, exec_lo, s0
	s_delay_alu instid0(SALU_CYCLE_1)
	s_mov_b32 s0, exec_lo
	s_waitcnt lgkmcnt(0)
	s_barrier
	buffer_gl0_inv
	;; [unrolled: 16-line block ×3, first 2 shown]
	v_cmpx_gt_u32_e32 60, v4
	s_cbranch_execz .LBB541_35
; %bb.34:
	ds_load_b128 v[13:16], v17 offset:960
	ds_load_b128 v[18:21], v17
	s_waitcnt lgkmcnt(0)
	v_add_f64 v[13:14], v[13:14], v[18:19]
	v_add_f64 v[15:16], v[15:16], v[20:21]
	ds_store_b128 v17, v[13:16]
.LBB541_35:
	s_or_b32 exec_lo, exec_lo, s0
	s_delay_alu instid0(SALU_CYCLE_1)
	s_mov_b32 s0, exec_lo
	s_waitcnt lgkmcnt(0)
	buffer_gl0_inv
	v_cmpx_gt_u32_e32 30, v4
	s_cbranch_execz .LBB541_37
; %bb.36:
	ds_load_b128 v[0:3], v17 offset:480
	ds_load_b128 v[13:16], v17
	s_waitcnt lgkmcnt(0)
	v_add_f64 v[0:1], v[0:1], v[13:14]
	v_add_f64 v[2:3], v[2:3], v[15:16]
.LBB541_37:
	s_or_b32 exec_lo, exec_lo, s0
	s_delay_alu instid0(VALU_DEP_1) | instskip(NEXT) | instid1(VALU_DEP_3)
	v_dual_mov_b32 v16, v3 :: v_dual_mov_b32 v15, v2
	v_dual_mov_b32 v14, v1 :: v_dual_mov_b32 v13, v0
.LBB541_38:
	v_cmp_gt_u32_e32 vcc_lo, 30, v4
	s_and_b32 exec_lo, exec_lo, vcc_lo
	s_cbranch_execz .LBB541_43
; %bb.39:
	s_delay_alu instid0(VALU_DEP_2) | instskip(SKIP_3) | instid1(VALU_DEP_4)
	v_mul_f64 v[0:1], v[15:16], -v[11:12]
	v_mul_f64 v[2:3], v[9:10], v[15:16]
	v_cmp_eq_f64_e32 vcc_lo, 0, v[5:6]
	v_cmp_eq_f64_e64 s0, 0, v[7:8]
	v_fma_f64 v[0:1], v[9:10], v[13:14], v[0:1]
	s_delay_alu instid0(VALU_DEP_4) | instskip(NEXT) | instid1(VALU_DEP_3)
	v_fma_f64 v[2:3], v[11:12], v[13:14], v[2:3]
	s_and_b32 s0, vcc_lo, s0
	s_delay_alu instid0(SALU_CYCLE_1) | instskip(NEXT) | instid1(SALU_CYCLE_1)
	s_and_saveexec_b32 s1, s0
	s_xor_b32 s0, exec_lo, s1
	s_cbranch_execz .LBB541_41
; %bb.40:
	v_mad_u64_u32 v[5:6], null, s12, 30, v[4:5]
	v_mov_b32_e32 v6, 0
                                        ; implicit-def: $vgpr7_vgpr8
	s_delay_alu instid0(VALU_DEP_1) | instskip(NEXT) | instid1(VALU_DEP_1)
	v_lshlrev_b64 v[4:5], 4, v[5:6]
	v_add_co_u32 v4, vcc_lo, s4, v4
	s_delay_alu instid0(VALU_DEP_2)
	v_add_co_ci_u32_e32 v5, vcc_lo, s5, v5, vcc_lo
	global_store_b128 v[4:5], v[0:3], off
                                        ; implicit-def: $vgpr4
                                        ; implicit-def: $vgpr5_vgpr6
                                        ; implicit-def: $vgpr0_vgpr1
.LBB541_41:
	s_and_not1_saveexec_b32 s0, s0
	s_cbranch_execz .LBB541_43
; %bb.42:
	v_mad_u64_u32 v[9:10], null, s12, 30, v[4:5]
	v_mov_b32_e32 v10, 0
	s_delay_alu instid0(VALU_DEP_1) | instskip(NEXT) | instid1(VALU_DEP_1)
	v_lshlrev_b64 v[9:10], 4, v[9:10]
	v_add_co_u32 v13, vcc_lo, s4, v9
	s_delay_alu instid0(VALU_DEP_2) | instskip(SKIP_4) | instid1(VALU_DEP_2)
	v_add_co_ci_u32_e32 v14, vcc_lo, s5, v10, vcc_lo
	global_load_b128 v[9:12], v[13:14], off
	s_waitcnt vmcnt(0)
	v_fma_f64 v[0:1], v[5:6], v[9:10], v[0:1]
	v_fma_f64 v[2:3], v[7:8], v[9:10], v[2:3]
	v_fma_f64 v[0:1], -v[7:8], v[11:12], v[0:1]
	s_delay_alu instid0(VALU_DEP_2)
	v_fma_f64 v[2:3], v[5:6], v[11:12], v[2:3]
	global_store_b128 v[13:14], v[0:3], off
.LBB541_43:
	s_nop 0
	s_sendmsg sendmsg(MSG_DEALLOC_VGPRS)
	s_endpgm
	.section	.rodata,"a",@progbits
	.p2align	6, 0x0
	.amdhsa_kernel _ZN9rocsparseL20bsrxmvn_17_32_kernelILj30E21rocsparse_complex_numIdEiiS1_IfES2_S2_EEvT2_20rocsparse_direction_NS_24const_host_device_scalarIT0_EES4_PKS4_PKT1_SD_SA_PKT3_PKT4_S8_PT5_21rocsparse_index_base_b
		.amdhsa_group_segment_fixed_size 28800
		.amdhsa_private_segment_fixed_size 0
		.amdhsa_kernarg_size 112
		.amdhsa_user_sgpr_count 15
		.amdhsa_user_sgpr_dispatch_ptr 1
		.amdhsa_user_sgpr_queue_ptr 0
		.amdhsa_user_sgpr_kernarg_segment_ptr 1
		.amdhsa_user_sgpr_dispatch_id 0
		.amdhsa_user_sgpr_private_segment_size 0
		.amdhsa_wavefront_size32 1
		.amdhsa_uses_dynamic_stack 0
		.amdhsa_enable_private_segment 0
		.amdhsa_system_sgpr_workgroup_id_x 1
		.amdhsa_system_sgpr_workgroup_id_y 0
		.amdhsa_system_sgpr_workgroup_id_z 0
		.amdhsa_system_sgpr_workgroup_info 0
		.amdhsa_system_vgpr_workitem_id 2
		.amdhsa_next_free_vgpr 26
		.amdhsa_next_free_sgpr 20
		.amdhsa_reserve_vcc 1
		.amdhsa_float_round_mode_32 0
		.amdhsa_float_round_mode_16_64 0
		.amdhsa_float_denorm_mode_32 3
		.amdhsa_float_denorm_mode_16_64 3
		.amdhsa_dx10_clamp 1
		.amdhsa_ieee_mode 1
		.amdhsa_fp16_overflow 0
		.amdhsa_workgroup_processor_mode 1
		.amdhsa_memory_ordered 1
		.amdhsa_forward_progress 0
		.amdhsa_shared_vgpr_count 0
		.amdhsa_exception_fp_ieee_invalid_op 0
		.amdhsa_exception_fp_denorm_src 0
		.amdhsa_exception_fp_ieee_div_zero 0
		.amdhsa_exception_fp_ieee_overflow 0
		.amdhsa_exception_fp_ieee_underflow 0
		.amdhsa_exception_fp_ieee_inexact 0
		.amdhsa_exception_int_div_zero 0
	.end_amdhsa_kernel
	.section	.text._ZN9rocsparseL20bsrxmvn_17_32_kernelILj30E21rocsparse_complex_numIdEiiS1_IfES2_S2_EEvT2_20rocsparse_direction_NS_24const_host_device_scalarIT0_EES4_PKS4_PKT1_SD_SA_PKT3_PKT4_S8_PT5_21rocsparse_index_base_b,"axG",@progbits,_ZN9rocsparseL20bsrxmvn_17_32_kernelILj30E21rocsparse_complex_numIdEiiS1_IfES2_S2_EEvT2_20rocsparse_direction_NS_24const_host_device_scalarIT0_EES4_PKS4_PKT1_SD_SA_PKT3_PKT4_S8_PT5_21rocsparse_index_base_b,comdat
.Lfunc_end541:
	.size	_ZN9rocsparseL20bsrxmvn_17_32_kernelILj30E21rocsparse_complex_numIdEiiS1_IfES2_S2_EEvT2_20rocsparse_direction_NS_24const_host_device_scalarIT0_EES4_PKS4_PKT1_SD_SA_PKT3_PKT4_S8_PT5_21rocsparse_index_base_b, .Lfunc_end541-_ZN9rocsparseL20bsrxmvn_17_32_kernelILj30E21rocsparse_complex_numIdEiiS1_IfES2_S2_EEvT2_20rocsparse_direction_NS_24const_host_device_scalarIT0_EES4_PKS4_PKT1_SD_SA_PKT3_PKT4_S8_PT5_21rocsparse_index_base_b
                                        ; -- End function
	.section	.AMDGPU.csdata,"",@progbits
; Kernel info:
; codeLenInByte = 2012
; NumSgprs: 22
; NumVgprs: 26
; ScratchSize: 0
; MemoryBound: 0
; FloatMode: 240
; IeeeMode: 1
; LDSByteSize: 28800 bytes/workgroup (compile time only)
; SGPRBlocks: 2
; VGPRBlocks: 3
; NumSGPRsForWavesPerEU: 22
; NumVGPRsForWavesPerEU: 26
; Occupancy: 15
; WaveLimiterHint : 1
; COMPUTE_PGM_RSRC2:SCRATCH_EN: 0
; COMPUTE_PGM_RSRC2:USER_SGPR: 15
; COMPUTE_PGM_RSRC2:TRAP_HANDLER: 0
; COMPUTE_PGM_RSRC2:TGID_X_EN: 1
; COMPUTE_PGM_RSRC2:TGID_Y_EN: 0
; COMPUTE_PGM_RSRC2:TGID_Z_EN: 0
; COMPUTE_PGM_RSRC2:TIDIG_COMP_CNT: 2
	.section	.text._ZN9rocsparseL20bsrxmvn_17_32_kernelILj31E21rocsparse_complex_numIdEiiS1_IfES2_S2_EEvT2_20rocsparse_direction_NS_24const_host_device_scalarIT0_EES4_PKS4_PKT1_SD_SA_PKT3_PKT4_S8_PT5_21rocsparse_index_base_b,"axG",@progbits,_ZN9rocsparseL20bsrxmvn_17_32_kernelILj31E21rocsparse_complex_numIdEiiS1_IfES2_S2_EEvT2_20rocsparse_direction_NS_24const_host_device_scalarIT0_EES4_PKS4_PKT1_SD_SA_PKT3_PKT4_S8_PT5_21rocsparse_index_base_b,comdat
	.globl	_ZN9rocsparseL20bsrxmvn_17_32_kernelILj31E21rocsparse_complex_numIdEiiS1_IfES2_S2_EEvT2_20rocsparse_direction_NS_24const_host_device_scalarIT0_EES4_PKS4_PKT1_SD_SA_PKT3_PKT4_S8_PT5_21rocsparse_index_base_b ; -- Begin function _ZN9rocsparseL20bsrxmvn_17_32_kernelILj31E21rocsparse_complex_numIdEiiS1_IfES2_S2_EEvT2_20rocsparse_direction_NS_24const_host_device_scalarIT0_EES4_PKS4_PKT1_SD_SA_PKT3_PKT4_S8_PT5_21rocsparse_index_base_b
	.p2align	8
	.type	_ZN9rocsparseL20bsrxmvn_17_32_kernelILj31E21rocsparse_complex_numIdEiiS1_IfES2_S2_EEvT2_20rocsparse_direction_NS_24const_host_device_scalarIT0_EES4_PKS4_PKT1_SD_SA_PKT3_PKT4_S8_PT5_21rocsparse_index_base_b,@function
_ZN9rocsparseL20bsrxmvn_17_32_kernelILj31E21rocsparse_complex_numIdEiiS1_IfES2_S2_EEvT2_20rocsparse_direction_NS_24const_host_device_scalarIT0_EES4_PKS4_PKT1_SD_SA_PKT3_PKT4_S8_PT5_21rocsparse_index_base_b: ; @_ZN9rocsparseL20bsrxmvn_17_32_kernelILj31E21rocsparse_complex_numIdEiiS1_IfES2_S2_EEvT2_20rocsparse_direction_NS_24const_host_device_scalarIT0_EES4_PKS4_PKT1_SD_SA_PKT3_PKT4_S8_PT5_21rocsparse_index_base_b
; %bb.0:
	s_mov_b32 s12, s15
	s_clause 0x1
	s_load_b64 s[14:15], s[2:3], 0x68
	s_load_b128 s[4:7], s[2:3], 0x8
	s_load_b64 s[16:17], s[0:1], 0x4
	s_mov_b64 s[0:1], src_shared_base
	v_and_b32_e32 v4, 0x3ff, v0
	s_load_b128 s[8:11], s[2:3], 0x50
	v_bfe_u32 v2, v0, 10, 10
	v_bfe_u32 v0, v0, 20, 10
	s_waitcnt lgkmcnt(0)
	s_bitcmp1_b32 s15, 0
	v_mov_b32_e32 v12, s7
	s_cselect_b32 s0, -1, 0
	v_mov_b32_e32 v11, s6
	s_and_b32 vcc_lo, s0, exec_lo
	s_cselect_b32 s13, s1, s5
	s_lshr_b32 s15, s16, 16
	v_mov_b32_e32 v6, s13
	s_mul_i32 s15, s15, s17
	s_xor_b32 s6, s0, -1
	v_mul_lo_u32 v1, s15, v4
	s_delay_alu instid0(VALU_DEP_1) | instskip(SKIP_1) | instid1(VALU_DEP_2)
	v_mad_u32_u24 v1, v2, s17, v1
	v_dual_mov_b32 v2, s8 :: v_dual_mov_b32 v3, s9
	v_add_lshl_u32 v7, v1, v0, 3
	v_dual_mov_b32 v0, s4 :: v_dual_mov_b32 v1, s5
	ds_store_b64 v7, v[0:1] offset:23064
	ds_store_b64 v7, v[2:3] offset:15376
	v_add_nc_u32_e32 v5, 0x5a18, v7
	v_add_nc_u32_e32 v0, 0x3c10, v7
	s_delay_alu instid0(VALU_DEP_2)
	v_cndmask_b32_e64 v5, s4, v5, s0
	flat_load_b64 v[9:10], v[5:6]
	s_cbranch_vccnz .LBB542_2
; %bb.1:
	v_dual_mov_b32 v1, s4 :: v_dual_mov_b32 v2, s5
	flat_load_b64 v[11:12], v[1:2] offset:8
.LBB542_2:
	s_and_b32 s4, s0, exec_lo
	s_cselect_b32 s1, s1, s9
	v_cndmask_b32_e64 v0, s8, v0, s0
	v_mov_b32_e32 v1, s1
	v_dual_mov_b32 v7, s10 :: v_dual_mov_b32 v8, s11
	s_and_not1_b32 vcc_lo, exec_lo, s6
	flat_load_b64 v[5:6], v[0:1]
	s_cbranch_vccnz .LBB542_4
; %bb.3:
	v_dual_mov_b32 v0, s8 :: v_dual_mov_b32 v1, s9
	flat_load_b64 v[7:8], v[0:1] offset:8
.LBB542_4:
	s_waitcnt vmcnt(1) lgkmcnt(1)
	v_cmp_eq_f64_e32 vcc_lo, 0, v[9:10]
	v_cmp_eq_f64_e64 s0, 0, v[11:12]
	s_delay_alu instid0(VALU_DEP_1)
	s_and_b32 s4, vcc_lo, s0
	s_mov_b32 s0, -1
	s_and_saveexec_b32 s1, s4
	s_cbranch_execz .LBB542_6
; %bb.5:
	s_waitcnt vmcnt(0) lgkmcnt(0)
	v_cmp_neq_f64_e32 vcc_lo, 1.0, v[5:6]
	v_cmp_neq_f64_e64 s0, 0, v[7:8]
	s_delay_alu instid0(VALU_DEP_1) | instskip(NEXT) | instid1(SALU_CYCLE_1)
	s_or_b32 s0, vcc_lo, s0
	s_or_not1_b32 s0, s0, exec_lo
.LBB542_6:
	s_or_b32 exec_lo, exec_lo, s1
	s_and_saveexec_b32 s1, s0
	s_cbranch_execz .LBB542_43
; %bb.7:
	s_clause 0x1
	s_load_b128 s[4:7], s[2:3], 0x20
	s_load_b64 s[0:1], s[2:3], 0x30
	s_waitcnt lgkmcnt(0)
	s_cmp_eq_u64 s[4:5], 0
	s_cbranch_scc1 .LBB542_9
; %bb.8:
	s_ashr_i32 s13, s12, 31
	s_delay_alu instid0(SALU_CYCLE_1) | instskip(NEXT) | instid1(SALU_CYCLE_1)
	s_lshl_b64 s[8:9], s[12:13], 2
	s_add_u32 s4, s4, s8
	s_addc_u32 s5, s5, s9
	s_load_b32 s4, s[4:5], 0x0
	s_waitcnt lgkmcnt(0)
	s_sub_i32 s12, s4, s14
.LBB542_9:
	s_load_b32 s4, s[2:3], 0x4
	v_mul_u32_u24_e32 v0, 0x843, v4
	v_mov_b32_e32 v2, 0
	v_mov_b32_e32 v3, 0
	s_delay_alu instid0(VALU_DEP_3) | instskip(NEXT) | instid1(VALU_DEP_1)
	v_lshrrev_b32_e32 v13, 16, v0
	v_mul_lo_u16 v0, v13, 31
	s_delay_alu instid0(VALU_DEP_1) | instskip(NEXT) | instid1(VALU_DEP_4)
	v_sub_nc_u16 v16, v4, v0
	v_dual_mov_b32 v0, v2 :: v_dual_mov_b32 v1, v3
	s_waitcnt lgkmcnt(0)
	s_cmp_eq_u32 s4, 1
	s_cselect_b32 vcc_lo, -1, 0
	s_cmp_lg_u32 s4, 1
	s_cselect_b32 s8, -1, 0
	s_ashr_i32 s13, s12, 31
	s_delay_alu instid0(SALU_CYCLE_1) | instskip(NEXT) | instid1(SALU_CYCLE_1)
	s_lshl_b64 s[4:5], s[12:13], 2
	s_add_u32 s6, s6, s4
	s_addc_u32 s7, s7, s5
	s_add_u32 s9, s6, 4
	s_addc_u32 s10, s7, 0
	s_add_u32 s4, s0, s4
	s_addc_u32 s5, s1, s5
	s_cmp_eq_u64 s[0:1], 0
	s_cselect_b32 s1, s10, s5
	s_cselect_b32 s0, s9, s4
	s_load_b32 s6, s[6:7], 0x0
	s_load_b32 s7, s[0:1], 0x0
	s_load_b64 s[4:5], s[2:3], 0x60
	s_waitcnt lgkmcnt(0)
	s_cmp_ge_i32 s6, s7
	s_cbranch_scc1 .LBB542_14
; %bb.10:
	s_clause 0x1
	s_load_b128 s[16:19], s[2:3], 0x38
	s_load_b64 s[0:1], s[2:3], 0x48
	v_dual_mov_b32 v2, 0 :: v_dual_and_b32 v1, 0xffff, v13
	s_sub_i32 s2, s6, s14
	v_dual_mov_b32 v3, 0 :: v_dual_and_b32 v0, 0xffff, v16
	v_lshlrev_b32_e32 v14, 3, v4
	s_sub_i32 s9, s7, s14
	s_mul_i32 s7, s2, 0x1e08
	s_delay_alu instid0(VALU_DEP_2)
	v_cndmask_b32_e32 v13, v0, v1, vcc_lo
	s_ashr_i32 s3, s2, 31
	s_mul_hi_i32 s6, s2, 0x1e08
	v_dual_mov_b32 v0, v2 :: v_dual_mov_b32 v1, v3
	s_waitcnt lgkmcnt(0)
	s_add_u32 s10, s18, s7
	s_addc_u32 s11, s19, s6
	s_lshl_b64 s[6:7], s[2:3], 2
	v_add_co_u32 v14, s3, s10, v14
	s_delay_alu instid0(VALU_DEP_1)
	v_add_co_ci_u32_e64 v15, null, s11, 0, s3
	s_add_u32 s6, s16, s6
	s_addc_u32 s7, s17, s7
	s_set_inst_prefetch_distance 0x1
	s_branch .LBB542_12
	.p2align	6
.LBB542_11:                             ;   in Loop: Header=BB542_12 Depth=1
	s_add_i32 s2, s2, 1
	s_add_u32 s6, s6, 4
	s_addc_u32 s7, s7, 0
	s_cmp_lt_i32 s2, s9
	s_cbranch_scc0 .LBB542_14
.LBB542_12:                             ; =>This Inner Loop Header: Depth=1
	s_cmp_ge_i32 s2, s9
	s_cbranch_scc1 .LBB542_11
; %bb.13:                               ;   in Loop: Header=BB542_12 Depth=1
	s_load_b32 s3, s[6:7], 0x0
	global_load_b64 v[21:22], v[14:15], off
	s_waitcnt lgkmcnt(0)
	s_sub_i32 s3, s3, s14
	s_delay_alu instid0(SALU_CYCLE_1) | instskip(NEXT) | instid1(VALU_DEP_1)
	v_mad_u64_u32 v[17:18], null, s3, 31, v[13:14]
	v_ashrrev_i32_e32 v18, 31, v17
	s_delay_alu instid0(VALU_DEP_1) | instskip(NEXT) | instid1(VALU_DEP_1)
	v_lshlrev_b64 v[17:18], 4, v[17:18]
	v_add_co_u32 v17, vcc_lo, s0, v17
	s_delay_alu instid0(VALU_DEP_2)
	v_add_co_ci_u32_e32 v18, vcc_lo, s1, v18, vcc_lo
	v_add_co_u32 v14, vcc_lo, 0x1e08, v14
	v_add_co_ci_u32_e32 v15, vcc_lo, 0, v15, vcc_lo
	global_load_b128 v[17:20], v[17:18], off
	s_waitcnt vmcnt(1)
	v_cvt_f64_f32_e32 v[23:24], v21
	v_cvt_f64_f32_e32 v[21:22], v22
	s_waitcnt vmcnt(0)
	s_delay_alu instid0(VALU_DEP_2) | instskip(NEXT) | instid1(VALU_DEP_2)
	v_fma_f64 v[0:1], v[23:24], v[17:18], v[0:1]
	v_fma_f64 v[2:3], v[21:22], v[17:18], v[2:3]
	s_delay_alu instid0(VALU_DEP_2) | instskip(NEXT) | instid1(VALU_DEP_2)
	v_fma_f64 v[0:1], -v[21:22], v[19:20], v[0:1]
	v_fma_f64 v[2:3], v[23:24], v[19:20], v[2:3]
	s_branch .LBB542_11
.LBB542_14:
	s_set_inst_prefetch_distance 0x2
	v_lshlrev_b32_e32 v17, 4, v4
	s_and_b32 vcc_lo, exec_lo, s8
	ds_store_b128 v17, v[0:3]
	s_waitcnt vmcnt(0) lgkmcnt(0)
	s_barrier
	buffer_gl0_inv
	s_cbranch_vccz .LBB542_26
; %bb.15:
	s_mov_b32 s0, exec_lo
	v_cmpx_gt_u16_e32 15, v16
	s_cbranch_execz .LBB542_17
; %bb.16:
	ds_load_b128 v[18:21], v17 offset:256
	ds_load_b128 v[22:25], v17
	s_waitcnt lgkmcnt(0)
	v_add_f64 v[18:19], v[18:19], v[22:23]
	v_add_f64 v[20:21], v[20:21], v[24:25]
	ds_store_b128 v17, v[18:21]
.LBB542_17:
	s_or_b32 exec_lo, exec_lo, s0
	s_delay_alu instid0(SALU_CYCLE_1)
	s_mov_b32 s0, exec_lo
	s_waitcnt lgkmcnt(0)
	s_barrier
	buffer_gl0_inv
	v_cmpx_gt_u16_e32 8, v16
	s_cbranch_execz .LBB542_19
; %bb.18:
	ds_load_b128 v[18:21], v17 offset:128
	ds_load_b128 v[22:25], v17
	s_waitcnt lgkmcnt(0)
	v_add_f64 v[18:19], v[18:19], v[22:23]
	v_add_f64 v[20:21], v[20:21], v[24:25]
	ds_store_b128 v17, v[18:21]
.LBB542_19:
	s_or_b32 exec_lo, exec_lo, s0
	s_delay_alu instid0(SALU_CYCLE_1)
	s_mov_b32 s0, exec_lo
	s_waitcnt lgkmcnt(0)
	s_barrier
	buffer_gl0_inv
	;; [unrolled: 16-line block ×3, first 2 shown]
	v_cmpx_gt_u16_e32 2, v16
	s_cbranch_execz .LBB542_23
; %bb.22:
	ds_load_b128 v[13:16], v17
	ds_load_b128 v[18:21], v17 offset:32
	s_waitcnt lgkmcnt(0)
	v_add_f64 v[13:14], v[18:19], v[13:14]
	v_add_f64 v[15:16], v[20:21], v[15:16]
	ds_store_b128 v17, v[13:16]
.LBB542_23:
	s_or_b32 exec_lo, exec_lo, s0
	v_dual_mov_b32 v16, v3 :: v_dual_mov_b32 v15, v2
	v_dual_mov_b32 v14, v1 :: v_dual_mov_b32 v13, v0
	s_mov_b32 s0, exec_lo
	s_waitcnt lgkmcnt(0)
	s_barrier
	buffer_gl0_inv
	v_cmpx_gt_u32_e32 31, v4
	s_cbranch_execz .LBB542_25
; %bb.24:
	v_mul_u32_u24_e32 v13, 31, v4
	s_delay_alu instid0(VALU_DEP_1)
	v_lshlrev_b32_e32 v18, 4, v13
	ds_load_b128 v[13:16], v18
	ds_load_b128 v[18:21], v18 offset:16
	s_waitcnt lgkmcnt(0)
	v_add_f64 v[13:14], v[18:19], v[13:14]
	v_add_f64 v[15:16], v[20:21], v[15:16]
.LBB542_25:
	s_or_b32 exec_lo, exec_lo, s0
	s_branch .LBB542_38
.LBB542_26:
                                        ; implicit-def: $vgpr15_vgpr16
                                        ; implicit-def: $vgpr13_vgpr14
	s_cbranch_execz .LBB542_38
; %bb.27:
	s_mov_b32 s0, exec_lo
	v_cmpx_gt_u32_e32 0x1d1, v4
	s_cbranch_execz .LBB542_29
; %bb.28:
	ds_load_b128 v[13:16], v17 offset:7936
	ds_load_b128 v[18:21], v17
	s_waitcnt lgkmcnt(0)
	v_add_f64 v[13:14], v[13:14], v[18:19]
	v_add_f64 v[15:16], v[15:16], v[20:21]
	ds_store_b128 v17, v[13:16]
.LBB542_29:
	s_or_b32 exec_lo, exec_lo, s0
	s_delay_alu instid0(SALU_CYCLE_1)
	s_mov_b32 s0, exec_lo
	s_waitcnt lgkmcnt(0)
	s_barrier
	buffer_gl0_inv
	v_cmpx_gt_u32_e32 0xf8, v4
	s_cbranch_execz .LBB542_31
; %bb.30:
	ds_load_b128 v[13:16], v17 offset:3968
	ds_load_b128 v[18:21], v17
	s_waitcnt lgkmcnt(0)
	v_add_f64 v[13:14], v[13:14], v[18:19]
	v_add_f64 v[15:16], v[15:16], v[20:21]
	ds_store_b128 v17, v[13:16]
.LBB542_31:
	s_or_b32 exec_lo, exec_lo, s0
	s_delay_alu instid0(SALU_CYCLE_1)
	s_mov_b32 s0, exec_lo
	s_waitcnt lgkmcnt(0)
	s_barrier
	buffer_gl0_inv
	;; [unrolled: 16-line block ×3, first 2 shown]
	v_cmpx_gt_u32_e32 62, v4
	s_cbranch_execz .LBB542_35
; %bb.34:
	ds_load_b128 v[13:16], v17 offset:992
	ds_load_b128 v[18:21], v17
	s_waitcnt lgkmcnt(0)
	v_add_f64 v[13:14], v[13:14], v[18:19]
	v_add_f64 v[15:16], v[15:16], v[20:21]
	ds_store_b128 v17, v[13:16]
.LBB542_35:
	s_or_b32 exec_lo, exec_lo, s0
	s_delay_alu instid0(SALU_CYCLE_1)
	s_mov_b32 s0, exec_lo
	s_waitcnt lgkmcnt(0)
	buffer_gl0_inv
	v_cmpx_gt_u32_e32 31, v4
	s_cbranch_execz .LBB542_37
; %bb.36:
	ds_load_b128 v[0:3], v17 offset:496
	ds_load_b128 v[13:16], v17
	s_waitcnt lgkmcnt(0)
	v_add_f64 v[0:1], v[0:1], v[13:14]
	v_add_f64 v[2:3], v[2:3], v[15:16]
.LBB542_37:
	s_or_b32 exec_lo, exec_lo, s0
	s_delay_alu instid0(VALU_DEP_1) | instskip(NEXT) | instid1(VALU_DEP_3)
	v_dual_mov_b32 v16, v3 :: v_dual_mov_b32 v15, v2
	v_dual_mov_b32 v14, v1 :: v_dual_mov_b32 v13, v0
.LBB542_38:
	v_cmp_gt_u32_e32 vcc_lo, 31, v4
	s_and_b32 exec_lo, exec_lo, vcc_lo
	s_cbranch_execz .LBB542_43
; %bb.39:
	s_delay_alu instid0(VALU_DEP_2) | instskip(SKIP_3) | instid1(VALU_DEP_4)
	v_mul_f64 v[0:1], v[15:16], -v[11:12]
	v_mul_f64 v[2:3], v[9:10], v[15:16]
	v_cmp_eq_f64_e32 vcc_lo, 0, v[5:6]
	v_cmp_eq_f64_e64 s0, 0, v[7:8]
	v_fma_f64 v[0:1], v[9:10], v[13:14], v[0:1]
	s_delay_alu instid0(VALU_DEP_4) | instskip(NEXT) | instid1(VALU_DEP_3)
	v_fma_f64 v[2:3], v[11:12], v[13:14], v[2:3]
	s_and_b32 s0, vcc_lo, s0
	s_delay_alu instid0(SALU_CYCLE_1) | instskip(NEXT) | instid1(SALU_CYCLE_1)
	s_and_saveexec_b32 s1, s0
	s_xor_b32 s0, exec_lo, s1
	s_cbranch_execz .LBB542_41
; %bb.40:
	v_mad_u64_u32 v[5:6], null, s12, 31, v[4:5]
	v_mov_b32_e32 v6, 0
                                        ; implicit-def: $vgpr7_vgpr8
	s_delay_alu instid0(VALU_DEP_1) | instskip(NEXT) | instid1(VALU_DEP_1)
	v_lshlrev_b64 v[4:5], 4, v[5:6]
	v_add_co_u32 v4, vcc_lo, s4, v4
	s_delay_alu instid0(VALU_DEP_2)
	v_add_co_ci_u32_e32 v5, vcc_lo, s5, v5, vcc_lo
	global_store_b128 v[4:5], v[0:3], off
                                        ; implicit-def: $vgpr4
                                        ; implicit-def: $vgpr5_vgpr6
                                        ; implicit-def: $vgpr0_vgpr1
.LBB542_41:
	s_and_not1_saveexec_b32 s0, s0
	s_cbranch_execz .LBB542_43
; %bb.42:
	v_mad_u64_u32 v[9:10], null, s12, 31, v[4:5]
	v_mov_b32_e32 v10, 0
	s_delay_alu instid0(VALU_DEP_1) | instskip(NEXT) | instid1(VALU_DEP_1)
	v_lshlrev_b64 v[9:10], 4, v[9:10]
	v_add_co_u32 v13, vcc_lo, s4, v9
	s_delay_alu instid0(VALU_DEP_2) | instskip(SKIP_4) | instid1(VALU_DEP_2)
	v_add_co_ci_u32_e32 v14, vcc_lo, s5, v10, vcc_lo
	global_load_b128 v[9:12], v[13:14], off
	s_waitcnt vmcnt(0)
	v_fma_f64 v[0:1], v[5:6], v[9:10], v[0:1]
	v_fma_f64 v[2:3], v[7:8], v[9:10], v[2:3]
	v_fma_f64 v[0:1], -v[7:8], v[11:12], v[0:1]
	s_delay_alu instid0(VALU_DEP_2)
	v_fma_f64 v[2:3], v[5:6], v[11:12], v[2:3]
	global_store_b128 v[13:14], v[0:3], off
.LBB542_43:
	s_nop 0
	s_sendmsg sendmsg(MSG_DEALLOC_VGPRS)
	s_endpgm
	.section	.rodata,"a",@progbits
	.p2align	6, 0x0
	.amdhsa_kernel _ZN9rocsparseL20bsrxmvn_17_32_kernelILj31E21rocsparse_complex_numIdEiiS1_IfES2_S2_EEvT2_20rocsparse_direction_NS_24const_host_device_scalarIT0_EES4_PKS4_PKT1_SD_SA_PKT3_PKT4_S8_PT5_21rocsparse_index_base_b
		.amdhsa_group_segment_fixed_size 30752
		.amdhsa_private_segment_fixed_size 0
		.amdhsa_kernarg_size 112
		.amdhsa_user_sgpr_count 15
		.amdhsa_user_sgpr_dispatch_ptr 1
		.amdhsa_user_sgpr_queue_ptr 0
		.amdhsa_user_sgpr_kernarg_segment_ptr 1
		.amdhsa_user_sgpr_dispatch_id 0
		.amdhsa_user_sgpr_private_segment_size 0
		.amdhsa_wavefront_size32 1
		.amdhsa_uses_dynamic_stack 0
		.amdhsa_enable_private_segment 0
		.amdhsa_system_sgpr_workgroup_id_x 1
		.amdhsa_system_sgpr_workgroup_id_y 0
		.amdhsa_system_sgpr_workgroup_id_z 0
		.amdhsa_system_sgpr_workgroup_info 0
		.amdhsa_system_vgpr_workitem_id 2
		.amdhsa_next_free_vgpr 26
		.amdhsa_next_free_sgpr 20
		.amdhsa_reserve_vcc 1
		.amdhsa_float_round_mode_32 0
		.amdhsa_float_round_mode_16_64 0
		.amdhsa_float_denorm_mode_32 3
		.amdhsa_float_denorm_mode_16_64 3
		.amdhsa_dx10_clamp 1
		.amdhsa_ieee_mode 1
		.amdhsa_fp16_overflow 0
		.amdhsa_workgroup_processor_mode 1
		.amdhsa_memory_ordered 1
		.amdhsa_forward_progress 0
		.amdhsa_shared_vgpr_count 0
		.amdhsa_exception_fp_ieee_invalid_op 0
		.amdhsa_exception_fp_denorm_src 0
		.amdhsa_exception_fp_ieee_div_zero 0
		.amdhsa_exception_fp_ieee_overflow 0
		.amdhsa_exception_fp_ieee_underflow 0
		.amdhsa_exception_fp_ieee_inexact 0
		.amdhsa_exception_int_div_zero 0
	.end_amdhsa_kernel
	.section	.text._ZN9rocsparseL20bsrxmvn_17_32_kernelILj31E21rocsparse_complex_numIdEiiS1_IfES2_S2_EEvT2_20rocsparse_direction_NS_24const_host_device_scalarIT0_EES4_PKS4_PKT1_SD_SA_PKT3_PKT4_S8_PT5_21rocsparse_index_base_b,"axG",@progbits,_ZN9rocsparseL20bsrxmvn_17_32_kernelILj31E21rocsparse_complex_numIdEiiS1_IfES2_S2_EEvT2_20rocsparse_direction_NS_24const_host_device_scalarIT0_EES4_PKS4_PKT1_SD_SA_PKT3_PKT4_S8_PT5_21rocsparse_index_base_b,comdat
.Lfunc_end542:
	.size	_ZN9rocsparseL20bsrxmvn_17_32_kernelILj31E21rocsparse_complex_numIdEiiS1_IfES2_S2_EEvT2_20rocsparse_direction_NS_24const_host_device_scalarIT0_EES4_PKS4_PKT1_SD_SA_PKT3_PKT4_S8_PT5_21rocsparse_index_base_b, .Lfunc_end542-_ZN9rocsparseL20bsrxmvn_17_32_kernelILj31E21rocsparse_complex_numIdEiiS1_IfES2_S2_EEvT2_20rocsparse_direction_NS_24const_host_device_scalarIT0_EES4_PKS4_PKT1_SD_SA_PKT3_PKT4_S8_PT5_21rocsparse_index_base_b
                                        ; -- End function
	.section	.AMDGPU.csdata,"",@progbits
; Kernel info:
; codeLenInByte = 2012
; NumSgprs: 22
; NumVgprs: 26
; ScratchSize: 0
; MemoryBound: 0
; FloatMode: 240
; IeeeMode: 1
; LDSByteSize: 30752 bytes/workgroup (compile time only)
; SGPRBlocks: 2
; VGPRBlocks: 3
; NumSGPRsForWavesPerEU: 22
; NumVGPRsForWavesPerEU: 26
; Occupancy: 16
; WaveLimiterHint : 1
; COMPUTE_PGM_RSRC2:SCRATCH_EN: 0
; COMPUTE_PGM_RSRC2:USER_SGPR: 15
; COMPUTE_PGM_RSRC2:TRAP_HANDLER: 0
; COMPUTE_PGM_RSRC2:TGID_X_EN: 1
; COMPUTE_PGM_RSRC2:TGID_Y_EN: 0
; COMPUTE_PGM_RSRC2:TGID_Z_EN: 0
; COMPUTE_PGM_RSRC2:TIDIG_COMP_CNT: 2
	.section	.text._ZN9rocsparseL20bsrxmvn_17_32_kernelILj32E21rocsparse_complex_numIdEiiS1_IfES2_S2_EEvT2_20rocsparse_direction_NS_24const_host_device_scalarIT0_EES4_PKS4_PKT1_SD_SA_PKT3_PKT4_S8_PT5_21rocsparse_index_base_b,"axG",@progbits,_ZN9rocsparseL20bsrxmvn_17_32_kernelILj32E21rocsparse_complex_numIdEiiS1_IfES2_S2_EEvT2_20rocsparse_direction_NS_24const_host_device_scalarIT0_EES4_PKS4_PKT1_SD_SA_PKT3_PKT4_S8_PT5_21rocsparse_index_base_b,comdat
	.globl	_ZN9rocsparseL20bsrxmvn_17_32_kernelILj32E21rocsparse_complex_numIdEiiS1_IfES2_S2_EEvT2_20rocsparse_direction_NS_24const_host_device_scalarIT0_EES4_PKS4_PKT1_SD_SA_PKT3_PKT4_S8_PT5_21rocsparse_index_base_b ; -- Begin function _ZN9rocsparseL20bsrxmvn_17_32_kernelILj32E21rocsparse_complex_numIdEiiS1_IfES2_S2_EEvT2_20rocsparse_direction_NS_24const_host_device_scalarIT0_EES4_PKS4_PKT1_SD_SA_PKT3_PKT4_S8_PT5_21rocsparse_index_base_b
	.p2align	8
	.type	_ZN9rocsparseL20bsrxmvn_17_32_kernelILj32E21rocsparse_complex_numIdEiiS1_IfES2_S2_EEvT2_20rocsparse_direction_NS_24const_host_device_scalarIT0_EES4_PKS4_PKT1_SD_SA_PKT3_PKT4_S8_PT5_21rocsparse_index_base_b,@function
_ZN9rocsparseL20bsrxmvn_17_32_kernelILj32E21rocsparse_complex_numIdEiiS1_IfES2_S2_EEvT2_20rocsparse_direction_NS_24const_host_device_scalarIT0_EES4_PKS4_PKT1_SD_SA_PKT3_PKT4_S8_PT5_21rocsparse_index_base_b: ; @_ZN9rocsparseL20bsrxmvn_17_32_kernelILj32E21rocsparse_complex_numIdEiiS1_IfES2_S2_EEvT2_20rocsparse_direction_NS_24const_host_device_scalarIT0_EES4_PKS4_PKT1_SD_SA_PKT3_PKT4_S8_PT5_21rocsparse_index_base_b
; %bb.0:
	s_mov_b32 s12, s15
	s_clause 0x1
	s_load_b64 s[14:15], s[2:3], 0x68
	s_load_b128 s[4:7], s[2:3], 0x8
	s_load_b64 s[16:17], s[0:1], 0x4
	s_mov_b64 s[0:1], src_shared_base
	v_and_b32_e32 v16, 0x3ff, v0
	s_load_b128 s[8:11], s[2:3], 0x50
	v_bfe_u32 v2, v0, 10, 10
	v_bfe_u32 v0, v0, 20, 10
	s_waitcnt lgkmcnt(0)
	s_bitcmp1_b32 s15, 0
	v_mov_b32_e32 v11, s7
	s_cselect_b32 s0, -1, 0
	v_mov_b32_e32 v10, s6
	s_and_b32 vcc_lo, s0, exec_lo
	s_cselect_b32 s13, s1, s5
	s_lshr_b32 s15, s16, 16
	s_xor_b32 s6, s0, -1
	s_mul_i32 s15, s15, s17
	v_mov_b32_e32 v5, s13
	v_mul_lo_u32 v1, s15, v16
	s_delay_alu instid0(VALU_DEP_1) | instskip(SKIP_1) | instid1(VALU_DEP_2)
	v_mad_u32_u24 v1, v2, s17, v1
	v_dual_mov_b32 v2, s8 :: v_dual_mov_b32 v3, s9
	v_add_lshl_u32 v6, v1, v0, 3
	v_dual_mov_b32 v0, s4 :: v_dual_mov_b32 v1, s5
	s_delay_alu instid0(VALU_DEP_2)
	v_add_nc_u32_e32 v4, 0x6000, v6
	ds_store_2addr_stride64_b64 v6, v[2:3], v[0:1] offset0:32 offset1:48
	v_add_nc_u32_e32 v0, 0x4000, v6
	v_cndmask_b32_e64 v4, s4, v4, s0
	flat_load_b64 v[8:9], v[4:5]
	s_cbranch_vccnz .LBB543_2
; %bb.1:
	v_dual_mov_b32 v1, s4 :: v_dual_mov_b32 v2, s5
	flat_load_b64 v[10:11], v[1:2] offset:8
.LBB543_2:
	s_and_b32 s4, s0, exec_lo
	s_cselect_b32 s1, s1, s9
	v_cndmask_b32_e64 v0, s8, v0, s0
	v_dual_mov_b32 v1, s1 :: v_dual_mov_b32 v6, s10
	v_mov_b32_e32 v7, s11
	s_and_not1_b32 vcc_lo, exec_lo, s6
	flat_load_b64 v[4:5], v[0:1]
	s_cbranch_vccnz .LBB543_4
; %bb.3:
	v_dual_mov_b32 v0, s8 :: v_dual_mov_b32 v1, s9
	flat_load_b64 v[6:7], v[0:1] offset:8
.LBB543_4:
	s_waitcnt vmcnt(1) lgkmcnt(1)
	v_cmp_eq_f64_e32 vcc_lo, 0, v[8:9]
	v_cmp_eq_f64_e64 s0, 0, v[10:11]
	s_delay_alu instid0(VALU_DEP_1)
	s_and_b32 s4, vcc_lo, s0
	s_mov_b32 s0, -1
	s_and_saveexec_b32 s1, s4
	s_cbranch_execz .LBB543_6
; %bb.5:
	s_waitcnt vmcnt(0) lgkmcnt(0)
	v_cmp_neq_f64_e32 vcc_lo, 1.0, v[4:5]
	v_cmp_neq_f64_e64 s0, 0, v[6:7]
	s_delay_alu instid0(VALU_DEP_1) | instskip(NEXT) | instid1(SALU_CYCLE_1)
	s_or_b32 s0, vcc_lo, s0
	s_or_not1_b32 s0, s0, exec_lo
.LBB543_6:
	s_or_b32 exec_lo, exec_lo, s1
	s_and_saveexec_b32 s1, s0
	s_cbranch_execz .LBB543_41
; %bb.7:
	s_clause 0x1
	s_load_b128 s[4:7], s[2:3], 0x20
	s_load_b64 s[0:1], s[2:3], 0x30
	s_waitcnt lgkmcnt(0)
	s_cmp_eq_u64 s[4:5], 0
	s_cbranch_scc1 .LBB543_9
; %bb.8:
	s_ashr_i32 s13, s12, 31
	s_delay_alu instid0(SALU_CYCLE_1) | instskip(NEXT) | instid1(SALU_CYCLE_1)
	s_lshl_b64 s[8:9], s[12:13], 2
	s_add_u32 s4, s4, s8
	s_addc_u32 s5, s5, s9
	s_load_b32 s4, s[4:5], 0x0
	s_waitcnt lgkmcnt(0)
	s_sub_i32 s12, s4, s14
.LBB543_9:
	s_load_b32 s4, s[2:3], 0x4
	v_mov_b32_e32 v2, 0
	v_dual_mov_b32 v3, 0 :: v_dual_and_b32 v14, 31, v16
	s_delay_alu instid0(VALU_DEP_1)
	v_dual_mov_b32 v0, v2 :: v_dual_mov_b32 v1, v3
	s_waitcnt lgkmcnt(0)
	s_cmp_eq_u32 s4, 1
	s_cselect_b32 vcc_lo, -1, 0
	s_cmp_lg_u32 s4, 1
	s_cselect_b32 s8, -1, 0
	s_ashr_i32 s13, s12, 31
	s_delay_alu instid0(SALU_CYCLE_1) | instskip(NEXT) | instid1(SALU_CYCLE_1)
	s_lshl_b64 s[4:5], s[12:13], 2
	s_add_u32 s6, s6, s4
	s_addc_u32 s7, s7, s5
	s_add_u32 s9, s6, 4
	s_addc_u32 s10, s7, 0
	;; [unrolled: 2-line block ×3, first 2 shown]
	s_cmp_eq_u64 s[0:1], 0
	s_cselect_b32 s1, s10, s5
	s_cselect_b32 s0, s9, s4
	s_load_b32 s7, s[6:7], 0x0
	s_load_b32 s6, s[0:1], 0x0
	s_load_b64 s[4:5], s[2:3], 0x60
	s_waitcnt lgkmcnt(0)
	s_cmp_ge_i32 s7, s6
	s_cbranch_scc1 .LBB543_12
; %bb.10:
	s_clause 0x1
	s_load_b128 s[16:19], s[2:3], 0x38
	s_load_b64 s[0:1], s[2:3], 0x48
	s_sub_i32 s2, s7, s14
	v_lshrrev_b32_e32 v0, 5, v16
	s_ashr_i32 s3, s2, 31
	s_delay_alu instid0(SALU_CYCLE_1) | instskip(NEXT) | instid1(SALU_CYCLE_1)
	s_lshl_b64 s[10:11], s[2:3], 13
	v_dual_mov_b32 v2, 0 :: v_dual_mov_b32 v13, s11
	v_lshl_or_b32 v1, v16, 3, s10
	v_mov_b32_e32 v3, 0
	v_cndmask_b32_e32 v15, v14, v0, vcc_lo
	s_lshl_b64 s[20:21], s[2:3], 2
	s_sub_i32 s3, s6, s14
	s_waitcnt lgkmcnt(0)
	v_add_co_u32 v12, vcc_lo, s18, v1
	v_add_co_ci_u32_e32 v13, vcc_lo, s19, v13, vcc_lo
	v_dual_mov_b32 v0, v2 :: v_dual_mov_b32 v1, v3
	s_add_u32 s6, s16, s20
	s_addc_u32 s7, s17, s21
	s_set_inst_prefetch_distance 0x1
	.p2align	6
.LBB543_11:                             ; =>This Inner Loop Header: Depth=1
	s_load_b32 s9, s[6:7], 0x0
	global_load_b64 v[21:22], v[12:13], off
	s_add_i32 s2, s2, 1
	s_waitcnt lgkmcnt(0)
	s_sub_i32 s9, s9, s14
	s_add_u32 s6, s6, 4
	v_lshl_or_b32 v17, s9, 5, v15
	s_addc_u32 s7, s7, 0
	s_cmp_lt_i32 s2, s3
	s_delay_alu instid0(VALU_DEP_1) | instskip(NEXT) | instid1(VALU_DEP_1)
	v_ashrrev_i32_e32 v18, 31, v17
	v_lshlrev_b64 v[17:18], 4, v[17:18]
	s_delay_alu instid0(VALU_DEP_1) | instskip(NEXT) | instid1(VALU_DEP_2)
	v_add_co_u32 v17, vcc_lo, s0, v17
	v_add_co_ci_u32_e32 v18, vcc_lo, s1, v18, vcc_lo
	v_add_co_u32 v12, vcc_lo, 0x2000, v12
	v_add_co_ci_u32_e32 v13, vcc_lo, 0, v13, vcc_lo
	global_load_b128 v[17:20], v[17:18], off
	s_waitcnt vmcnt(1)
	v_cvt_f64_f32_e32 v[23:24], v21
	v_cvt_f64_f32_e32 v[21:22], v22
	s_waitcnt vmcnt(0)
	s_delay_alu instid0(VALU_DEP_2) | instskip(NEXT) | instid1(VALU_DEP_2)
	v_fma_f64 v[0:1], v[23:24], v[17:18], v[0:1]
	v_fma_f64 v[2:3], v[21:22], v[17:18], v[2:3]
	s_delay_alu instid0(VALU_DEP_2) | instskip(NEXT) | instid1(VALU_DEP_2)
	v_fma_f64 v[0:1], -v[21:22], v[19:20], v[0:1]
	v_fma_f64 v[2:3], v[23:24], v[19:20], v[2:3]
	s_cbranch_scc1 .LBB543_11
.LBB543_12:
	s_set_inst_prefetch_distance 0x2
	v_lshlrev_b32_e32 v17, 4, v16
	s_and_b32 vcc_lo, exec_lo, s8
	ds_store_b128 v17, v[0:3]
	s_waitcnt vmcnt(0) lgkmcnt(0)
	s_barrier
	buffer_gl0_inv
	s_cbranch_vccz .LBB543_24
; %bb.13:
	s_mov_b32 s0, exec_lo
	v_cmpx_gt_u32_e32 16, v14
	s_cbranch_execz .LBB543_15
; %bb.14:
	ds_load_b128 v[18:21], v17 offset:256
	ds_load_b128 v[22:25], v17
	s_waitcnt lgkmcnt(0)
	v_add_f64 v[18:19], v[18:19], v[22:23]
	v_add_f64 v[20:21], v[20:21], v[24:25]
	ds_store_b128 v17, v[18:21]
.LBB543_15:
	s_or_b32 exec_lo, exec_lo, s0
	s_delay_alu instid0(SALU_CYCLE_1)
	s_mov_b32 s0, exec_lo
	s_waitcnt lgkmcnt(0)
	s_barrier
	buffer_gl0_inv
	v_cmpx_gt_u32_e32 8, v14
	s_cbranch_execz .LBB543_17
; %bb.16:
	ds_load_b128 v[18:21], v17 offset:128
	ds_load_b128 v[22:25], v17
	s_waitcnt lgkmcnt(0)
	v_add_f64 v[18:19], v[18:19], v[22:23]
	v_add_f64 v[20:21], v[20:21], v[24:25]
	ds_store_b128 v17, v[18:21]
.LBB543_17:
	s_or_b32 exec_lo, exec_lo, s0
	s_delay_alu instid0(SALU_CYCLE_1)
	s_mov_b32 s0, exec_lo
	s_waitcnt lgkmcnt(0)
	s_barrier
	buffer_gl0_inv
	;; [unrolled: 16-line block ×3, first 2 shown]
	v_cmpx_gt_u32_e32 2, v14
	s_cbranch_execz .LBB543_21
; %bb.20:
	ds_load_b128 v[12:15], v17
	ds_load_b128 v[18:21], v17 offset:32
	s_waitcnt lgkmcnt(0)
	v_add_f64 v[12:13], v[18:19], v[12:13]
	v_add_f64 v[14:15], v[20:21], v[14:15]
	ds_store_b128 v17, v[12:15]
.LBB543_21:
	s_or_b32 exec_lo, exec_lo, s0
	v_dual_mov_b32 v15, v3 :: v_dual_mov_b32 v14, v2
	v_dual_mov_b32 v13, v1 :: v_dual_mov_b32 v12, v0
	s_mov_b32 s0, exec_lo
	s_waitcnt lgkmcnt(0)
	s_barrier
	buffer_gl0_inv
	v_cmpx_gt_u32_e32 32, v16
	s_cbranch_execz .LBB543_23
; %bb.22:
	v_mad_u32_u24 v18, 0x1f0, v16, v17
	ds_load_b128 v[12:15], v18
	ds_load_b128 v[18:21], v18 offset:16
	s_waitcnt lgkmcnt(0)
	v_add_f64 v[12:13], v[18:19], v[12:13]
	v_add_f64 v[14:15], v[20:21], v[14:15]
.LBB543_23:
	s_or_b32 exec_lo, exec_lo, s0
	s_branch .LBB543_36
.LBB543_24:
                                        ; implicit-def: $vgpr14_vgpr15
                                        ; implicit-def: $vgpr12_vgpr13
	s_cbranch_execz .LBB543_36
; %bb.25:
	s_mov_b32 s0, exec_lo
	v_cmpx_gt_u32_e32 0x200, v16
	s_cbranch_execz .LBB543_27
; %bb.26:
	ds_load_b128 v[12:15], v17 offset:8192
	ds_load_b128 v[18:21], v17
	s_waitcnt lgkmcnt(0)
	v_add_f64 v[12:13], v[12:13], v[18:19]
	v_add_f64 v[14:15], v[14:15], v[20:21]
	ds_store_b128 v17, v[12:15]
.LBB543_27:
	s_or_b32 exec_lo, exec_lo, s0
	s_delay_alu instid0(SALU_CYCLE_1)
	s_mov_b32 s0, exec_lo
	s_waitcnt lgkmcnt(0)
	s_barrier
	buffer_gl0_inv
	v_cmpx_gt_u32_e32 0x100, v16
	s_cbranch_execz .LBB543_29
; %bb.28:
	ds_load_b128 v[12:15], v17 offset:4096
	ds_load_b128 v[18:21], v17
	s_waitcnt lgkmcnt(0)
	v_add_f64 v[12:13], v[12:13], v[18:19]
	v_add_f64 v[14:15], v[14:15], v[20:21]
	ds_store_b128 v17, v[12:15]
.LBB543_29:
	s_or_b32 exec_lo, exec_lo, s0
	s_delay_alu instid0(SALU_CYCLE_1)
	s_mov_b32 s0, exec_lo
	s_waitcnt lgkmcnt(0)
	s_barrier
	buffer_gl0_inv
	;; [unrolled: 16-line block ×3, first 2 shown]
	v_cmpx_gt_u32_e32 64, v16
	s_cbranch_execz .LBB543_33
; %bb.32:
	ds_load_b128 v[12:15], v17 offset:1024
	ds_load_b128 v[18:21], v17
	s_waitcnt lgkmcnt(0)
	v_add_f64 v[12:13], v[12:13], v[18:19]
	v_add_f64 v[14:15], v[14:15], v[20:21]
	ds_store_b128 v17, v[12:15]
.LBB543_33:
	s_or_b32 exec_lo, exec_lo, s0
	s_delay_alu instid0(SALU_CYCLE_1)
	s_mov_b32 s0, exec_lo
	s_waitcnt lgkmcnt(0)
	buffer_gl0_inv
	v_cmpx_gt_u32_e32 32, v16
	s_cbranch_execz .LBB543_35
; %bb.34:
	ds_load_b128 v[0:3], v17 offset:512
	ds_load_b128 v[12:15], v17
	s_waitcnt lgkmcnt(0)
	v_add_f64 v[0:1], v[0:1], v[12:13]
	v_add_f64 v[2:3], v[2:3], v[14:15]
.LBB543_35:
	s_or_b32 exec_lo, exec_lo, s0
	s_delay_alu instid0(VALU_DEP_1) | instskip(NEXT) | instid1(VALU_DEP_3)
	v_dual_mov_b32 v15, v3 :: v_dual_mov_b32 v14, v2
	v_dual_mov_b32 v13, v1 :: v_dual_mov_b32 v12, v0
.LBB543_36:
	v_cmp_gt_u32_e32 vcc_lo, 32, v16
	s_and_b32 exec_lo, exec_lo, vcc_lo
	s_cbranch_execz .LBB543_41
; %bb.37:
	s_delay_alu instid0(VALU_DEP_2) | instskip(SKIP_3) | instid1(VALU_DEP_4)
	v_mul_f64 v[0:1], v[14:15], -v[10:11]
	v_mul_f64 v[2:3], v[8:9], v[14:15]
	v_cmp_eq_f64_e32 vcc_lo, 0, v[4:5]
	v_cmp_eq_f64_e64 s0, 0, v[6:7]
	v_fma_f64 v[0:1], v[8:9], v[12:13], v[0:1]
	s_delay_alu instid0(VALU_DEP_4) | instskip(SKIP_1) | instid1(VALU_DEP_4)
	v_fma_f64 v[2:3], v[10:11], v[12:13], v[2:3]
	v_lshl_or_b32 v8, s12, 5, v16
	s_and_b32 s0, vcc_lo, s0
	s_delay_alu instid0(SALU_CYCLE_1) | instskip(NEXT) | instid1(SALU_CYCLE_1)
	s_and_saveexec_b32 s1, s0
	s_xor_b32 s0, exec_lo, s1
	s_cbranch_execz .LBB543_39
; %bb.38:
	v_mov_b32_e32 v9, 0
                                        ; implicit-def: $vgpr6_vgpr7
	s_delay_alu instid0(VALU_DEP_1) | instskip(NEXT) | instid1(VALU_DEP_1)
	v_lshlrev_b64 v[4:5], 4, v[8:9]
                                        ; implicit-def: $vgpr8
	v_add_co_u32 v4, vcc_lo, s4, v4
	s_delay_alu instid0(VALU_DEP_2)
	v_add_co_ci_u32_e32 v5, vcc_lo, s5, v5, vcc_lo
	global_store_b128 v[4:5], v[0:3], off
                                        ; implicit-def: $vgpr4_vgpr5
                                        ; implicit-def: $vgpr0_vgpr1
.LBB543_39:
	s_and_not1_saveexec_b32 s0, s0
	s_cbranch_execz .LBB543_41
; %bb.40:
	v_mov_b32_e32 v9, 0
	s_delay_alu instid0(VALU_DEP_1) | instskip(NEXT) | instid1(VALU_DEP_1)
	v_lshlrev_b64 v[8:9], 4, v[8:9]
	v_add_co_u32 v12, vcc_lo, s4, v8
	s_delay_alu instid0(VALU_DEP_2) | instskip(SKIP_4) | instid1(VALU_DEP_2)
	v_add_co_ci_u32_e32 v13, vcc_lo, s5, v9, vcc_lo
	global_load_b128 v[8:11], v[12:13], off
	s_waitcnt vmcnt(0)
	v_fma_f64 v[0:1], v[4:5], v[8:9], v[0:1]
	v_fma_f64 v[2:3], v[6:7], v[8:9], v[2:3]
	v_fma_f64 v[0:1], -v[6:7], v[10:11], v[0:1]
	s_delay_alu instid0(VALU_DEP_2)
	v_fma_f64 v[2:3], v[4:5], v[10:11], v[2:3]
	global_store_b128 v[12:13], v[0:3], off
.LBB543_41:
	s_nop 0
	s_sendmsg sendmsg(MSG_DEALLOC_VGPRS)
	s_endpgm
	.section	.rodata,"a",@progbits
	.p2align	6, 0x0
	.amdhsa_kernel _ZN9rocsparseL20bsrxmvn_17_32_kernelILj32E21rocsparse_complex_numIdEiiS1_IfES2_S2_EEvT2_20rocsparse_direction_NS_24const_host_device_scalarIT0_EES4_PKS4_PKT1_SD_SA_PKT3_PKT4_S8_PT5_21rocsparse_index_base_b
		.amdhsa_group_segment_fixed_size 32768
		.amdhsa_private_segment_fixed_size 0
		.amdhsa_kernarg_size 112
		.amdhsa_user_sgpr_count 15
		.amdhsa_user_sgpr_dispatch_ptr 1
		.amdhsa_user_sgpr_queue_ptr 0
		.amdhsa_user_sgpr_kernarg_segment_ptr 1
		.amdhsa_user_sgpr_dispatch_id 0
		.amdhsa_user_sgpr_private_segment_size 0
		.amdhsa_wavefront_size32 1
		.amdhsa_uses_dynamic_stack 0
		.amdhsa_enable_private_segment 0
		.amdhsa_system_sgpr_workgroup_id_x 1
		.amdhsa_system_sgpr_workgroup_id_y 0
		.amdhsa_system_sgpr_workgroup_id_z 0
		.amdhsa_system_sgpr_workgroup_info 0
		.amdhsa_system_vgpr_workitem_id 2
		.amdhsa_next_free_vgpr 26
		.amdhsa_next_free_sgpr 22
		.amdhsa_reserve_vcc 1
		.amdhsa_float_round_mode_32 0
		.amdhsa_float_round_mode_16_64 0
		.amdhsa_float_denorm_mode_32 3
		.amdhsa_float_denorm_mode_16_64 3
		.amdhsa_dx10_clamp 1
		.amdhsa_ieee_mode 1
		.amdhsa_fp16_overflow 0
		.amdhsa_workgroup_processor_mode 1
		.amdhsa_memory_ordered 1
		.amdhsa_forward_progress 0
		.amdhsa_shared_vgpr_count 0
		.amdhsa_exception_fp_ieee_invalid_op 0
		.amdhsa_exception_fp_denorm_src 0
		.amdhsa_exception_fp_ieee_div_zero 0
		.amdhsa_exception_fp_ieee_overflow 0
		.amdhsa_exception_fp_ieee_underflow 0
		.amdhsa_exception_fp_ieee_inexact 0
		.amdhsa_exception_int_div_zero 0
	.end_amdhsa_kernel
	.section	.text._ZN9rocsparseL20bsrxmvn_17_32_kernelILj32E21rocsparse_complex_numIdEiiS1_IfES2_S2_EEvT2_20rocsparse_direction_NS_24const_host_device_scalarIT0_EES4_PKS4_PKT1_SD_SA_PKT3_PKT4_S8_PT5_21rocsparse_index_base_b,"axG",@progbits,_ZN9rocsparseL20bsrxmvn_17_32_kernelILj32E21rocsparse_complex_numIdEiiS1_IfES2_S2_EEvT2_20rocsparse_direction_NS_24const_host_device_scalarIT0_EES4_PKS4_PKT1_SD_SA_PKT3_PKT4_S8_PT5_21rocsparse_index_base_b,comdat
.Lfunc_end543:
	.size	_ZN9rocsparseL20bsrxmvn_17_32_kernelILj32E21rocsparse_complex_numIdEiiS1_IfES2_S2_EEvT2_20rocsparse_direction_NS_24const_host_device_scalarIT0_EES4_PKS4_PKT1_SD_SA_PKT3_PKT4_S8_PT5_21rocsparse_index_base_b, .Lfunc_end543-_ZN9rocsparseL20bsrxmvn_17_32_kernelILj32E21rocsparse_complex_numIdEiiS1_IfES2_S2_EEvT2_20rocsparse_direction_NS_24const_host_device_scalarIT0_EES4_PKS4_PKT1_SD_SA_PKT3_PKT4_S8_PT5_21rocsparse_index_base_b
                                        ; -- End function
	.section	.AMDGPU.csdata,"",@progbits
; Kernel info:
; codeLenInByte = 1916
; NumSgprs: 24
; NumVgprs: 26
; ScratchSize: 0
; MemoryBound: 0
; FloatMode: 240
; IeeeMode: 1
; LDSByteSize: 32768 bytes/workgroup (compile time only)
; SGPRBlocks: 2
; VGPRBlocks: 3
; NumSGPRsForWavesPerEU: 24
; NumVGPRsForWavesPerEU: 26
; Occupancy: 16
; WaveLimiterHint : 1
; COMPUTE_PGM_RSRC2:SCRATCH_EN: 0
; COMPUTE_PGM_RSRC2:USER_SGPR: 15
; COMPUTE_PGM_RSRC2:TRAP_HANDLER: 0
; COMPUTE_PGM_RSRC2:TGID_X_EN: 1
; COMPUTE_PGM_RSRC2:TGID_Y_EN: 0
; COMPUTE_PGM_RSRC2:TGID_Z_EN: 0
; COMPUTE_PGM_RSRC2:TIDIG_COMP_CNT: 2
	.section	.text._ZN9rocsparseL20bsrxmvn_17_32_kernelILj17E21rocsparse_complex_numIdEliS1_IfES2_S2_EEvT2_20rocsparse_direction_NS_24const_host_device_scalarIT0_EES4_PKS4_PKT1_SD_SA_PKT3_PKT4_S8_PT5_21rocsparse_index_base_b,"axG",@progbits,_ZN9rocsparseL20bsrxmvn_17_32_kernelILj17E21rocsparse_complex_numIdEliS1_IfES2_S2_EEvT2_20rocsparse_direction_NS_24const_host_device_scalarIT0_EES4_PKS4_PKT1_SD_SA_PKT3_PKT4_S8_PT5_21rocsparse_index_base_b,comdat
	.globl	_ZN9rocsparseL20bsrxmvn_17_32_kernelILj17E21rocsparse_complex_numIdEliS1_IfES2_S2_EEvT2_20rocsparse_direction_NS_24const_host_device_scalarIT0_EES4_PKS4_PKT1_SD_SA_PKT3_PKT4_S8_PT5_21rocsparse_index_base_b ; -- Begin function _ZN9rocsparseL20bsrxmvn_17_32_kernelILj17E21rocsparse_complex_numIdEliS1_IfES2_S2_EEvT2_20rocsparse_direction_NS_24const_host_device_scalarIT0_EES4_PKS4_PKT1_SD_SA_PKT3_PKT4_S8_PT5_21rocsparse_index_base_b
	.p2align	8
	.type	_ZN9rocsparseL20bsrxmvn_17_32_kernelILj17E21rocsparse_complex_numIdEliS1_IfES2_S2_EEvT2_20rocsparse_direction_NS_24const_host_device_scalarIT0_EES4_PKS4_PKT1_SD_SA_PKT3_PKT4_S8_PT5_21rocsparse_index_base_b,@function
_ZN9rocsparseL20bsrxmvn_17_32_kernelILj17E21rocsparse_complex_numIdEliS1_IfES2_S2_EEvT2_20rocsparse_direction_NS_24const_host_device_scalarIT0_EES4_PKS4_PKT1_SD_SA_PKT3_PKT4_S8_PT5_21rocsparse_index_base_b: ; @_ZN9rocsparseL20bsrxmvn_17_32_kernelILj17E21rocsparse_complex_numIdEliS1_IfES2_S2_EEvT2_20rocsparse_direction_NS_24const_host_device_scalarIT0_EES4_PKS4_PKT1_SD_SA_PKT3_PKT4_S8_PT5_21rocsparse_index_base_b
; %bb.0:
	s_mov_b32 s12, s15
	s_clause 0x1
	s_load_b64 s[14:15], s[2:3], 0x68
	s_load_b128 s[4:7], s[2:3], 0x8
	s_load_b64 s[16:17], s[0:1], 0x4
	s_mov_b64 s[0:1], src_shared_base
	v_and_b32_e32 v4, 0x3ff, v0
	s_load_b128 s[8:11], s[2:3], 0x50
	v_bfe_u32 v2, v0, 10, 10
	v_bfe_u32 v0, v0, 20, 10
	s_waitcnt lgkmcnt(0)
	s_bitcmp1_b32 s15, 0
	v_mov_b32_e32 v12, s7
	s_cselect_b32 s0, -1, 0
	v_mov_b32_e32 v11, s6
	s_and_b32 vcc_lo, s0, exec_lo
	s_cselect_b32 s13, s1, s5
	s_lshr_b32 s15, s16, 16
	v_mov_b32_e32 v6, s13
	s_mul_i32 s15, s15, s17
	s_xor_b32 s6, s0, -1
	v_mul_lo_u32 v1, s15, v4
	s_delay_alu instid0(VALU_DEP_1) | instskip(SKIP_1) | instid1(VALU_DEP_2)
	v_mad_u32_u24 v1, v2, s17, v1
	v_dual_mov_b32 v2, s8 :: v_dual_mov_b32 v3, s9
	v_add_lshl_u32 v7, v1, v0, 3
	v_dual_mov_b32 v0, s4 :: v_dual_mov_b32 v1, s5
	ds_store_b64 v7, v[0:1] offset:6936
	ds_store_b64 v7, v[2:3] offset:4624
	v_add_nc_u32_e32 v5, 0x1b18, v7
	v_add_nc_u32_e32 v0, 0x1210, v7
	s_delay_alu instid0(VALU_DEP_2)
	v_cndmask_b32_e64 v5, s4, v5, s0
	flat_load_b64 v[9:10], v[5:6]
	s_cbranch_vccnz .LBB544_2
; %bb.1:
	v_dual_mov_b32 v1, s4 :: v_dual_mov_b32 v2, s5
	flat_load_b64 v[11:12], v[1:2] offset:8
.LBB544_2:
	s_and_b32 s4, s0, exec_lo
	s_cselect_b32 s1, s1, s9
	v_cndmask_b32_e64 v0, s8, v0, s0
	v_mov_b32_e32 v1, s1
	v_dual_mov_b32 v7, s10 :: v_dual_mov_b32 v8, s11
	s_and_not1_b32 vcc_lo, exec_lo, s6
	flat_load_b64 v[5:6], v[0:1]
	s_cbranch_vccnz .LBB544_4
; %bb.3:
	v_dual_mov_b32 v0, s8 :: v_dual_mov_b32 v1, s9
	flat_load_b64 v[7:8], v[0:1] offset:8
.LBB544_4:
	s_waitcnt vmcnt(1) lgkmcnt(1)
	v_cmp_eq_f64_e32 vcc_lo, 0, v[9:10]
	v_cmp_eq_f64_e64 s0, 0, v[11:12]
	s_delay_alu instid0(VALU_DEP_1)
	s_and_b32 s4, vcc_lo, s0
	s_mov_b32 s0, -1
	s_and_saveexec_b32 s1, s4
	s_cbranch_execz .LBB544_6
; %bb.5:
	s_waitcnt vmcnt(0) lgkmcnt(0)
	v_cmp_neq_f64_e32 vcc_lo, 1.0, v[5:6]
	v_cmp_neq_f64_e64 s0, 0, v[7:8]
	s_delay_alu instid0(VALU_DEP_1) | instskip(NEXT) | instid1(SALU_CYCLE_1)
	s_or_b32 s0, vcc_lo, s0
	s_or_not1_b32 s0, s0, exec_lo
.LBB544_6:
	s_or_b32 exec_lo, exec_lo, s1
	s_and_saveexec_b32 s1, s0
	s_cbranch_execz .LBB544_43
; %bb.7:
	s_clause 0x1
	s_load_b128 s[4:7], s[2:3], 0x20
	s_load_b64 s[8:9], s[2:3], 0x30
	s_waitcnt lgkmcnt(0)
	s_cmp_eq_u64 s[4:5], 0
	s_cbranch_scc1 .LBB544_9
; %bb.8:
	s_ashr_i32 s13, s12, 31
	s_delay_alu instid0(SALU_CYCLE_1) | instskip(NEXT) | instid1(SALU_CYCLE_1)
	s_lshl_b64 s[0:1], s[12:13], 2
	s_add_u32 s0, s4, s0
	s_addc_u32 s1, s5, s1
	s_load_b32 s0, s[0:1], 0x0
	s_waitcnt lgkmcnt(0)
	s_sub_i32 s12, s0, s14
.LBB544_9:
	s_load_b32 s1, s[2:3], 0x4
	v_mul_u32_u24_e32 v0, 0xf10, v4
	v_mov_b32_e32 v2, 0
	v_mov_b32_e32 v3, 0
	s_delay_alu instid0(VALU_DEP_3) | instskip(NEXT) | instid1(VALU_DEP_1)
	v_lshrrev_b32_e32 v13, 16, v0
	v_mul_lo_u16 v0, v13, 17
	s_delay_alu instid0(VALU_DEP_1) | instskip(NEXT) | instid1(VALU_DEP_4)
	v_sub_nc_u16 v18, v4, v0
	v_dual_mov_b32 v0, v2 :: v_dual_mov_b32 v1, v3
	s_waitcnt lgkmcnt(0)
	s_cmp_eq_u32 s1, 1
	s_cselect_b32 s0, -1, 0
	s_cmp_lg_u32 s1, 1
	s_cselect_b32 s1, -1, 0
	s_ashr_i32 s13, s12, 31
	s_delay_alu instid0(SALU_CYCLE_1) | instskip(NEXT) | instid1(SALU_CYCLE_1)
	s_lshl_b64 s[4:5], s[12:13], 3
	s_add_u32 s6, s6, s4
	s_addc_u32 s7, s7, s5
	s_add_u32 s10, s6, 8
	s_addc_u32 s11, s7, 0
	;; [unrolled: 2-line block ×3, first 2 shown]
	s_cmp_eq_u64 s[8:9], 0
	s_load_b64 s[8:9], s[2:3], 0x60
	s_cselect_b32 s5, s11, s5
	s_cselect_b32 s4, s10, s4
	s_load_b64 s[18:19], s[6:7], 0x0
	s_load_b64 s[16:17], s[4:5], 0x0
	s_waitcnt lgkmcnt(0)
	v_cmp_ge_i64_e64 s4, s[18:19], s[16:17]
	s_delay_alu instid0(VALU_DEP_1)
	s_and_b32 vcc_lo, exec_lo, s4
	s_cbranch_vccnz .LBB544_14
; %bb.10:
	v_mul_lo_u16 v0, v13, 31
	v_and_b32_e32 v1, 0xffff, v4
	s_clause 0x1
	s_load_b64 s[10:11], s[2:3], 0x48
	s_load_b128 s[4:7], s[2:3], 0x38
	s_sub_u32 s2, s16, s14
	s_subb_u32 s3, s17, 0
	v_lshrrev_b16 v0, 9, v0
	v_mul_u32_u24_e32 v1, 0xe3, v1
	v_and_b32_e32 v2, 0xffff, v18
	s_sub_u32 s16, s18, s14
	s_subb_u32 s17, s19, 0
	v_mul_lo_u16 v0, v0, 17
	v_lshrrev_b32_e32 v19, 16, v1
	s_mul_hi_u32 s13, s16, 0x908
	s_mul_i32 s20, s17, 0x908
	s_mul_i32 s15, s16, 0x908
	v_sub_nc_u16 v0, v13, v0
	v_add_co_u32 v1, s18, s18, v19
	s_delay_alu instid0(VALU_DEP_1) | instskip(NEXT) | instid1(VALU_DEP_3)
	v_add_co_ci_u32_e64 v3, null, s19, 0, s18
	v_and_b32_e32 v0, 0xff, v0
	s_add_i32 s13, s13, s20
	s_delay_alu instid0(VALU_DEP_1) | instskip(SKIP_4) | instid1(VALU_DEP_3)
	v_cndmask_b32_e64 v13, v2, v0, s0
	v_sub_co_u32 v0, vcc_lo, v1, s14
	v_subrev_co_ci_u32_e32 v1, vcc_lo, 0, v3, vcc_lo
	v_mov_b32_e32 v2, 0
	v_dual_mov_b32 v3, 0 :: v_dual_lshlrev_b32 v14, 3, v4
	v_lshlrev_b64 v[0:1], 2, v[0:1]
	s_waitcnt lgkmcnt(0)
	s_add_u32 s0, s6, s15
	s_addc_u32 s6, s7, s13
	s_delay_alu instid0(VALU_DEP_1) | instskip(NEXT) | instid1(VALU_DEP_2)
	v_add_co_u32 v16, vcc_lo, s4, v0
	v_add_co_ci_u32_e32 v17, vcc_lo, s5, v1, vcc_lo
	v_dual_mov_b32 v0, v2 :: v_dual_mov_b32 v1, v3
	v_add_co_u32 v14, s0, s0, v14
	s_delay_alu instid0(VALU_DEP_1)
	v_add_co_ci_u32_e64 v15, null, s6, 0, s0
	s_set_inst_prefetch_distance 0x1
	s_branch .LBB544_12
	.p2align	6
.LBB544_11:                             ;   in Loop: Header=BB544_12 Depth=1
	s_or_b32 exec_lo, exec_lo, s0
	s_add_u32 s16, s16, 1
	s_addc_u32 s17, s17, 0
	v_add_co_u32 v16, vcc_lo, v16, 4
	v_cmp_lt_i64_e64 s0, s[16:17], s[2:3]
	v_add_co_ci_u32_e32 v17, vcc_lo, 0, v17, vcc_lo
	s_delay_alu instid0(VALU_DEP_2)
	s_and_b32 vcc_lo, exec_lo, s0
	s_cbranch_vccz .LBB544_14
.LBB544_12:                             ; =>This Inner Loop Header: Depth=1
	v_add_co_u32 v20, s0, v19, s16
	s_delay_alu instid0(VALU_DEP_1) | instskip(SKIP_1) | instid1(VALU_DEP_1)
	v_add_co_ci_u32_e64 v21, null, 0, s17, s0
	s_mov_b32 s0, exec_lo
	v_cmpx_gt_i64_e64 s[2:3], v[20:21]
	s_cbranch_execz .LBB544_11
; %bb.13:                               ;   in Loop: Header=BB544_12 Depth=1
	global_load_b32 v20, v[16:17], off
	global_load_b64 v[24:25], v[14:15], off
	s_waitcnt vmcnt(1)
	v_subrev_nc_u32_e32 v22, s14, v20
	s_waitcnt vmcnt(0)
	v_cvt_f64_f32_e32 v[26:27], v24
	v_cvt_f64_f32_e32 v[24:25], v25
	s_delay_alu instid0(VALU_DEP_3) | instskip(NEXT) | instid1(VALU_DEP_1)
	v_mad_u64_u32 v[20:21], null, v22, 17, v[13:14]
	v_ashrrev_i32_e32 v21, 31, v20
	s_delay_alu instid0(VALU_DEP_1) | instskip(NEXT) | instid1(VALU_DEP_1)
	v_lshlrev_b64 v[20:21], 4, v[20:21]
	v_add_co_u32 v20, vcc_lo, s10, v20
	s_delay_alu instid0(VALU_DEP_2)
	v_add_co_ci_u32_e32 v21, vcc_lo, s11, v21, vcc_lo
	v_add_co_u32 v14, vcc_lo, 0x908, v14
	v_add_co_ci_u32_e32 v15, vcc_lo, 0, v15, vcc_lo
	global_load_b128 v[20:23], v[20:21], off
	s_waitcnt vmcnt(0)
	v_fma_f64 v[0:1], v[26:27], v[20:21], v[0:1]
	v_fma_f64 v[2:3], v[24:25], v[20:21], v[2:3]
	s_delay_alu instid0(VALU_DEP_2) | instskip(NEXT) | instid1(VALU_DEP_2)
	v_fma_f64 v[0:1], -v[24:25], v[22:23], v[0:1]
	v_fma_f64 v[2:3], v[26:27], v[22:23], v[2:3]
	s_branch .LBB544_11
.LBB544_14:
	s_set_inst_prefetch_distance 0x2
	v_lshlrev_b32_e32 v17, 4, v4
	s_and_b32 vcc_lo, exec_lo, s1
	ds_store_b128 v17, v[0:3]
	s_waitcnt vmcnt(0) lgkmcnt(0)
	s_barrier
	buffer_gl0_inv
	s_cbranch_vccz .LBB544_26
; %bb.15:
	s_mov_b32 s0, exec_lo
	v_cmpx_eq_u16_e32 0, v18
	s_cbranch_execz .LBB544_17
; %bb.16:
	ds_load_b128 v[13:16], v17 offset:256
	ds_load_b128 v[19:22], v17
	s_waitcnt lgkmcnt(0)
	v_add_f64 v[13:14], v[13:14], v[19:20]
	v_add_f64 v[15:16], v[15:16], v[21:22]
	ds_store_b128 v17, v[13:16]
.LBB544_17:
	s_or_b32 exec_lo, exec_lo, s0
	s_delay_alu instid0(SALU_CYCLE_1)
	s_mov_b32 s0, exec_lo
	s_waitcnt lgkmcnt(0)
	s_barrier
	buffer_gl0_inv
	v_cmpx_gt_u16_e32 8, v18
	s_cbranch_execz .LBB544_19
; %bb.18:
	ds_load_b128 v[13:16], v17 offset:128
	ds_load_b128 v[19:22], v17
	s_waitcnt lgkmcnt(0)
	v_add_f64 v[13:14], v[13:14], v[19:20]
	v_add_f64 v[15:16], v[15:16], v[21:22]
	ds_store_b128 v17, v[13:16]
.LBB544_19:
	s_or_b32 exec_lo, exec_lo, s0
	s_delay_alu instid0(SALU_CYCLE_1)
	s_mov_b32 s0, exec_lo
	s_waitcnt lgkmcnt(0)
	s_barrier
	buffer_gl0_inv
	v_cmpx_gt_u16_e32 4, v18
	;; [unrolled: 16-line block ×3, first 2 shown]
	s_cbranch_execz .LBB544_23
; %bb.22:
	ds_load_b128 v[13:16], v17
	ds_load_b128 v[18:21], v17 offset:32
	s_waitcnt lgkmcnt(0)
	v_add_f64 v[13:14], v[18:19], v[13:14]
	v_add_f64 v[15:16], v[20:21], v[15:16]
	ds_store_b128 v17, v[13:16]
.LBB544_23:
	s_or_b32 exec_lo, exec_lo, s0
	v_dual_mov_b32 v16, v3 :: v_dual_mov_b32 v15, v2
	v_dual_mov_b32 v14, v1 :: v_dual_mov_b32 v13, v0
	s_mov_b32 s0, exec_lo
	s_waitcnt lgkmcnt(0)
	s_barrier
	buffer_gl0_inv
	v_cmpx_gt_u32_e32 17, v4
	s_cbranch_execz .LBB544_25
; %bb.24:
	v_mul_u32_u24_e32 v13, 17, v4
	s_delay_alu instid0(VALU_DEP_1)
	v_lshlrev_b32_e32 v18, 4, v13
	ds_load_b128 v[13:16], v18
	ds_load_b128 v[18:21], v18 offset:16
	s_waitcnt lgkmcnt(0)
	v_add_f64 v[13:14], v[18:19], v[13:14]
	v_add_f64 v[15:16], v[20:21], v[15:16]
.LBB544_25:
	s_or_b32 exec_lo, exec_lo, s0
	v_cmp_gt_u32_e64 s0, 17, v4
	s_branch .LBB544_38
.LBB544_26:
                                        ; implicit-def: $vgpr15_vgpr16
                                        ; implicit-def: $vgpr13_vgpr14
	v_cmp_gt_u32_e64 s0, 17, v4
	s_cbranch_execz .LBB544_38
; %bb.27:
	s_delay_alu instid0(VALU_DEP_1)
	s_and_saveexec_b32 s1, s0
	s_cbranch_execz .LBB544_29
; %bb.28:
	ds_load_b128 v[13:16], v17 offset:4352
	ds_load_b128 v[18:21], v17
	s_waitcnt lgkmcnt(0)
	v_add_f64 v[13:14], v[13:14], v[18:19]
	v_add_f64 v[15:16], v[15:16], v[20:21]
	ds_store_b128 v17, v[13:16]
.LBB544_29:
	s_or_b32 exec_lo, exec_lo, s1
	s_delay_alu instid0(SALU_CYCLE_1)
	s_mov_b32 s1, exec_lo
	s_waitcnt lgkmcnt(0)
	s_barrier
	buffer_gl0_inv
	v_cmpx_gt_u32_e32 0x88, v4
	s_cbranch_execz .LBB544_31
; %bb.30:
	ds_load_b128 v[13:16], v17 offset:2176
	ds_load_b128 v[18:21], v17
	s_waitcnt lgkmcnt(0)
	v_add_f64 v[13:14], v[13:14], v[18:19]
	v_add_f64 v[15:16], v[15:16], v[20:21]
	ds_store_b128 v17, v[13:16]
.LBB544_31:
	s_or_b32 exec_lo, exec_lo, s1
	s_delay_alu instid0(SALU_CYCLE_1)
	s_mov_b32 s1, exec_lo
	s_waitcnt lgkmcnt(0)
	s_barrier
	buffer_gl0_inv
	v_cmpx_gt_u32_e32 0x44, v4
	s_cbranch_execz .LBB544_33
; %bb.32:
	ds_load_b128 v[13:16], v17 offset:1088
	ds_load_b128 v[18:21], v17
	s_waitcnt lgkmcnt(0)
	v_add_f64 v[13:14], v[13:14], v[18:19]
	v_add_f64 v[15:16], v[15:16], v[20:21]
	ds_store_b128 v17, v[13:16]
.LBB544_33:
	s_or_b32 exec_lo, exec_lo, s1
	s_delay_alu instid0(SALU_CYCLE_1)
	s_mov_b32 s1, exec_lo
	s_waitcnt lgkmcnt(0)
	s_barrier
	buffer_gl0_inv
	v_cmpx_gt_u32_e32 34, v4
	s_cbranch_execz .LBB544_35
; %bb.34:
	ds_load_b128 v[13:16], v17 offset:544
	ds_load_b128 v[18:21], v17
	s_waitcnt lgkmcnt(0)
	v_add_f64 v[13:14], v[13:14], v[18:19]
	v_add_f64 v[15:16], v[15:16], v[20:21]
	ds_store_b128 v17, v[13:16]
.LBB544_35:
	s_or_b32 exec_lo, exec_lo, s1
	s_waitcnt lgkmcnt(0)
	buffer_gl0_inv
	s_and_saveexec_b32 s1, s0
	s_cbranch_execz .LBB544_37
; %bb.36:
	ds_load_b128 v[0:3], v17 offset:272
	ds_load_b128 v[13:16], v17
	s_waitcnt lgkmcnt(0)
	v_add_f64 v[0:1], v[0:1], v[13:14]
	v_add_f64 v[2:3], v[2:3], v[15:16]
.LBB544_37:
	s_or_b32 exec_lo, exec_lo, s1
	s_delay_alu instid0(VALU_DEP_1) | instskip(NEXT) | instid1(VALU_DEP_3)
	v_dual_mov_b32 v16, v3 :: v_dual_mov_b32 v15, v2
	v_dual_mov_b32 v14, v1 :: v_dual_mov_b32 v13, v0
.LBB544_38:
	v_cmp_gt_u32_e32 vcc_lo, 17, v4
	s_and_b32 exec_lo, exec_lo, vcc_lo
	s_cbranch_execz .LBB544_43
; %bb.39:
	s_delay_alu instid0(VALU_DEP_3) | instskip(SKIP_3) | instid1(VALU_DEP_4)
	v_mul_f64 v[0:1], v[15:16], -v[11:12]
	v_mul_f64 v[2:3], v[9:10], v[15:16]
	v_cmp_eq_f64_e32 vcc_lo, 0, v[5:6]
	v_cmp_eq_f64_e64 s0, 0, v[7:8]
	v_fma_f64 v[0:1], v[9:10], v[13:14], v[0:1]
	s_delay_alu instid0(VALU_DEP_4) | instskip(NEXT) | instid1(VALU_DEP_3)
	v_fma_f64 v[2:3], v[11:12], v[13:14], v[2:3]
	s_and_b32 s0, vcc_lo, s0
	s_delay_alu instid0(SALU_CYCLE_1) | instskip(NEXT) | instid1(SALU_CYCLE_1)
	s_and_saveexec_b32 s1, s0
	s_xor_b32 s0, exec_lo, s1
	s_cbranch_execz .LBB544_41
; %bb.40:
	v_mad_u64_u32 v[5:6], null, s12, 17, v[4:5]
	v_mov_b32_e32 v6, 0
                                        ; implicit-def: $vgpr7_vgpr8
	s_delay_alu instid0(VALU_DEP_1) | instskip(NEXT) | instid1(VALU_DEP_1)
	v_lshlrev_b64 v[4:5], 4, v[5:6]
	v_add_co_u32 v4, vcc_lo, s8, v4
	s_delay_alu instid0(VALU_DEP_2)
	v_add_co_ci_u32_e32 v5, vcc_lo, s9, v5, vcc_lo
	global_store_b128 v[4:5], v[0:3], off
                                        ; implicit-def: $vgpr4
                                        ; implicit-def: $vgpr5_vgpr6
                                        ; implicit-def: $vgpr0_vgpr1
.LBB544_41:
	s_and_not1_saveexec_b32 s0, s0
	s_cbranch_execz .LBB544_43
; %bb.42:
	v_mad_u64_u32 v[9:10], null, s12, 17, v[4:5]
	v_mov_b32_e32 v10, 0
	s_delay_alu instid0(VALU_DEP_1) | instskip(NEXT) | instid1(VALU_DEP_1)
	v_lshlrev_b64 v[9:10], 4, v[9:10]
	v_add_co_u32 v13, vcc_lo, s8, v9
	s_delay_alu instid0(VALU_DEP_2) | instskip(SKIP_4) | instid1(VALU_DEP_2)
	v_add_co_ci_u32_e32 v14, vcc_lo, s9, v10, vcc_lo
	global_load_b128 v[9:12], v[13:14], off
	s_waitcnt vmcnt(0)
	v_fma_f64 v[0:1], v[5:6], v[9:10], v[0:1]
	v_fma_f64 v[2:3], v[7:8], v[9:10], v[2:3]
	v_fma_f64 v[0:1], -v[7:8], v[11:12], v[0:1]
	s_delay_alu instid0(VALU_DEP_2)
	v_fma_f64 v[2:3], v[5:6], v[11:12], v[2:3]
	global_store_b128 v[13:14], v[0:3], off
.LBB544_43:
	s_nop 0
	s_sendmsg sendmsg(MSG_DEALLOC_VGPRS)
	s_endpgm
	.section	.rodata,"a",@progbits
	.p2align	6, 0x0
	.amdhsa_kernel _ZN9rocsparseL20bsrxmvn_17_32_kernelILj17E21rocsparse_complex_numIdEliS1_IfES2_S2_EEvT2_20rocsparse_direction_NS_24const_host_device_scalarIT0_EES4_PKS4_PKT1_SD_SA_PKT3_PKT4_S8_PT5_21rocsparse_index_base_b
		.amdhsa_group_segment_fixed_size 9248
		.amdhsa_private_segment_fixed_size 0
		.amdhsa_kernarg_size 112
		.amdhsa_user_sgpr_count 15
		.amdhsa_user_sgpr_dispatch_ptr 1
		.amdhsa_user_sgpr_queue_ptr 0
		.amdhsa_user_sgpr_kernarg_segment_ptr 1
		.amdhsa_user_sgpr_dispatch_id 0
		.amdhsa_user_sgpr_private_segment_size 0
		.amdhsa_wavefront_size32 1
		.amdhsa_uses_dynamic_stack 0
		.amdhsa_enable_private_segment 0
		.amdhsa_system_sgpr_workgroup_id_x 1
		.amdhsa_system_sgpr_workgroup_id_y 0
		.amdhsa_system_sgpr_workgroup_id_z 0
		.amdhsa_system_sgpr_workgroup_info 0
		.amdhsa_system_vgpr_workitem_id 2
		.amdhsa_next_free_vgpr 28
		.amdhsa_next_free_sgpr 21
		.amdhsa_reserve_vcc 1
		.amdhsa_float_round_mode_32 0
		.amdhsa_float_round_mode_16_64 0
		.amdhsa_float_denorm_mode_32 3
		.amdhsa_float_denorm_mode_16_64 3
		.amdhsa_dx10_clamp 1
		.amdhsa_ieee_mode 1
		.amdhsa_fp16_overflow 0
		.amdhsa_workgroup_processor_mode 1
		.amdhsa_memory_ordered 1
		.amdhsa_forward_progress 0
		.amdhsa_shared_vgpr_count 0
		.amdhsa_exception_fp_ieee_invalid_op 0
		.amdhsa_exception_fp_denorm_src 0
		.amdhsa_exception_fp_ieee_div_zero 0
		.amdhsa_exception_fp_ieee_overflow 0
		.amdhsa_exception_fp_ieee_underflow 0
		.amdhsa_exception_fp_ieee_inexact 0
		.amdhsa_exception_int_div_zero 0
	.end_amdhsa_kernel
	.section	.text._ZN9rocsparseL20bsrxmvn_17_32_kernelILj17E21rocsparse_complex_numIdEliS1_IfES2_S2_EEvT2_20rocsparse_direction_NS_24const_host_device_scalarIT0_EES4_PKS4_PKT1_SD_SA_PKT3_PKT4_S8_PT5_21rocsparse_index_base_b,"axG",@progbits,_ZN9rocsparseL20bsrxmvn_17_32_kernelILj17E21rocsparse_complex_numIdEliS1_IfES2_S2_EEvT2_20rocsparse_direction_NS_24const_host_device_scalarIT0_EES4_PKS4_PKT1_SD_SA_PKT3_PKT4_S8_PT5_21rocsparse_index_base_b,comdat
.Lfunc_end544:
	.size	_ZN9rocsparseL20bsrxmvn_17_32_kernelILj17E21rocsparse_complex_numIdEliS1_IfES2_S2_EEvT2_20rocsparse_direction_NS_24const_host_device_scalarIT0_EES4_PKS4_PKT1_SD_SA_PKT3_PKT4_S8_PT5_21rocsparse_index_base_b, .Lfunc_end544-_ZN9rocsparseL20bsrxmvn_17_32_kernelILj17E21rocsparse_complex_numIdEliS1_IfES2_S2_EEvT2_20rocsparse_direction_NS_24const_host_device_scalarIT0_EES4_PKS4_PKT1_SD_SA_PKT3_PKT4_S8_PT5_21rocsparse_index_base_b
                                        ; -- End function
	.section	.AMDGPU.csdata,"",@progbits
; Kernel info:
; codeLenInByte = 2192
; NumSgprs: 23
; NumVgprs: 28
; ScratchSize: 0
; MemoryBound: 0
; FloatMode: 240
; IeeeMode: 1
; LDSByteSize: 9248 bytes/workgroup (compile time only)
; SGPRBlocks: 2
; VGPRBlocks: 3
; NumSGPRsForWavesPerEU: 23
; NumVGPRsForWavesPerEU: 28
; Occupancy: 15
; WaveLimiterHint : 1
; COMPUTE_PGM_RSRC2:SCRATCH_EN: 0
; COMPUTE_PGM_RSRC2:USER_SGPR: 15
; COMPUTE_PGM_RSRC2:TRAP_HANDLER: 0
; COMPUTE_PGM_RSRC2:TGID_X_EN: 1
; COMPUTE_PGM_RSRC2:TGID_Y_EN: 0
; COMPUTE_PGM_RSRC2:TGID_Z_EN: 0
; COMPUTE_PGM_RSRC2:TIDIG_COMP_CNT: 2
	.section	.text._ZN9rocsparseL20bsrxmvn_17_32_kernelILj18E21rocsparse_complex_numIdEliS1_IfES2_S2_EEvT2_20rocsparse_direction_NS_24const_host_device_scalarIT0_EES4_PKS4_PKT1_SD_SA_PKT3_PKT4_S8_PT5_21rocsparse_index_base_b,"axG",@progbits,_ZN9rocsparseL20bsrxmvn_17_32_kernelILj18E21rocsparse_complex_numIdEliS1_IfES2_S2_EEvT2_20rocsparse_direction_NS_24const_host_device_scalarIT0_EES4_PKS4_PKT1_SD_SA_PKT3_PKT4_S8_PT5_21rocsparse_index_base_b,comdat
	.globl	_ZN9rocsparseL20bsrxmvn_17_32_kernelILj18E21rocsparse_complex_numIdEliS1_IfES2_S2_EEvT2_20rocsparse_direction_NS_24const_host_device_scalarIT0_EES4_PKS4_PKT1_SD_SA_PKT3_PKT4_S8_PT5_21rocsparse_index_base_b ; -- Begin function _ZN9rocsparseL20bsrxmvn_17_32_kernelILj18E21rocsparse_complex_numIdEliS1_IfES2_S2_EEvT2_20rocsparse_direction_NS_24const_host_device_scalarIT0_EES4_PKS4_PKT1_SD_SA_PKT3_PKT4_S8_PT5_21rocsparse_index_base_b
	.p2align	8
	.type	_ZN9rocsparseL20bsrxmvn_17_32_kernelILj18E21rocsparse_complex_numIdEliS1_IfES2_S2_EEvT2_20rocsparse_direction_NS_24const_host_device_scalarIT0_EES4_PKS4_PKT1_SD_SA_PKT3_PKT4_S8_PT5_21rocsparse_index_base_b,@function
_ZN9rocsparseL20bsrxmvn_17_32_kernelILj18E21rocsparse_complex_numIdEliS1_IfES2_S2_EEvT2_20rocsparse_direction_NS_24const_host_device_scalarIT0_EES4_PKS4_PKT1_SD_SA_PKT3_PKT4_S8_PT5_21rocsparse_index_base_b: ; @_ZN9rocsparseL20bsrxmvn_17_32_kernelILj18E21rocsparse_complex_numIdEliS1_IfES2_S2_EEvT2_20rocsparse_direction_NS_24const_host_device_scalarIT0_EES4_PKS4_PKT1_SD_SA_PKT3_PKT4_S8_PT5_21rocsparse_index_base_b
; %bb.0:
	s_mov_b32 s12, s15
	s_clause 0x1
	s_load_b64 s[14:15], s[2:3], 0x68
	s_load_b128 s[4:7], s[2:3], 0x8
	s_load_b64 s[16:17], s[0:1], 0x4
	s_mov_b64 s[0:1], src_shared_base
	v_and_b32_e32 v4, 0x3ff, v0
	s_load_b128 s[8:11], s[2:3], 0x50
	v_bfe_u32 v2, v0, 10, 10
	v_bfe_u32 v0, v0, 20, 10
	s_waitcnt lgkmcnt(0)
	s_bitcmp1_b32 s15, 0
	v_mov_b32_e32 v12, s7
	s_cselect_b32 s0, -1, 0
	v_mov_b32_e32 v11, s6
	s_and_b32 vcc_lo, s0, exec_lo
	s_cselect_b32 s13, s1, s5
	s_lshr_b32 s15, s16, 16
	v_mov_b32_e32 v6, s13
	s_mul_i32 s15, s15, s17
	s_xor_b32 s6, s0, -1
	v_mul_lo_u32 v1, s15, v4
	s_delay_alu instid0(VALU_DEP_1) | instskip(SKIP_1) | instid1(VALU_DEP_2)
	v_mad_u32_u24 v1, v2, s17, v1
	v_dual_mov_b32 v2, s8 :: v_dual_mov_b32 v3, s9
	v_add_lshl_u32 v7, v1, v0, 3
	v_dual_mov_b32 v0, s4 :: v_dual_mov_b32 v1, s5
	ds_store_b64 v7, v[0:1] offset:7776
	ds_store_b64 v7, v[2:3] offset:5184
	v_add_nc_u32_e32 v5, 0x1e60, v7
	v_add_nc_u32_e32 v0, 0x1440, v7
	s_delay_alu instid0(VALU_DEP_2)
	v_cndmask_b32_e64 v5, s4, v5, s0
	flat_load_b64 v[9:10], v[5:6]
	s_cbranch_vccnz .LBB545_2
; %bb.1:
	v_dual_mov_b32 v1, s4 :: v_dual_mov_b32 v2, s5
	flat_load_b64 v[11:12], v[1:2] offset:8
.LBB545_2:
	s_and_b32 s4, s0, exec_lo
	s_cselect_b32 s1, s1, s9
	v_cndmask_b32_e64 v0, s8, v0, s0
	v_mov_b32_e32 v1, s1
	v_dual_mov_b32 v7, s10 :: v_dual_mov_b32 v8, s11
	s_and_not1_b32 vcc_lo, exec_lo, s6
	flat_load_b64 v[5:6], v[0:1]
	s_cbranch_vccnz .LBB545_4
; %bb.3:
	v_dual_mov_b32 v0, s8 :: v_dual_mov_b32 v1, s9
	flat_load_b64 v[7:8], v[0:1] offset:8
.LBB545_4:
	s_waitcnt vmcnt(1) lgkmcnt(1)
	v_cmp_eq_f64_e32 vcc_lo, 0, v[9:10]
	v_cmp_eq_f64_e64 s0, 0, v[11:12]
	s_delay_alu instid0(VALU_DEP_1)
	s_and_b32 s4, vcc_lo, s0
	s_mov_b32 s0, -1
	s_and_saveexec_b32 s1, s4
	s_cbranch_execz .LBB545_6
; %bb.5:
	s_waitcnt vmcnt(0) lgkmcnt(0)
	v_cmp_neq_f64_e32 vcc_lo, 1.0, v[5:6]
	v_cmp_neq_f64_e64 s0, 0, v[7:8]
	s_delay_alu instid0(VALU_DEP_1) | instskip(NEXT) | instid1(SALU_CYCLE_1)
	s_or_b32 s0, vcc_lo, s0
	s_or_not1_b32 s0, s0, exec_lo
.LBB545_6:
	s_or_b32 exec_lo, exec_lo, s1
	s_and_saveexec_b32 s1, s0
	s_cbranch_execz .LBB545_43
; %bb.7:
	s_clause 0x1
	s_load_b128 s[4:7], s[2:3], 0x20
	s_load_b64 s[8:9], s[2:3], 0x30
	s_waitcnt lgkmcnt(0)
	s_cmp_eq_u64 s[4:5], 0
	s_cbranch_scc1 .LBB545_9
; %bb.8:
	s_ashr_i32 s13, s12, 31
	s_delay_alu instid0(SALU_CYCLE_1) | instskip(NEXT) | instid1(SALU_CYCLE_1)
	s_lshl_b64 s[0:1], s[12:13], 2
	s_add_u32 s0, s4, s0
	s_addc_u32 s1, s5, s1
	s_load_b32 s0, s[0:1], 0x0
	s_waitcnt lgkmcnt(0)
	s_sub_i32 s12, s0, s14
.LBB545_9:
	s_load_b32 s1, s[2:3], 0x4
	v_mul_u32_u24_e32 v0, 0xe39, v4
	v_mov_b32_e32 v2, 0
	v_mov_b32_e32 v3, 0
	s_delay_alu instid0(VALU_DEP_3) | instskip(NEXT) | instid1(VALU_DEP_1)
	v_lshrrev_b32_e32 v13, 16, v0
	v_mul_lo_u16 v0, v13, 18
	s_delay_alu instid0(VALU_DEP_1) | instskip(NEXT) | instid1(VALU_DEP_4)
	v_sub_nc_u16 v18, v4, v0
	v_dual_mov_b32 v0, v2 :: v_dual_mov_b32 v1, v3
	s_waitcnt lgkmcnt(0)
	s_cmp_eq_u32 s1, 1
	s_cselect_b32 s0, -1, 0
	s_cmp_lg_u32 s1, 1
	s_cselect_b32 s1, -1, 0
	s_ashr_i32 s13, s12, 31
	s_delay_alu instid0(SALU_CYCLE_1) | instskip(NEXT) | instid1(SALU_CYCLE_1)
	s_lshl_b64 s[4:5], s[12:13], 3
	s_add_u32 s6, s6, s4
	s_addc_u32 s7, s7, s5
	s_add_u32 s10, s6, 8
	s_addc_u32 s11, s7, 0
	;; [unrolled: 2-line block ×3, first 2 shown]
	s_cmp_eq_u64 s[8:9], 0
	s_load_b64 s[8:9], s[2:3], 0x60
	s_cselect_b32 s5, s11, s5
	s_cselect_b32 s4, s10, s4
	s_load_b64 s[18:19], s[6:7], 0x0
	s_load_b64 s[16:17], s[4:5], 0x0
	s_waitcnt lgkmcnt(0)
	v_cmp_ge_i64_e64 s4, s[18:19], s[16:17]
	s_delay_alu instid0(VALU_DEP_1)
	s_and_b32 vcc_lo, exec_lo, s4
	s_cbranch_vccnz .LBB545_14
; %bb.10:
	v_mul_lo_u16 v0, v13, 15
	v_and_b32_e32 v1, 0xffff, v4
	s_clause 0x1
	s_load_b64 s[10:11], s[2:3], 0x48
	s_load_b128 s[4:7], s[2:3], 0x38
	s_sub_u32 s2, s16, s14
	s_subb_u32 s3, s17, 0
	v_lshrrev_b16 v0, 8, v0
	v_mul_u32_u24_e32 v1, 0x195, v1
	v_and_b32_e32 v2, 0xffff, v18
	s_sub_u32 s16, s18, s14
	s_subb_u32 s17, s19, 0
	v_mul_lo_u16 v0, v0, 18
	v_lshrrev_b32_e32 v19, 17, v1
	s_mul_hi_u32 s13, s16, 0xa20
	s_mul_i32 s20, s17, 0xa20
	s_mul_i32 s15, s16, 0xa20
	v_sub_nc_u16 v0, v13, v0
	v_add_co_u32 v1, s18, s18, v19
	s_delay_alu instid0(VALU_DEP_1) | instskip(NEXT) | instid1(VALU_DEP_3)
	v_add_co_ci_u32_e64 v3, null, s19, 0, s18
	v_and_b32_e32 v0, 0xff, v0
	s_add_i32 s13, s13, s20
	s_delay_alu instid0(VALU_DEP_1) | instskip(SKIP_4) | instid1(VALU_DEP_3)
	v_cndmask_b32_e64 v13, v2, v0, s0
	v_sub_co_u32 v0, vcc_lo, v1, s14
	v_subrev_co_ci_u32_e32 v1, vcc_lo, 0, v3, vcc_lo
	v_mov_b32_e32 v2, 0
	v_dual_mov_b32 v3, 0 :: v_dual_lshlrev_b32 v14, 3, v4
	v_lshlrev_b64 v[0:1], 2, v[0:1]
	s_waitcnt lgkmcnt(0)
	s_add_u32 s0, s6, s15
	s_addc_u32 s6, s7, s13
	s_delay_alu instid0(VALU_DEP_1) | instskip(NEXT) | instid1(VALU_DEP_2)
	v_add_co_u32 v16, vcc_lo, s4, v0
	v_add_co_ci_u32_e32 v17, vcc_lo, s5, v1, vcc_lo
	v_dual_mov_b32 v0, v2 :: v_dual_mov_b32 v1, v3
	v_add_co_u32 v14, s0, s0, v14
	s_delay_alu instid0(VALU_DEP_1)
	v_add_co_ci_u32_e64 v15, null, s6, 0, s0
	s_set_inst_prefetch_distance 0x1
	s_branch .LBB545_12
	.p2align	6
.LBB545_11:                             ;   in Loop: Header=BB545_12 Depth=1
	s_or_b32 exec_lo, exec_lo, s0
	s_add_u32 s16, s16, 1
	s_addc_u32 s17, s17, 0
	v_add_co_u32 v16, vcc_lo, v16, 4
	v_cmp_lt_i64_e64 s0, s[16:17], s[2:3]
	v_add_co_ci_u32_e32 v17, vcc_lo, 0, v17, vcc_lo
	s_delay_alu instid0(VALU_DEP_2)
	s_and_b32 vcc_lo, exec_lo, s0
	s_cbranch_vccz .LBB545_14
.LBB545_12:                             ; =>This Inner Loop Header: Depth=1
	v_add_co_u32 v20, s0, v19, s16
	s_delay_alu instid0(VALU_DEP_1) | instskip(SKIP_1) | instid1(VALU_DEP_1)
	v_add_co_ci_u32_e64 v21, null, 0, s17, s0
	s_mov_b32 s0, exec_lo
	v_cmpx_gt_i64_e64 s[2:3], v[20:21]
	s_cbranch_execz .LBB545_11
; %bb.13:                               ;   in Loop: Header=BB545_12 Depth=1
	global_load_b32 v20, v[16:17], off
	global_load_b64 v[24:25], v[14:15], off
	s_waitcnt vmcnt(1)
	v_subrev_nc_u32_e32 v22, s14, v20
	s_waitcnt vmcnt(0)
	v_cvt_f64_f32_e32 v[26:27], v24
	v_cvt_f64_f32_e32 v[24:25], v25
	s_delay_alu instid0(VALU_DEP_3) | instskip(NEXT) | instid1(VALU_DEP_1)
	v_mad_u64_u32 v[20:21], null, v22, 18, v[13:14]
	v_ashrrev_i32_e32 v21, 31, v20
	s_delay_alu instid0(VALU_DEP_1) | instskip(NEXT) | instid1(VALU_DEP_1)
	v_lshlrev_b64 v[20:21], 4, v[20:21]
	v_add_co_u32 v20, vcc_lo, s10, v20
	s_delay_alu instid0(VALU_DEP_2)
	v_add_co_ci_u32_e32 v21, vcc_lo, s11, v21, vcc_lo
	v_add_co_u32 v14, vcc_lo, 0xa20, v14
	v_add_co_ci_u32_e32 v15, vcc_lo, 0, v15, vcc_lo
	global_load_b128 v[20:23], v[20:21], off
	s_waitcnt vmcnt(0)
	v_fma_f64 v[0:1], v[26:27], v[20:21], v[0:1]
	v_fma_f64 v[2:3], v[24:25], v[20:21], v[2:3]
	s_delay_alu instid0(VALU_DEP_2) | instskip(NEXT) | instid1(VALU_DEP_2)
	v_fma_f64 v[0:1], -v[24:25], v[22:23], v[0:1]
	v_fma_f64 v[2:3], v[26:27], v[22:23], v[2:3]
	s_branch .LBB545_11
.LBB545_14:
	s_set_inst_prefetch_distance 0x2
	v_lshlrev_b32_e32 v17, 4, v4
	s_and_b32 vcc_lo, exec_lo, s1
	ds_store_b128 v17, v[0:3]
	s_waitcnt vmcnt(0) lgkmcnt(0)
	s_barrier
	buffer_gl0_inv
	s_cbranch_vccz .LBB545_26
; %bb.15:
	v_cmp_gt_u16_e32 vcc_lo, 2, v18
	s_and_saveexec_b32 s0, vcc_lo
	s_cbranch_execz .LBB545_17
; %bb.16:
	ds_load_b128 v[13:16], v17 offset:256
	ds_load_b128 v[19:22], v17
	s_waitcnt lgkmcnt(0)
	v_add_f64 v[13:14], v[13:14], v[19:20]
	v_add_f64 v[15:16], v[15:16], v[21:22]
	ds_store_b128 v17, v[13:16]
.LBB545_17:
	s_or_b32 exec_lo, exec_lo, s0
	s_delay_alu instid0(SALU_CYCLE_1)
	s_mov_b32 s1, exec_lo
	s_waitcnt lgkmcnt(0)
	s_barrier
	buffer_gl0_inv
	v_cmpx_gt_u16_e32 8, v18
	s_cbranch_execz .LBB545_19
; %bb.18:
	ds_load_b128 v[13:16], v17 offset:128
	ds_load_b128 v[19:22], v17
	s_waitcnt lgkmcnt(0)
	v_add_f64 v[13:14], v[13:14], v[19:20]
	v_add_f64 v[15:16], v[15:16], v[21:22]
	ds_store_b128 v17, v[13:16]
.LBB545_19:
	s_or_b32 exec_lo, exec_lo, s1
	s_delay_alu instid0(SALU_CYCLE_1)
	s_mov_b32 s1, exec_lo
	s_waitcnt lgkmcnt(0)
	s_barrier
	buffer_gl0_inv
	v_cmpx_gt_u16_e32 4, v18
	s_cbranch_execz .LBB545_21
; %bb.20:
	ds_load_b128 v[13:16], v17 offset:64
	ds_load_b128 v[18:21], v17
	s_waitcnt lgkmcnt(0)
	v_add_f64 v[13:14], v[13:14], v[18:19]
	v_add_f64 v[15:16], v[15:16], v[20:21]
	ds_store_b128 v17, v[13:16]
.LBB545_21:
	s_or_b32 exec_lo, exec_lo, s1
	s_waitcnt lgkmcnt(0)
	s_barrier
	buffer_gl0_inv
	s_and_saveexec_b32 s0, vcc_lo
	s_cbranch_execz .LBB545_23
; %bb.22:
	ds_load_b128 v[13:16], v17
	ds_load_b128 v[18:21], v17 offset:32
	s_waitcnt lgkmcnt(0)
	v_add_f64 v[13:14], v[18:19], v[13:14]
	v_add_f64 v[15:16], v[20:21], v[15:16]
	ds_store_b128 v17, v[13:16]
.LBB545_23:
	s_or_b32 exec_lo, exec_lo, s0
	v_dual_mov_b32 v16, v3 :: v_dual_mov_b32 v15, v2
	v_dual_mov_b32 v14, v1 :: v_dual_mov_b32 v13, v0
	s_mov_b32 s0, exec_lo
	s_waitcnt lgkmcnt(0)
	s_barrier
	buffer_gl0_inv
	v_cmpx_gt_u32_e32 18, v4
	s_cbranch_execz .LBB545_25
; %bb.24:
	v_mul_u32_u24_e32 v13, 18, v4
	s_delay_alu instid0(VALU_DEP_1)
	v_lshlrev_b32_e32 v18, 4, v13
	ds_load_b128 v[13:16], v18
	ds_load_b128 v[18:21], v18 offset:16
	s_waitcnt lgkmcnt(0)
	v_add_f64 v[13:14], v[18:19], v[13:14]
	v_add_f64 v[15:16], v[20:21], v[15:16]
.LBB545_25:
	s_or_b32 exec_lo, exec_lo, s0
	s_branch .LBB545_38
.LBB545_26:
                                        ; implicit-def: $vgpr15_vgpr16
                                        ; implicit-def: $vgpr13_vgpr14
	s_cbranch_execz .LBB545_38
; %bb.27:
	v_cmp_gt_u32_e32 vcc_lo, 36, v4
	s_and_saveexec_b32 s0, vcc_lo
	s_cbranch_execz .LBB545_29
; %bb.28:
	ds_load_b128 v[13:16], v17 offset:4608
	ds_load_b128 v[18:21], v17
	s_waitcnt lgkmcnt(0)
	v_add_f64 v[13:14], v[13:14], v[18:19]
	v_add_f64 v[15:16], v[15:16], v[20:21]
	ds_store_b128 v17, v[13:16]
.LBB545_29:
	s_or_b32 exec_lo, exec_lo, s0
	s_delay_alu instid0(SALU_CYCLE_1)
	s_mov_b32 s1, exec_lo
	s_waitcnt lgkmcnt(0)
	s_barrier
	buffer_gl0_inv
	v_cmpx_gt_u32_e32 0x90, v4
	s_cbranch_execz .LBB545_31
; %bb.30:
	ds_load_b128 v[13:16], v17 offset:2304
	ds_load_b128 v[18:21], v17
	s_waitcnt lgkmcnt(0)
	v_add_f64 v[13:14], v[13:14], v[18:19]
	v_add_f64 v[15:16], v[15:16], v[20:21]
	ds_store_b128 v17, v[13:16]
.LBB545_31:
	s_or_b32 exec_lo, exec_lo, s1
	s_delay_alu instid0(SALU_CYCLE_1)
	s_mov_b32 s1, exec_lo
	s_waitcnt lgkmcnt(0)
	s_barrier
	buffer_gl0_inv
	v_cmpx_gt_u32_e32 0x48, v4
	s_cbranch_execz .LBB545_33
; %bb.32:
	ds_load_b128 v[13:16], v17 offset:1152
	ds_load_b128 v[18:21], v17
	s_waitcnt lgkmcnt(0)
	v_add_f64 v[13:14], v[13:14], v[18:19]
	v_add_f64 v[15:16], v[15:16], v[20:21]
	ds_store_b128 v17, v[13:16]
.LBB545_33:
	s_or_b32 exec_lo, exec_lo, s1
	s_waitcnt lgkmcnt(0)
	s_barrier
	buffer_gl0_inv
	s_and_saveexec_b32 s0, vcc_lo
	s_cbranch_execz .LBB545_35
; %bb.34:
	ds_load_b128 v[13:16], v17 offset:576
	ds_load_b128 v[18:21], v17
	s_waitcnt lgkmcnt(0)
	v_add_f64 v[13:14], v[13:14], v[18:19]
	v_add_f64 v[15:16], v[15:16], v[20:21]
	ds_store_b128 v17, v[13:16]
.LBB545_35:
	s_or_b32 exec_lo, exec_lo, s0
	s_delay_alu instid0(SALU_CYCLE_1)
	s_mov_b32 s0, exec_lo
	s_waitcnt lgkmcnt(0)
	buffer_gl0_inv
	v_cmpx_gt_u32_e32 18, v4
	s_cbranch_execz .LBB545_37
; %bb.36:
	ds_load_b128 v[0:3], v17 offset:288
	ds_load_b128 v[13:16], v17
	s_waitcnt lgkmcnt(0)
	v_add_f64 v[0:1], v[0:1], v[13:14]
	v_add_f64 v[2:3], v[2:3], v[15:16]
.LBB545_37:
	s_or_b32 exec_lo, exec_lo, s0
	s_delay_alu instid0(VALU_DEP_1) | instskip(NEXT) | instid1(VALU_DEP_3)
	v_dual_mov_b32 v16, v3 :: v_dual_mov_b32 v15, v2
	v_dual_mov_b32 v14, v1 :: v_dual_mov_b32 v13, v0
.LBB545_38:
	v_cmp_gt_u32_e32 vcc_lo, 18, v4
	s_and_b32 exec_lo, exec_lo, vcc_lo
	s_cbranch_execz .LBB545_43
; %bb.39:
	s_delay_alu instid0(VALU_DEP_2) | instskip(SKIP_3) | instid1(VALU_DEP_4)
	v_mul_f64 v[0:1], v[15:16], -v[11:12]
	v_mul_f64 v[2:3], v[9:10], v[15:16]
	v_cmp_eq_f64_e32 vcc_lo, 0, v[5:6]
	v_cmp_eq_f64_e64 s0, 0, v[7:8]
	v_fma_f64 v[0:1], v[9:10], v[13:14], v[0:1]
	s_delay_alu instid0(VALU_DEP_4) | instskip(NEXT) | instid1(VALU_DEP_3)
	v_fma_f64 v[2:3], v[11:12], v[13:14], v[2:3]
	s_and_b32 s0, vcc_lo, s0
	s_delay_alu instid0(SALU_CYCLE_1) | instskip(NEXT) | instid1(SALU_CYCLE_1)
	s_and_saveexec_b32 s1, s0
	s_xor_b32 s0, exec_lo, s1
	s_cbranch_execz .LBB545_41
; %bb.40:
	v_mad_u64_u32 v[5:6], null, s12, 18, v[4:5]
	v_mov_b32_e32 v6, 0
                                        ; implicit-def: $vgpr7_vgpr8
	s_delay_alu instid0(VALU_DEP_1) | instskip(NEXT) | instid1(VALU_DEP_1)
	v_lshlrev_b64 v[4:5], 4, v[5:6]
	v_add_co_u32 v4, vcc_lo, s8, v4
	s_delay_alu instid0(VALU_DEP_2)
	v_add_co_ci_u32_e32 v5, vcc_lo, s9, v5, vcc_lo
	global_store_b128 v[4:5], v[0:3], off
                                        ; implicit-def: $vgpr4
                                        ; implicit-def: $vgpr5_vgpr6
                                        ; implicit-def: $vgpr0_vgpr1
.LBB545_41:
	s_and_not1_saveexec_b32 s0, s0
	s_cbranch_execz .LBB545_43
; %bb.42:
	v_mad_u64_u32 v[9:10], null, s12, 18, v[4:5]
	v_mov_b32_e32 v10, 0
	s_delay_alu instid0(VALU_DEP_1) | instskip(NEXT) | instid1(VALU_DEP_1)
	v_lshlrev_b64 v[9:10], 4, v[9:10]
	v_add_co_u32 v13, vcc_lo, s8, v9
	s_delay_alu instid0(VALU_DEP_2) | instskip(SKIP_4) | instid1(VALU_DEP_2)
	v_add_co_ci_u32_e32 v14, vcc_lo, s9, v10, vcc_lo
	global_load_b128 v[9:12], v[13:14], off
	s_waitcnt vmcnt(0)
	v_fma_f64 v[0:1], v[5:6], v[9:10], v[0:1]
	v_fma_f64 v[2:3], v[7:8], v[9:10], v[2:3]
	v_fma_f64 v[0:1], -v[7:8], v[11:12], v[0:1]
	s_delay_alu instid0(VALU_DEP_2)
	v_fma_f64 v[2:3], v[5:6], v[11:12], v[2:3]
	global_store_b128 v[13:14], v[0:3], off
.LBB545_43:
	s_nop 0
	s_sendmsg sendmsg(MSG_DEALLOC_VGPRS)
	s_endpgm
	.section	.rodata,"a",@progbits
	.p2align	6, 0x0
	.amdhsa_kernel _ZN9rocsparseL20bsrxmvn_17_32_kernelILj18E21rocsparse_complex_numIdEliS1_IfES2_S2_EEvT2_20rocsparse_direction_NS_24const_host_device_scalarIT0_EES4_PKS4_PKT1_SD_SA_PKT3_PKT4_S8_PT5_21rocsparse_index_base_b
		.amdhsa_group_segment_fixed_size 10368
		.amdhsa_private_segment_fixed_size 0
		.amdhsa_kernarg_size 112
		.amdhsa_user_sgpr_count 15
		.amdhsa_user_sgpr_dispatch_ptr 1
		.amdhsa_user_sgpr_queue_ptr 0
		.amdhsa_user_sgpr_kernarg_segment_ptr 1
		.amdhsa_user_sgpr_dispatch_id 0
		.amdhsa_user_sgpr_private_segment_size 0
		.amdhsa_wavefront_size32 1
		.amdhsa_uses_dynamic_stack 0
		.amdhsa_enable_private_segment 0
		.amdhsa_system_sgpr_workgroup_id_x 1
		.amdhsa_system_sgpr_workgroup_id_y 0
		.amdhsa_system_sgpr_workgroup_id_z 0
		.amdhsa_system_sgpr_workgroup_info 0
		.amdhsa_system_vgpr_workitem_id 2
		.amdhsa_next_free_vgpr 28
		.amdhsa_next_free_sgpr 21
		.amdhsa_reserve_vcc 1
		.amdhsa_float_round_mode_32 0
		.amdhsa_float_round_mode_16_64 0
		.amdhsa_float_denorm_mode_32 3
		.amdhsa_float_denorm_mode_16_64 3
		.amdhsa_dx10_clamp 1
		.amdhsa_ieee_mode 1
		.amdhsa_fp16_overflow 0
		.amdhsa_workgroup_processor_mode 1
		.amdhsa_memory_ordered 1
		.amdhsa_forward_progress 0
		.amdhsa_shared_vgpr_count 0
		.amdhsa_exception_fp_ieee_invalid_op 0
		.amdhsa_exception_fp_denorm_src 0
		.amdhsa_exception_fp_ieee_div_zero 0
		.amdhsa_exception_fp_ieee_overflow 0
		.amdhsa_exception_fp_ieee_underflow 0
		.amdhsa_exception_fp_ieee_inexact 0
		.amdhsa_exception_int_div_zero 0
	.end_amdhsa_kernel
	.section	.text._ZN9rocsparseL20bsrxmvn_17_32_kernelILj18E21rocsparse_complex_numIdEliS1_IfES2_S2_EEvT2_20rocsparse_direction_NS_24const_host_device_scalarIT0_EES4_PKS4_PKT1_SD_SA_PKT3_PKT4_S8_PT5_21rocsparse_index_base_b,"axG",@progbits,_ZN9rocsparseL20bsrxmvn_17_32_kernelILj18E21rocsparse_complex_numIdEliS1_IfES2_S2_EEvT2_20rocsparse_direction_NS_24const_host_device_scalarIT0_EES4_PKS4_PKT1_SD_SA_PKT3_PKT4_S8_PT5_21rocsparse_index_base_b,comdat
.Lfunc_end545:
	.size	_ZN9rocsparseL20bsrxmvn_17_32_kernelILj18E21rocsparse_complex_numIdEliS1_IfES2_S2_EEvT2_20rocsparse_direction_NS_24const_host_device_scalarIT0_EES4_PKS4_PKT1_SD_SA_PKT3_PKT4_S8_PT5_21rocsparse_index_base_b, .Lfunc_end545-_ZN9rocsparseL20bsrxmvn_17_32_kernelILj18E21rocsparse_complex_numIdEliS1_IfES2_S2_EEvT2_20rocsparse_direction_NS_24const_host_device_scalarIT0_EES4_PKS4_PKT1_SD_SA_PKT3_PKT4_S8_PT5_21rocsparse_index_base_b
                                        ; -- End function
	.section	.AMDGPU.csdata,"",@progbits
; Kernel info:
; codeLenInByte = 2168
; NumSgprs: 23
; NumVgprs: 28
; ScratchSize: 0
; MemoryBound: 0
; FloatMode: 240
; IeeeMode: 1
; LDSByteSize: 10368 bytes/workgroup (compile time only)
; SGPRBlocks: 2
; VGPRBlocks: 3
; NumSGPRsForWavesPerEU: 23
; NumVGPRsForWavesPerEU: 28
; Occupancy: 14
; WaveLimiterHint : 1
; COMPUTE_PGM_RSRC2:SCRATCH_EN: 0
; COMPUTE_PGM_RSRC2:USER_SGPR: 15
; COMPUTE_PGM_RSRC2:TRAP_HANDLER: 0
; COMPUTE_PGM_RSRC2:TGID_X_EN: 1
; COMPUTE_PGM_RSRC2:TGID_Y_EN: 0
; COMPUTE_PGM_RSRC2:TGID_Z_EN: 0
; COMPUTE_PGM_RSRC2:TIDIG_COMP_CNT: 2
	.section	.text._ZN9rocsparseL20bsrxmvn_17_32_kernelILj19E21rocsparse_complex_numIdEliS1_IfES2_S2_EEvT2_20rocsparse_direction_NS_24const_host_device_scalarIT0_EES4_PKS4_PKT1_SD_SA_PKT3_PKT4_S8_PT5_21rocsparse_index_base_b,"axG",@progbits,_ZN9rocsparseL20bsrxmvn_17_32_kernelILj19E21rocsparse_complex_numIdEliS1_IfES2_S2_EEvT2_20rocsparse_direction_NS_24const_host_device_scalarIT0_EES4_PKS4_PKT1_SD_SA_PKT3_PKT4_S8_PT5_21rocsparse_index_base_b,comdat
	.globl	_ZN9rocsparseL20bsrxmvn_17_32_kernelILj19E21rocsparse_complex_numIdEliS1_IfES2_S2_EEvT2_20rocsparse_direction_NS_24const_host_device_scalarIT0_EES4_PKS4_PKT1_SD_SA_PKT3_PKT4_S8_PT5_21rocsparse_index_base_b ; -- Begin function _ZN9rocsparseL20bsrxmvn_17_32_kernelILj19E21rocsparse_complex_numIdEliS1_IfES2_S2_EEvT2_20rocsparse_direction_NS_24const_host_device_scalarIT0_EES4_PKS4_PKT1_SD_SA_PKT3_PKT4_S8_PT5_21rocsparse_index_base_b
	.p2align	8
	.type	_ZN9rocsparseL20bsrxmvn_17_32_kernelILj19E21rocsparse_complex_numIdEliS1_IfES2_S2_EEvT2_20rocsparse_direction_NS_24const_host_device_scalarIT0_EES4_PKS4_PKT1_SD_SA_PKT3_PKT4_S8_PT5_21rocsparse_index_base_b,@function
_ZN9rocsparseL20bsrxmvn_17_32_kernelILj19E21rocsparse_complex_numIdEliS1_IfES2_S2_EEvT2_20rocsparse_direction_NS_24const_host_device_scalarIT0_EES4_PKS4_PKT1_SD_SA_PKT3_PKT4_S8_PT5_21rocsparse_index_base_b: ; @_ZN9rocsparseL20bsrxmvn_17_32_kernelILj19E21rocsparse_complex_numIdEliS1_IfES2_S2_EEvT2_20rocsparse_direction_NS_24const_host_device_scalarIT0_EES4_PKS4_PKT1_SD_SA_PKT3_PKT4_S8_PT5_21rocsparse_index_base_b
; %bb.0:
	s_mov_b32 s12, s15
	s_clause 0x1
	s_load_b64 s[14:15], s[2:3], 0x68
	s_load_b128 s[4:7], s[2:3], 0x8
	s_load_b64 s[16:17], s[0:1], 0x4
	s_mov_b64 s[0:1], src_shared_base
	v_and_b32_e32 v4, 0x3ff, v0
	s_load_b128 s[8:11], s[2:3], 0x50
	v_bfe_u32 v2, v0, 10, 10
	v_bfe_u32 v0, v0, 20, 10
	s_waitcnt lgkmcnt(0)
	s_bitcmp1_b32 s15, 0
	v_mov_b32_e32 v12, s7
	s_cselect_b32 s0, -1, 0
	v_mov_b32_e32 v11, s6
	s_and_b32 vcc_lo, s0, exec_lo
	s_cselect_b32 s13, s1, s5
	s_lshr_b32 s15, s16, 16
	v_mov_b32_e32 v6, s13
	s_mul_i32 s15, s15, s17
	s_xor_b32 s6, s0, -1
	v_mul_lo_u32 v1, s15, v4
	s_delay_alu instid0(VALU_DEP_1) | instskip(SKIP_1) | instid1(VALU_DEP_2)
	v_mad_u32_u24 v1, v2, s17, v1
	v_dual_mov_b32 v2, s8 :: v_dual_mov_b32 v3, s9
	v_add_lshl_u32 v7, v1, v0, 3
	v_dual_mov_b32 v0, s4 :: v_dual_mov_b32 v1, s5
	ds_store_b64 v7, v[0:1] offset:8664
	ds_store_b64 v7, v[2:3] offset:5776
	v_add_nc_u32_e32 v5, 0x21d8, v7
	v_add_nc_u32_e32 v0, 0x1690, v7
	s_delay_alu instid0(VALU_DEP_2)
	v_cndmask_b32_e64 v5, s4, v5, s0
	flat_load_b64 v[9:10], v[5:6]
	s_cbranch_vccnz .LBB546_2
; %bb.1:
	v_dual_mov_b32 v1, s4 :: v_dual_mov_b32 v2, s5
	flat_load_b64 v[11:12], v[1:2] offset:8
.LBB546_2:
	s_and_b32 s4, s0, exec_lo
	s_cselect_b32 s1, s1, s9
	v_cndmask_b32_e64 v0, s8, v0, s0
	v_mov_b32_e32 v1, s1
	v_dual_mov_b32 v7, s10 :: v_dual_mov_b32 v8, s11
	s_and_not1_b32 vcc_lo, exec_lo, s6
	flat_load_b64 v[5:6], v[0:1]
	s_cbranch_vccnz .LBB546_4
; %bb.3:
	v_dual_mov_b32 v0, s8 :: v_dual_mov_b32 v1, s9
	flat_load_b64 v[7:8], v[0:1] offset:8
.LBB546_4:
	s_waitcnt vmcnt(1) lgkmcnt(1)
	v_cmp_eq_f64_e32 vcc_lo, 0, v[9:10]
	v_cmp_eq_f64_e64 s0, 0, v[11:12]
	s_delay_alu instid0(VALU_DEP_1)
	s_and_b32 s4, vcc_lo, s0
	s_mov_b32 s0, -1
	s_and_saveexec_b32 s1, s4
	s_cbranch_execz .LBB546_6
; %bb.5:
	s_waitcnt vmcnt(0) lgkmcnt(0)
	v_cmp_neq_f64_e32 vcc_lo, 1.0, v[5:6]
	v_cmp_neq_f64_e64 s0, 0, v[7:8]
	s_delay_alu instid0(VALU_DEP_1) | instskip(NEXT) | instid1(SALU_CYCLE_1)
	s_or_b32 s0, vcc_lo, s0
	s_or_not1_b32 s0, s0, exec_lo
.LBB546_6:
	s_or_b32 exec_lo, exec_lo, s1
	s_and_saveexec_b32 s1, s0
	s_cbranch_execz .LBB546_43
; %bb.7:
	s_clause 0x1
	s_load_b128 s[4:7], s[2:3], 0x20
	s_load_b64 s[8:9], s[2:3], 0x30
	s_waitcnt lgkmcnt(0)
	s_cmp_eq_u64 s[4:5], 0
	s_cbranch_scc1 .LBB546_9
; %bb.8:
	s_ashr_i32 s13, s12, 31
	s_delay_alu instid0(SALU_CYCLE_1) | instskip(NEXT) | instid1(SALU_CYCLE_1)
	s_lshl_b64 s[0:1], s[12:13], 2
	s_add_u32 s0, s4, s0
	s_addc_u32 s1, s5, s1
	s_load_b32 s0, s[0:1], 0x0
	s_waitcnt lgkmcnt(0)
	s_sub_i32 s12, s0, s14
.LBB546_9:
	s_load_b32 s1, s[2:3], 0x4
	v_mul_u32_u24_e32 v0, 0xd7a, v4
	v_mov_b32_e32 v2, 0
	v_mov_b32_e32 v3, 0
	s_delay_alu instid0(VALU_DEP_3) | instskip(NEXT) | instid1(VALU_DEP_1)
	v_lshrrev_b32_e32 v13, 16, v0
	v_mul_lo_u16 v0, v13, 19
	s_delay_alu instid0(VALU_DEP_1) | instskip(NEXT) | instid1(VALU_DEP_4)
	v_sub_nc_u16 v18, v4, v0
	v_dual_mov_b32 v0, v2 :: v_dual_mov_b32 v1, v3
	s_waitcnt lgkmcnt(0)
	s_cmp_eq_u32 s1, 1
	s_cselect_b32 s0, -1, 0
	s_cmp_lg_u32 s1, 1
	s_cselect_b32 s1, -1, 0
	s_ashr_i32 s13, s12, 31
	s_delay_alu instid0(SALU_CYCLE_1) | instskip(NEXT) | instid1(SALU_CYCLE_1)
	s_lshl_b64 s[4:5], s[12:13], 3
	s_add_u32 s6, s6, s4
	s_addc_u32 s7, s7, s5
	s_add_u32 s10, s6, 8
	s_addc_u32 s11, s7, 0
	;; [unrolled: 2-line block ×3, first 2 shown]
	s_cmp_eq_u64 s[8:9], 0
	s_load_b64 s[8:9], s[2:3], 0x60
	s_cselect_b32 s5, s11, s5
	s_cselect_b32 s4, s10, s4
	s_load_b64 s[18:19], s[6:7], 0x0
	s_load_b64 s[16:17], s[4:5], 0x0
	s_waitcnt lgkmcnt(0)
	v_cmp_ge_i64_e64 s4, s[18:19], s[16:17]
	s_delay_alu instid0(VALU_DEP_1)
	s_and_b32 vcc_lo, exec_lo, s4
	s_cbranch_vccnz .LBB546_14
; %bb.10:
	v_mul_lo_u16 v0, v13, 14
	v_and_b32_e32 v1, 0xffff, v4
	s_clause 0x1
	s_load_b64 s[10:11], s[2:3], 0x48
	s_load_b128 s[4:7], s[2:3], 0x38
	s_sub_u32 s2, s16, s14
	s_subb_u32 s3, s17, 0
	v_lshrrev_b16 v0, 8, v0
	v_mul_u32_u24_e32 v1, 0xb6, v1
	v_and_b32_e32 v2, 0xffff, v18
	s_sub_u32 s16, s18, s14
	s_subb_u32 s17, s19, 0
	v_mul_lo_u16 v0, v0, 19
	v_lshrrev_b32_e32 v19, 16, v1
	s_mul_hi_u32 s13, s16, 0xb48
	s_mul_i32 s20, s17, 0xb48
	s_mul_i32 s15, s16, 0xb48
	v_sub_nc_u16 v0, v13, v0
	v_add_co_u32 v1, s18, s18, v19
	s_delay_alu instid0(VALU_DEP_1) | instskip(NEXT) | instid1(VALU_DEP_3)
	v_add_co_ci_u32_e64 v3, null, s19, 0, s18
	v_and_b32_e32 v0, 0xff, v0
	s_add_i32 s13, s13, s20
	s_delay_alu instid0(VALU_DEP_1) | instskip(SKIP_4) | instid1(VALU_DEP_3)
	v_cndmask_b32_e64 v13, v2, v0, s0
	v_sub_co_u32 v0, vcc_lo, v1, s14
	v_subrev_co_ci_u32_e32 v1, vcc_lo, 0, v3, vcc_lo
	v_mov_b32_e32 v2, 0
	v_dual_mov_b32 v3, 0 :: v_dual_lshlrev_b32 v14, 3, v4
	v_lshlrev_b64 v[0:1], 2, v[0:1]
	s_waitcnt lgkmcnt(0)
	s_add_u32 s0, s6, s15
	s_addc_u32 s6, s7, s13
	s_delay_alu instid0(VALU_DEP_1) | instskip(NEXT) | instid1(VALU_DEP_2)
	v_add_co_u32 v16, vcc_lo, s4, v0
	v_add_co_ci_u32_e32 v17, vcc_lo, s5, v1, vcc_lo
	v_dual_mov_b32 v0, v2 :: v_dual_mov_b32 v1, v3
	v_add_co_u32 v14, s0, s0, v14
	s_delay_alu instid0(VALU_DEP_1)
	v_add_co_ci_u32_e64 v15, null, s6, 0, s0
	s_set_inst_prefetch_distance 0x1
	s_branch .LBB546_12
	.p2align	6
.LBB546_11:                             ;   in Loop: Header=BB546_12 Depth=1
	s_or_b32 exec_lo, exec_lo, s0
	s_add_u32 s16, s16, 1
	s_addc_u32 s17, s17, 0
	v_add_co_u32 v16, vcc_lo, v16, 4
	v_cmp_lt_i64_e64 s0, s[16:17], s[2:3]
	v_add_co_ci_u32_e32 v17, vcc_lo, 0, v17, vcc_lo
	s_delay_alu instid0(VALU_DEP_2)
	s_and_b32 vcc_lo, exec_lo, s0
	s_cbranch_vccz .LBB546_14
.LBB546_12:                             ; =>This Inner Loop Header: Depth=1
	v_add_co_u32 v20, s0, v19, s16
	s_delay_alu instid0(VALU_DEP_1) | instskip(SKIP_1) | instid1(VALU_DEP_1)
	v_add_co_ci_u32_e64 v21, null, 0, s17, s0
	s_mov_b32 s0, exec_lo
	v_cmpx_gt_i64_e64 s[2:3], v[20:21]
	s_cbranch_execz .LBB546_11
; %bb.13:                               ;   in Loop: Header=BB546_12 Depth=1
	global_load_b32 v20, v[16:17], off
	global_load_b64 v[24:25], v[14:15], off
	s_waitcnt vmcnt(1)
	v_subrev_nc_u32_e32 v22, s14, v20
	s_waitcnt vmcnt(0)
	v_cvt_f64_f32_e32 v[26:27], v24
	v_cvt_f64_f32_e32 v[24:25], v25
	s_delay_alu instid0(VALU_DEP_3) | instskip(NEXT) | instid1(VALU_DEP_1)
	v_mad_u64_u32 v[20:21], null, v22, 19, v[13:14]
	v_ashrrev_i32_e32 v21, 31, v20
	s_delay_alu instid0(VALU_DEP_1) | instskip(NEXT) | instid1(VALU_DEP_1)
	v_lshlrev_b64 v[20:21], 4, v[20:21]
	v_add_co_u32 v20, vcc_lo, s10, v20
	s_delay_alu instid0(VALU_DEP_2)
	v_add_co_ci_u32_e32 v21, vcc_lo, s11, v21, vcc_lo
	v_add_co_u32 v14, vcc_lo, 0xb48, v14
	v_add_co_ci_u32_e32 v15, vcc_lo, 0, v15, vcc_lo
	global_load_b128 v[20:23], v[20:21], off
	s_waitcnt vmcnt(0)
	v_fma_f64 v[0:1], v[26:27], v[20:21], v[0:1]
	v_fma_f64 v[2:3], v[24:25], v[20:21], v[2:3]
	s_delay_alu instid0(VALU_DEP_2) | instskip(NEXT) | instid1(VALU_DEP_2)
	v_fma_f64 v[0:1], -v[24:25], v[22:23], v[0:1]
	v_fma_f64 v[2:3], v[26:27], v[22:23], v[2:3]
	s_branch .LBB546_11
.LBB546_14:
	s_set_inst_prefetch_distance 0x2
	v_lshlrev_b32_e32 v17, 4, v4
	s_and_b32 vcc_lo, exec_lo, s1
	ds_store_b128 v17, v[0:3]
	s_waitcnt vmcnt(0) lgkmcnt(0)
	s_barrier
	buffer_gl0_inv
	s_cbranch_vccz .LBB546_26
; %bb.15:
	s_mov_b32 s0, exec_lo
	v_cmpx_gt_u16_e32 3, v18
	s_cbranch_execz .LBB546_17
; %bb.16:
	ds_load_b128 v[13:16], v17 offset:256
	ds_load_b128 v[19:22], v17
	s_waitcnt lgkmcnt(0)
	v_add_f64 v[13:14], v[13:14], v[19:20]
	v_add_f64 v[15:16], v[15:16], v[21:22]
	ds_store_b128 v17, v[13:16]
.LBB546_17:
	s_or_b32 exec_lo, exec_lo, s0
	s_delay_alu instid0(SALU_CYCLE_1)
	s_mov_b32 s0, exec_lo
	s_waitcnt lgkmcnt(0)
	s_barrier
	buffer_gl0_inv
	v_cmpx_gt_u16_e32 8, v18
	s_cbranch_execz .LBB546_19
; %bb.18:
	ds_load_b128 v[13:16], v17 offset:128
	ds_load_b128 v[19:22], v17
	s_waitcnt lgkmcnt(0)
	v_add_f64 v[13:14], v[13:14], v[19:20]
	v_add_f64 v[15:16], v[15:16], v[21:22]
	ds_store_b128 v17, v[13:16]
.LBB546_19:
	s_or_b32 exec_lo, exec_lo, s0
	s_delay_alu instid0(SALU_CYCLE_1)
	s_mov_b32 s0, exec_lo
	s_waitcnt lgkmcnt(0)
	s_barrier
	buffer_gl0_inv
	;; [unrolled: 16-line block ×3, first 2 shown]
	v_cmpx_gt_u16_e32 2, v18
	s_cbranch_execz .LBB546_23
; %bb.22:
	ds_load_b128 v[13:16], v17
	ds_load_b128 v[18:21], v17 offset:32
	s_waitcnt lgkmcnt(0)
	v_add_f64 v[13:14], v[18:19], v[13:14]
	v_add_f64 v[15:16], v[20:21], v[15:16]
	ds_store_b128 v17, v[13:16]
.LBB546_23:
	s_or_b32 exec_lo, exec_lo, s0
	v_dual_mov_b32 v16, v3 :: v_dual_mov_b32 v15, v2
	v_dual_mov_b32 v14, v1 :: v_dual_mov_b32 v13, v0
	s_mov_b32 s0, exec_lo
	s_waitcnt lgkmcnt(0)
	s_barrier
	buffer_gl0_inv
	v_cmpx_gt_u32_e32 19, v4
	s_cbranch_execz .LBB546_25
; %bb.24:
	v_mul_u32_u24_e32 v13, 19, v4
	s_delay_alu instid0(VALU_DEP_1)
	v_lshlrev_b32_e32 v18, 4, v13
	ds_load_b128 v[13:16], v18
	ds_load_b128 v[18:21], v18 offset:16
	s_waitcnt lgkmcnt(0)
	v_add_f64 v[13:14], v[18:19], v[13:14]
	v_add_f64 v[15:16], v[20:21], v[15:16]
.LBB546_25:
	s_or_b32 exec_lo, exec_lo, s0
	s_branch .LBB546_38
.LBB546_26:
                                        ; implicit-def: $vgpr15_vgpr16
                                        ; implicit-def: $vgpr13_vgpr14
	s_cbranch_execz .LBB546_38
; %bb.27:
	s_mov_b32 s0, exec_lo
	v_cmpx_gt_u32_e32 57, v4
	s_cbranch_execz .LBB546_29
; %bb.28:
	ds_load_b128 v[13:16], v17 offset:4864
	ds_load_b128 v[18:21], v17
	s_waitcnt lgkmcnt(0)
	v_add_f64 v[13:14], v[13:14], v[18:19]
	v_add_f64 v[15:16], v[15:16], v[20:21]
	ds_store_b128 v17, v[13:16]
.LBB546_29:
	s_or_b32 exec_lo, exec_lo, s0
	s_delay_alu instid0(SALU_CYCLE_1)
	s_mov_b32 s0, exec_lo
	s_waitcnt lgkmcnt(0)
	s_barrier
	buffer_gl0_inv
	v_cmpx_gt_u32_e32 0x98, v4
	s_cbranch_execz .LBB546_31
; %bb.30:
	ds_load_b128 v[13:16], v17 offset:2432
	ds_load_b128 v[18:21], v17
	s_waitcnt lgkmcnt(0)
	v_add_f64 v[13:14], v[13:14], v[18:19]
	v_add_f64 v[15:16], v[15:16], v[20:21]
	ds_store_b128 v17, v[13:16]
.LBB546_31:
	s_or_b32 exec_lo, exec_lo, s0
	s_delay_alu instid0(SALU_CYCLE_1)
	s_mov_b32 s0, exec_lo
	s_waitcnt lgkmcnt(0)
	s_barrier
	buffer_gl0_inv
	;; [unrolled: 16-line block ×3, first 2 shown]
	v_cmpx_gt_u32_e32 38, v4
	s_cbranch_execz .LBB546_35
; %bb.34:
	ds_load_b128 v[13:16], v17 offset:608
	ds_load_b128 v[18:21], v17
	s_waitcnt lgkmcnt(0)
	v_add_f64 v[13:14], v[13:14], v[18:19]
	v_add_f64 v[15:16], v[15:16], v[20:21]
	ds_store_b128 v17, v[13:16]
.LBB546_35:
	s_or_b32 exec_lo, exec_lo, s0
	s_delay_alu instid0(SALU_CYCLE_1)
	s_mov_b32 s0, exec_lo
	s_waitcnt lgkmcnt(0)
	buffer_gl0_inv
	v_cmpx_gt_u32_e32 19, v4
	s_cbranch_execz .LBB546_37
; %bb.36:
	ds_load_b128 v[0:3], v17 offset:304
	ds_load_b128 v[13:16], v17
	s_waitcnt lgkmcnt(0)
	v_add_f64 v[0:1], v[0:1], v[13:14]
	v_add_f64 v[2:3], v[2:3], v[15:16]
.LBB546_37:
	s_or_b32 exec_lo, exec_lo, s0
	s_delay_alu instid0(VALU_DEP_1) | instskip(NEXT) | instid1(VALU_DEP_3)
	v_dual_mov_b32 v16, v3 :: v_dual_mov_b32 v15, v2
	v_dual_mov_b32 v14, v1 :: v_dual_mov_b32 v13, v0
.LBB546_38:
	v_cmp_gt_u32_e32 vcc_lo, 19, v4
	s_and_b32 exec_lo, exec_lo, vcc_lo
	s_cbranch_execz .LBB546_43
; %bb.39:
	s_delay_alu instid0(VALU_DEP_2) | instskip(SKIP_3) | instid1(VALU_DEP_4)
	v_mul_f64 v[0:1], v[15:16], -v[11:12]
	v_mul_f64 v[2:3], v[9:10], v[15:16]
	v_cmp_eq_f64_e32 vcc_lo, 0, v[5:6]
	v_cmp_eq_f64_e64 s0, 0, v[7:8]
	v_fma_f64 v[0:1], v[9:10], v[13:14], v[0:1]
	s_delay_alu instid0(VALU_DEP_4) | instskip(NEXT) | instid1(VALU_DEP_3)
	v_fma_f64 v[2:3], v[11:12], v[13:14], v[2:3]
	s_and_b32 s0, vcc_lo, s0
	s_delay_alu instid0(SALU_CYCLE_1) | instskip(NEXT) | instid1(SALU_CYCLE_1)
	s_and_saveexec_b32 s1, s0
	s_xor_b32 s0, exec_lo, s1
	s_cbranch_execz .LBB546_41
; %bb.40:
	v_mad_u64_u32 v[5:6], null, s12, 19, v[4:5]
	v_mov_b32_e32 v6, 0
                                        ; implicit-def: $vgpr7_vgpr8
	s_delay_alu instid0(VALU_DEP_1) | instskip(NEXT) | instid1(VALU_DEP_1)
	v_lshlrev_b64 v[4:5], 4, v[5:6]
	v_add_co_u32 v4, vcc_lo, s8, v4
	s_delay_alu instid0(VALU_DEP_2)
	v_add_co_ci_u32_e32 v5, vcc_lo, s9, v5, vcc_lo
	global_store_b128 v[4:5], v[0:3], off
                                        ; implicit-def: $vgpr4
                                        ; implicit-def: $vgpr5_vgpr6
                                        ; implicit-def: $vgpr0_vgpr1
.LBB546_41:
	s_and_not1_saveexec_b32 s0, s0
	s_cbranch_execz .LBB546_43
; %bb.42:
	v_mad_u64_u32 v[9:10], null, s12, 19, v[4:5]
	v_mov_b32_e32 v10, 0
	s_delay_alu instid0(VALU_DEP_1) | instskip(NEXT) | instid1(VALU_DEP_1)
	v_lshlrev_b64 v[9:10], 4, v[9:10]
	v_add_co_u32 v13, vcc_lo, s8, v9
	s_delay_alu instid0(VALU_DEP_2) | instskip(SKIP_4) | instid1(VALU_DEP_2)
	v_add_co_ci_u32_e32 v14, vcc_lo, s9, v10, vcc_lo
	global_load_b128 v[9:12], v[13:14], off
	s_waitcnt vmcnt(0)
	v_fma_f64 v[0:1], v[5:6], v[9:10], v[0:1]
	v_fma_f64 v[2:3], v[7:8], v[9:10], v[2:3]
	v_fma_f64 v[0:1], -v[7:8], v[11:12], v[0:1]
	s_delay_alu instid0(VALU_DEP_2)
	v_fma_f64 v[2:3], v[5:6], v[11:12], v[2:3]
	global_store_b128 v[13:14], v[0:3], off
.LBB546_43:
	s_nop 0
	s_sendmsg sendmsg(MSG_DEALLOC_VGPRS)
	s_endpgm
	.section	.rodata,"a",@progbits
	.p2align	6, 0x0
	.amdhsa_kernel _ZN9rocsparseL20bsrxmvn_17_32_kernelILj19E21rocsparse_complex_numIdEliS1_IfES2_S2_EEvT2_20rocsparse_direction_NS_24const_host_device_scalarIT0_EES4_PKS4_PKT1_SD_SA_PKT3_PKT4_S8_PT5_21rocsparse_index_base_b
		.amdhsa_group_segment_fixed_size 11552
		.amdhsa_private_segment_fixed_size 0
		.amdhsa_kernarg_size 112
		.amdhsa_user_sgpr_count 15
		.amdhsa_user_sgpr_dispatch_ptr 1
		.amdhsa_user_sgpr_queue_ptr 0
		.amdhsa_user_sgpr_kernarg_segment_ptr 1
		.amdhsa_user_sgpr_dispatch_id 0
		.amdhsa_user_sgpr_private_segment_size 0
		.amdhsa_wavefront_size32 1
		.amdhsa_uses_dynamic_stack 0
		.amdhsa_enable_private_segment 0
		.amdhsa_system_sgpr_workgroup_id_x 1
		.amdhsa_system_sgpr_workgroup_id_y 0
		.amdhsa_system_sgpr_workgroup_id_z 0
		.amdhsa_system_sgpr_workgroup_info 0
		.amdhsa_system_vgpr_workitem_id 2
		.amdhsa_next_free_vgpr 28
		.amdhsa_next_free_sgpr 21
		.amdhsa_reserve_vcc 1
		.amdhsa_float_round_mode_32 0
		.amdhsa_float_round_mode_16_64 0
		.amdhsa_float_denorm_mode_32 3
		.amdhsa_float_denorm_mode_16_64 3
		.amdhsa_dx10_clamp 1
		.amdhsa_ieee_mode 1
		.amdhsa_fp16_overflow 0
		.amdhsa_workgroup_processor_mode 1
		.amdhsa_memory_ordered 1
		.amdhsa_forward_progress 0
		.amdhsa_shared_vgpr_count 0
		.amdhsa_exception_fp_ieee_invalid_op 0
		.amdhsa_exception_fp_denorm_src 0
		.amdhsa_exception_fp_ieee_div_zero 0
		.amdhsa_exception_fp_ieee_overflow 0
		.amdhsa_exception_fp_ieee_underflow 0
		.amdhsa_exception_fp_ieee_inexact 0
		.amdhsa_exception_int_div_zero 0
	.end_amdhsa_kernel
	.section	.text._ZN9rocsparseL20bsrxmvn_17_32_kernelILj19E21rocsparse_complex_numIdEliS1_IfES2_S2_EEvT2_20rocsparse_direction_NS_24const_host_device_scalarIT0_EES4_PKS4_PKT1_SD_SA_PKT3_PKT4_S8_PT5_21rocsparse_index_base_b,"axG",@progbits,_ZN9rocsparseL20bsrxmvn_17_32_kernelILj19E21rocsparse_complex_numIdEliS1_IfES2_S2_EEvT2_20rocsparse_direction_NS_24const_host_device_scalarIT0_EES4_PKS4_PKT1_SD_SA_PKT3_PKT4_S8_PT5_21rocsparse_index_base_b,comdat
.Lfunc_end546:
	.size	_ZN9rocsparseL20bsrxmvn_17_32_kernelILj19E21rocsparse_complex_numIdEliS1_IfES2_S2_EEvT2_20rocsparse_direction_NS_24const_host_device_scalarIT0_EES4_PKS4_PKT1_SD_SA_PKT3_PKT4_S8_PT5_21rocsparse_index_base_b, .Lfunc_end546-_ZN9rocsparseL20bsrxmvn_17_32_kernelILj19E21rocsparse_complex_numIdEliS1_IfES2_S2_EEvT2_20rocsparse_direction_NS_24const_host_device_scalarIT0_EES4_PKS4_PKT1_SD_SA_PKT3_PKT4_S8_PT5_21rocsparse_index_base_b
                                        ; -- End function
	.section	.AMDGPU.csdata,"",@progbits
; Kernel info:
; codeLenInByte = 2184
; NumSgprs: 23
; NumVgprs: 28
; ScratchSize: 0
; MemoryBound: 0
; FloatMode: 240
; IeeeMode: 1
; LDSByteSize: 11552 bytes/workgroup (compile time only)
; SGPRBlocks: 2
; VGPRBlocks: 3
; NumSGPRsForWavesPerEU: 23
; NumVGPRsForWavesPerEU: 28
; Occupancy: 15
; WaveLimiterHint : 1
; COMPUTE_PGM_RSRC2:SCRATCH_EN: 0
; COMPUTE_PGM_RSRC2:USER_SGPR: 15
; COMPUTE_PGM_RSRC2:TRAP_HANDLER: 0
; COMPUTE_PGM_RSRC2:TGID_X_EN: 1
; COMPUTE_PGM_RSRC2:TGID_Y_EN: 0
; COMPUTE_PGM_RSRC2:TGID_Z_EN: 0
; COMPUTE_PGM_RSRC2:TIDIG_COMP_CNT: 2
	.section	.text._ZN9rocsparseL20bsrxmvn_17_32_kernelILj20E21rocsparse_complex_numIdEliS1_IfES2_S2_EEvT2_20rocsparse_direction_NS_24const_host_device_scalarIT0_EES4_PKS4_PKT1_SD_SA_PKT3_PKT4_S8_PT5_21rocsparse_index_base_b,"axG",@progbits,_ZN9rocsparseL20bsrxmvn_17_32_kernelILj20E21rocsparse_complex_numIdEliS1_IfES2_S2_EEvT2_20rocsparse_direction_NS_24const_host_device_scalarIT0_EES4_PKS4_PKT1_SD_SA_PKT3_PKT4_S8_PT5_21rocsparse_index_base_b,comdat
	.globl	_ZN9rocsparseL20bsrxmvn_17_32_kernelILj20E21rocsparse_complex_numIdEliS1_IfES2_S2_EEvT2_20rocsparse_direction_NS_24const_host_device_scalarIT0_EES4_PKS4_PKT1_SD_SA_PKT3_PKT4_S8_PT5_21rocsparse_index_base_b ; -- Begin function _ZN9rocsparseL20bsrxmvn_17_32_kernelILj20E21rocsparse_complex_numIdEliS1_IfES2_S2_EEvT2_20rocsparse_direction_NS_24const_host_device_scalarIT0_EES4_PKS4_PKT1_SD_SA_PKT3_PKT4_S8_PT5_21rocsparse_index_base_b
	.p2align	8
	.type	_ZN9rocsparseL20bsrxmvn_17_32_kernelILj20E21rocsparse_complex_numIdEliS1_IfES2_S2_EEvT2_20rocsparse_direction_NS_24const_host_device_scalarIT0_EES4_PKS4_PKT1_SD_SA_PKT3_PKT4_S8_PT5_21rocsparse_index_base_b,@function
_ZN9rocsparseL20bsrxmvn_17_32_kernelILj20E21rocsparse_complex_numIdEliS1_IfES2_S2_EEvT2_20rocsparse_direction_NS_24const_host_device_scalarIT0_EES4_PKS4_PKT1_SD_SA_PKT3_PKT4_S8_PT5_21rocsparse_index_base_b: ; @_ZN9rocsparseL20bsrxmvn_17_32_kernelILj20E21rocsparse_complex_numIdEliS1_IfES2_S2_EEvT2_20rocsparse_direction_NS_24const_host_device_scalarIT0_EES4_PKS4_PKT1_SD_SA_PKT3_PKT4_S8_PT5_21rocsparse_index_base_b
; %bb.0:
	s_mov_b32 s12, s15
	s_clause 0x1
	s_load_b64 s[14:15], s[2:3], 0x68
	s_load_b128 s[4:7], s[2:3], 0x8
	s_load_b64 s[16:17], s[0:1], 0x4
	s_mov_b64 s[0:1], src_shared_base
	v_and_b32_e32 v4, 0x3ff, v0
	s_load_b128 s[8:11], s[2:3], 0x50
	v_bfe_u32 v2, v0, 10, 10
	v_bfe_u32 v0, v0, 20, 10
	s_waitcnt lgkmcnt(0)
	s_bitcmp1_b32 s15, 0
	v_mov_b32_e32 v12, s7
	s_cselect_b32 s0, -1, 0
	v_mov_b32_e32 v11, s6
	s_and_b32 vcc_lo, s0, exec_lo
	s_cselect_b32 s13, s1, s5
	s_lshr_b32 s15, s16, 16
	v_mov_b32_e32 v6, s13
	s_mul_i32 s15, s15, s17
	s_xor_b32 s6, s0, -1
	v_mul_lo_u32 v1, s15, v4
	s_delay_alu instid0(VALU_DEP_1) | instskip(SKIP_1) | instid1(VALU_DEP_2)
	v_mad_u32_u24 v1, v2, s17, v1
	v_dual_mov_b32 v2, s8 :: v_dual_mov_b32 v3, s9
	v_add_lshl_u32 v7, v1, v0, 3
	v_dual_mov_b32 v0, s4 :: v_dual_mov_b32 v1, s5
	ds_store_b64 v7, v[0:1] offset:9600
	ds_store_b64 v7, v[2:3] offset:6400
	v_add_nc_u32_e32 v5, 0x2580, v7
	v_add_nc_u32_e32 v0, 0x1900, v7
	s_delay_alu instid0(VALU_DEP_2)
	v_cndmask_b32_e64 v5, s4, v5, s0
	flat_load_b64 v[9:10], v[5:6]
	s_cbranch_vccnz .LBB547_2
; %bb.1:
	v_dual_mov_b32 v1, s4 :: v_dual_mov_b32 v2, s5
	flat_load_b64 v[11:12], v[1:2] offset:8
.LBB547_2:
	s_and_b32 s4, s0, exec_lo
	s_cselect_b32 s1, s1, s9
	v_cndmask_b32_e64 v0, s8, v0, s0
	v_mov_b32_e32 v1, s1
	v_dual_mov_b32 v7, s10 :: v_dual_mov_b32 v8, s11
	s_and_not1_b32 vcc_lo, exec_lo, s6
	flat_load_b64 v[5:6], v[0:1]
	s_cbranch_vccnz .LBB547_4
; %bb.3:
	v_dual_mov_b32 v0, s8 :: v_dual_mov_b32 v1, s9
	flat_load_b64 v[7:8], v[0:1] offset:8
.LBB547_4:
	s_waitcnt vmcnt(1) lgkmcnt(1)
	v_cmp_eq_f64_e32 vcc_lo, 0, v[9:10]
	v_cmp_eq_f64_e64 s0, 0, v[11:12]
	s_delay_alu instid0(VALU_DEP_1)
	s_and_b32 s4, vcc_lo, s0
	s_mov_b32 s0, -1
	s_and_saveexec_b32 s1, s4
	s_cbranch_execz .LBB547_6
; %bb.5:
	s_waitcnt vmcnt(0) lgkmcnt(0)
	v_cmp_neq_f64_e32 vcc_lo, 1.0, v[5:6]
	v_cmp_neq_f64_e64 s0, 0, v[7:8]
	s_delay_alu instid0(VALU_DEP_1) | instskip(NEXT) | instid1(SALU_CYCLE_1)
	s_or_b32 s0, vcc_lo, s0
	s_or_not1_b32 s0, s0, exec_lo
.LBB547_6:
	s_or_b32 exec_lo, exec_lo, s1
	s_and_saveexec_b32 s1, s0
	s_cbranch_execz .LBB547_43
; %bb.7:
	s_clause 0x1
	s_load_b128 s[4:7], s[2:3], 0x20
	s_load_b64 s[8:9], s[2:3], 0x30
	s_waitcnt lgkmcnt(0)
	s_cmp_eq_u64 s[4:5], 0
	s_cbranch_scc1 .LBB547_9
; %bb.8:
	s_ashr_i32 s13, s12, 31
	s_delay_alu instid0(SALU_CYCLE_1) | instskip(NEXT) | instid1(SALU_CYCLE_1)
	s_lshl_b64 s[0:1], s[12:13], 2
	s_add_u32 s0, s4, s0
	s_addc_u32 s1, s5, s1
	s_load_b32 s0, s[0:1], 0x0
	s_waitcnt lgkmcnt(0)
	s_sub_i32 s12, s0, s14
.LBB547_9:
	s_load_b32 s1, s[2:3], 0x4
	v_mul_u32_u24_e32 v0, 0xccd, v4
	v_mov_b32_e32 v2, 0
	v_mov_b32_e32 v3, 0
	s_delay_alu instid0(VALU_DEP_3) | instskip(NEXT) | instid1(VALU_DEP_1)
	v_lshrrev_b32_e32 v13, 16, v0
	v_mul_lo_u16 v0, v13, 20
	s_delay_alu instid0(VALU_DEP_1) | instskip(NEXT) | instid1(VALU_DEP_4)
	v_sub_nc_u16 v18, v4, v0
	v_dual_mov_b32 v0, v2 :: v_dual_mov_b32 v1, v3
	s_waitcnt lgkmcnt(0)
	s_cmp_eq_u32 s1, 1
	s_cselect_b32 s0, -1, 0
	s_cmp_lg_u32 s1, 1
	s_cselect_b32 s1, -1, 0
	s_ashr_i32 s13, s12, 31
	s_delay_alu instid0(SALU_CYCLE_1) | instskip(NEXT) | instid1(SALU_CYCLE_1)
	s_lshl_b64 s[4:5], s[12:13], 3
	s_add_u32 s6, s6, s4
	s_addc_u32 s7, s7, s5
	s_add_u32 s10, s6, 8
	s_addc_u32 s11, s7, 0
	;; [unrolled: 2-line block ×3, first 2 shown]
	s_cmp_eq_u64 s[8:9], 0
	s_load_b64 s[8:9], s[2:3], 0x60
	s_cselect_b32 s5, s11, s5
	s_cselect_b32 s4, s10, s4
	s_load_b64 s[18:19], s[6:7], 0x0
	s_load_b64 s[16:17], s[4:5], 0x0
	s_waitcnt lgkmcnt(0)
	v_cmp_ge_i64_e64 s4, s[18:19], s[16:17]
	s_delay_alu instid0(VALU_DEP_1)
	s_and_b32 vcc_lo, exec_lo, s4
	s_cbranch_vccnz .LBB547_14
; %bb.10:
	v_mul_lo_u16 v0, v13, 13
	v_and_b32_e32 v1, 0xffff, v4
	s_clause 0x1
	s_load_b64 s[10:11], s[2:3], 0x48
	s_load_b128 s[4:7], s[2:3], 0x38
	s_sub_u32 s2, s16, s14
	s_subb_u32 s3, s17, 0
	v_lshrrev_b16 v0, 8, v0
	v_mul_u32_u24_e32 v1, 0xa4, v1
	v_and_b32_e32 v2, 0xffff, v18
	s_sub_u32 s16, s18, s14
	s_subb_u32 s17, s19, 0
	v_mul_lo_u16 v0, v0, 20
	v_lshrrev_b32_e32 v19, 16, v1
	s_mul_hi_u32 s13, s16, 0xc80
	s_mul_i32 s20, s17, 0xc80
	s_mul_i32 s15, s16, 0xc80
	v_sub_nc_u16 v0, v13, v0
	v_add_co_u32 v1, s18, s18, v19
	s_delay_alu instid0(VALU_DEP_1) | instskip(NEXT) | instid1(VALU_DEP_3)
	v_add_co_ci_u32_e64 v3, null, s19, 0, s18
	v_and_b32_e32 v0, 0xff, v0
	s_add_i32 s13, s13, s20
	s_delay_alu instid0(VALU_DEP_1) | instskip(SKIP_4) | instid1(VALU_DEP_3)
	v_cndmask_b32_e64 v13, v2, v0, s0
	v_sub_co_u32 v0, vcc_lo, v1, s14
	v_subrev_co_ci_u32_e32 v1, vcc_lo, 0, v3, vcc_lo
	v_mov_b32_e32 v2, 0
	v_dual_mov_b32 v3, 0 :: v_dual_lshlrev_b32 v14, 3, v4
	v_lshlrev_b64 v[0:1], 2, v[0:1]
	s_waitcnt lgkmcnt(0)
	s_add_u32 s0, s6, s15
	s_addc_u32 s6, s7, s13
	s_delay_alu instid0(VALU_DEP_1) | instskip(NEXT) | instid1(VALU_DEP_2)
	v_add_co_u32 v16, vcc_lo, s4, v0
	v_add_co_ci_u32_e32 v17, vcc_lo, s5, v1, vcc_lo
	v_dual_mov_b32 v0, v2 :: v_dual_mov_b32 v1, v3
	v_add_co_u32 v14, s0, s0, v14
	s_delay_alu instid0(VALU_DEP_1)
	v_add_co_ci_u32_e64 v15, null, s6, 0, s0
	s_set_inst_prefetch_distance 0x1
	s_branch .LBB547_12
	.p2align	6
.LBB547_11:                             ;   in Loop: Header=BB547_12 Depth=1
	s_or_b32 exec_lo, exec_lo, s0
	s_add_u32 s16, s16, 1
	s_addc_u32 s17, s17, 0
	v_add_co_u32 v16, vcc_lo, v16, 4
	v_cmp_lt_i64_e64 s0, s[16:17], s[2:3]
	v_add_co_ci_u32_e32 v17, vcc_lo, 0, v17, vcc_lo
	s_delay_alu instid0(VALU_DEP_2)
	s_and_b32 vcc_lo, exec_lo, s0
	s_cbranch_vccz .LBB547_14
.LBB547_12:                             ; =>This Inner Loop Header: Depth=1
	v_add_co_u32 v20, s0, v19, s16
	s_delay_alu instid0(VALU_DEP_1) | instskip(SKIP_1) | instid1(VALU_DEP_1)
	v_add_co_ci_u32_e64 v21, null, 0, s17, s0
	s_mov_b32 s0, exec_lo
	v_cmpx_gt_i64_e64 s[2:3], v[20:21]
	s_cbranch_execz .LBB547_11
; %bb.13:                               ;   in Loop: Header=BB547_12 Depth=1
	global_load_b32 v20, v[16:17], off
	global_load_b64 v[24:25], v[14:15], off
	s_waitcnt vmcnt(1)
	v_subrev_nc_u32_e32 v22, s14, v20
	s_waitcnt vmcnt(0)
	v_cvt_f64_f32_e32 v[26:27], v24
	v_cvt_f64_f32_e32 v[24:25], v25
	s_delay_alu instid0(VALU_DEP_3) | instskip(NEXT) | instid1(VALU_DEP_1)
	v_mad_u64_u32 v[20:21], null, v22, 20, v[13:14]
	v_ashrrev_i32_e32 v21, 31, v20
	s_delay_alu instid0(VALU_DEP_1) | instskip(NEXT) | instid1(VALU_DEP_1)
	v_lshlrev_b64 v[20:21], 4, v[20:21]
	v_add_co_u32 v20, vcc_lo, s10, v20
	s_delay_alu instid0(VALU_DEP_2)
	v_add_co_ci_u32_e32 v21, vcc_lo, s11, v21, vcc_lo
	v_add_co_u32 v14, vcc_lo, 0xc80, v14
	v_add_co_ci_u32_e32 v15, vcc_lo, 0, v15, vcc_lo
	global_load_b128 v[20:23], v[20:21], off
	s_waitcnt vmcnt(0)
	v_fma_f64 v[0:1], v[26:27], v[20:21], v[0:1]
	v_fma_f64 v[2:3], v[24:25], v[20:21], v[2:3]
	s_delay_alu instid0(VALU_DEP_2) | instskip(NEXT) | instid1(VALU_DEP_2)
	v_fma_f64 v[0:1], -v[24:25], v[22:23], v[0:1]
	v_fma_f64 v[2:3], v[26:27], v[22:23], v[2:3]
	s_branch .LBB547_11
.LBB547_14:
	s_set_inst_prefetch_distance 0x2
	v_lshlrev_b32_e32 v17, 4, v4
	s_and_b32 vcc_lo, exec_lo, s1
	ds_store_b128 v17, v[0:3]
	s_waitcnt vmcnt(0) lgkmcnt(0)
	s_barrier
	buffer_gl0_inv
	s_cbranch_vccz .LBB547_26
; %bb.15:
	v_cmp_gt_u16_e32 vcc_lo, 4, v18
	s_and_saveexec_b32 s0, vcc_lo
	s_cbranch_execz .LBB547_17
; %bb.16:
	ds_load_b128 v[13:16], v17 offset:256
	ds_load_b128 v[19:22], v17
	s_waitcnt lgkmcnt(0)
	v_add_f64 v[13:14], v[13:14], v[19:20]
	v_add_f64 v[15:16], v[15:16], v[21:22]
	ds_store_b128 v17, v[13:16]
.LBB547_17:
	s_or_b32 exec_lo, exec_lo, s0
	s_delay_alu instid0(SALU_CYCLE_1)
	s_mov_b32 s1, exec_lo
	s_waitcnt lgkmcnt(0)
	s_barrier
	buffer_gl0_inv
	v_cmpx_gt_u16_e32 8, v18
	s_cbranch_execz .LBB547_19
; %bb.18:
	ds_load_b128 v[13:16], v17 offset:128
	ds_load_b128 v[19:22], v17
	s_waitcnt lgkmcnt(0)
	v_add_f64 v[13:14], v[13:14], v[19:20]
	v_add_f64 v[15:16], v[15:16], v[21:22]
	ds_store_b128 v17, v[13:16]
.LBB547_19:
	s_or_b32 exec_lo, exec_lo, s1
	s_waitcnt lgkmcnt(0)
	s_barrier
	buffer_gl0_inv
	s_and_saveexec_b32 s0, vcc_lo
	s_cbranch_execz .LBB547_21
; %bb.20:
	ds_load_b128 v[13:16], v17 offset:64
	ds_load_b128 v[19:22], v17
	s_waitcnt lgkmcnt(0)
	v_add_f64 v[13:14], v[13:14], v[19:20]
	v_add_f64 v[15:16], v[15:16], v[21:22]
	ds_store_b128 v17, v[13:16]
.LBB547_21:
	s_or_b32 exec_lo, exec_lo, s0
	s_delay_alu instid0(SALU_CYCLE_1)
	s_mov_b32 s0, exec_lo
	s_waitcnt lgkmcnt(0)
	s_barrier
	buffer_gl0_inv
	v_cmpx_gt_u16_e32 2, v18
	s_cbranch_execz .LBB547_23
; %bb.22:
	ds_load_b128 v[13:16], v17
	ds_load_b128 v[18:21], v17 offset:32
	s_waitcnt lgkmcnt(0)
	v_add_f64 v[13:14], v[18:19], v[13:14]
	v_add_f64 v[15:16], v[20:21], v[15:16]
	ds_store_b128 v17, v[13:16]
.LBB547_23:
	s_or_b32 exec_lo, exec_lo, s0
	v_dual_mov_b32 v16, v3 :: v_dual_mov_b32 v15, v2
	v_dual_mov_b32 v14, v1 :: v_dual_mov_b32 v13, v0
	s_mov_b32 s0, exec_lo
	s_waitcnt lgkmcnt(0)
	s_barrier
	buffer_gl0_inv
	v_cmpx_gt_u32_e32 20, v4
	s_cbranch_execz .LBB547_25
; %bb.24:
	v_mul_u32_u24_e32 v13, 20, v4
	s_delay_alu instid0(VALU_DEP_1)
	v_lshlrev_b32_e32 v18, 4, v13
	ds_load_b128 v[13:16], v18
	ds_load_b128 v[18:21], v18 offset:16
	s_waitcnt lgkmcnt(0)
	v_add_f64 v[13:14], v[18:19], v[13:14]
	v_add_f64 v[15:16], v[20:21], v[15:16]
.LBB547_25:
	s_or_b32 exec_lo, exec_lo, s0
	s_branch .LBB547_38
.LBB547_26:
                                        ; implicit-def: $vgpr15_vgpr16
                                        ; implicit-def: $vgpr13_vgpr14
	s_cbranch_execz .LBB547_38
; %bb.27:
	v_cmp_gt_u32_e32 vcc_lo, 0x50, v4
	s_and_saveexec_b32 s0, vcc_lo
	s_cbranch_execz .LBB547_29
; %bb.28:
	ds_load_b128 v[13:16], v17 offset:5120
	ds_load_b128 v[18:21], v17
	s_waitcnt lgkmcnt(0)
	v_add_f64 v[13:14], v[13:14], v[18:19]
	v_add_f64 v[15:16], v[15:16], v[20:21]
	ds_store_b128 v17, v[13:16]
.LBB547_29:
	s_or_b32 exec_lo, exec_lo, s0
	s_delay_alu instid0(SALU_CYCLE_1)
	s_mov_b32 s1, exec_lo
	s_waitcnt lgkmcnt(0)
	s_barrier
	buffer_gl0_inv
	v_cmpx_gt_u32_e32 0xa0, v4
	s_cbranch_execz .LBB547_31
; %bb.30:
	ds_load_b128 v[13:16], v17 offset:2560
	ds_load_b128 v[18:21], v17
	s_waitcnt lgkmcnt(0)
	v_add_f64 v[13:14], v[13:14], v[18:19]
	v_add_f64 v[15:16], v[15:16], v[20:21]
	ds_store_b128 v17, v[13:16]
.LBB547_31:
	s_or_b32 exec_lo, exec_lo, s1
	s_waitcnt lgkmcnt(0)
	s_barrier
	buffer_gl0_inv
	s_and_saveexec_b32 s0, vcc_lo
	s_cbranch_execz .LBB547_33
; %bb.32:
	ds_load_b128 v[13:16], v17 offset:1280
	ds_load_b128 v[18:21], v17
	s_waitcnt lgkmcnt(0)
	v_add_f64 v[13:14], v[13:14], v[18:19]
	v_add_f64 v[15:16], v[15:16], v[20:21]
	ds_store_b128 v17, v[13:16]
.LBB547_33:
	s_or_b32 exec_lo, exec_lo, s0
	s_delay_alu instid0(SALU_CYCLE_1)
	s_mov_b32 s0, exec_lo
	s_waitcnt lgkmcnt(0)
	s_barrier
	buffer_gl0_inv
	v_cmpx_gt_u32_e32 40, v4
	s_cbranch_execz .LBB547_35
; %bb.34:
	ds_load_b128 v[13:16], v17 offset:640
	ds_load_b128 v[18:21], v17
	s_waitcnt lgkmcnt(0)
	v_add_f64 v[13:14], v[13:14], v[18:19]
	v_add_f64 v[15:16], v[15:16], v[20:21]
	ds_store_b128 v17, v[13:16]
.LBB547_35:
	s_or_b32 exec_lo, exec_lo, s0
	s_delay_alu instid0(SALU_CYCLE_1)
	s_mov_b32 s0, exec_lo
	s_waitcnt lgkmcnt(0)
	buffer_gl0_inv
	v_cmpx_gt_u32_e32 20, v4
	s_cbranch_execz .LBB547_37
; %bb.36:
	ds_load_b128 v[0:3], v17 offset:320
	ds_load_b128 v[13:16], v17
	s_waitcnt lgkmcnt(0)
	v_add_f64 v[0:1], v[0:1], v[13:14]
	v_add_f64 v[2:3], v[2:3], v[15:16]
.LBB547_37:
	s_or_b32 exec_lo, exec_lo, s0
	s_delay_alu instid0(VALU_DEP_1) | instskip(NEXT) | instid1(VALU_DEP_3)
	v_dual_mov_b32 v16, v3 :: v_dual_mov_b32 v15, v2
	v_dual_mov_b32 v14, v1 :: v_dual_mov_b32 v13, v0
.LBB547_38:
	v_cmp_gt_u32_e32 vcc_lo, 20, v4
	s_and_b32 exec_lo, exec_lo, vcc_lo
	s_cbranch_execz .LBB547_43
; %bb.39:
	s_delay_alu instid0(VALU_DEP_2) | instskip(SKIP_3) | instid1(VALU_DEP_4)
	v_mul_f64 v[0:1], v[15:16], -v[11:12]
	v_mul_f64 v[2:3], v[9:10], v[15:16]
	v_cmp_eq_f64_e32 vcc_lo, 0, v[5:6]
	v_cmp_eq_f64_e64 s0, 0, v[7:8]
	v_fma_f64 v[0:1], v[9:10], v[13:14], v[0:1]
	s_delay_alu instid0(VALU_DEP_4) | instskip(NEXT) | instid1(VALU_DEP_3)
	v_fma_f64 v[2:3], v[11:12], v[13:14], v[2:3]
	s_and_b32 s0, vcc_lo, s0
	s_delay_alu instid0(SALU_CYCLE_1) | instskip(NEXT) | instid1(SALU_CYCLE_1)
	s_and_saveexec_b32 s1, s0
	s_xor_b32 s0, exec_lo, s1
	s_cbranch_execz .LBB547_41
; %bb.40:
	v_mad_u64_u32 v[5:6], null, s12, 20, v[4:5]
	v_mov_b32_e32 v6, 0
                                        ; implicit-def: $vgpr7_vgpr8
	s_delay_alu instid0(VALU_DEP_1) | instskip(NEXT) | instid1(VALU_DEP_1)
	v_lshlrev_b64 v[4:5], 4, v[5:6]
	v_add_co_u32 v4, vcc_lo, s8, v4
	s_delay_alu instid0(VALU_DEP_2)
	v_add_co_ci_u32_e32 v5, vcc_lo, s9, v5, vcc_lo
	global_store_b128 v[4:5], v[0:3], off
                                        ; implicit-def: $vgpr4
                                        ; implicit-def: $vgpr5_vgpr6
                                        ; implicit-def: $vgpr0_vgpr1
.LBB547_41:
	s_and_not1_saveexec_b32 s0, s0
	s_cbranch_execz .LBB547_43
; %bb.42:
	v_mad_u64_u32 v[9:10], null, s12, 20, v[4:5]
	v_mov_b32_e32 v10, 0
	s_delay_alu instid0(VALU_DEP_1) | instskip(NEXT) | instid1(VALU_DEP_1)
	v_lshlrev_b64 v[9:10], 4, v[9:10]
	v_add_co_u32 v13, vcc_lo, s8, v9
	s_delay_alu instid0(VALU_DEP_2) | instskip(SKIP_4) | instid1(VALU_DEP_2)
	v_add_co_ci_u32_e32 v14, vcc_lo, s9, v10, vcc_lo
	global_load_b128 v[9:12], v[13:14], off
	s_waitcnt vmcnt(0)
	v_fma_f64 v[0:1], v[5:6], v[9:10], v[0:1]
	v_fma_f64 v[2:3], v[7:8], v[9:10], v[2:3]
	v_fma_f64 v[0:1], -v[7:8], v[11:12], v[0:1]
	s_delay_alu instid0(VALU_DEP_2)
	v_fma_f64 v[2:3], v[5:6], v[11:12], v[2:3]
	global_store_b128 v[13:14], v[0:3], off
.LBB547_43:
	s_nop 0
	s_sendmsg sendmsg(MSG_DEALLOC_VGPRS)
	s_endpgm
	.section	.rodata,"a",@progbits
	.p2align	6, 0x0
	.amdhsa_kernel _ZN9rocsparseL20bsrxmvn_17_32_kernelILj20E21rocsparse_complex_numIdEliS1_IfES2_S2_EEvT2_20rocsparse_direction_NS_24const_host_device_scalarIT0_EES4_PKS4_PKT1_SD_SA_PKT3_PKT4_S8_PT5_21rocsparse_index_base_b
		.amdhsa_group_segment_fixed_size 12800
		.amdhsa_private_segment_fixed_size 0
		.amdhsa_kernarg_size 112
		.amdhsa_user_sgpr_count 15
		.amdhsa_user_sgpr_dispatch_ptr 1
		.amdhsa_user_sgpr_queue_ptr 0
		.amdhsa_user_sgpr_kernarg_segment_ptr 1
		.amdhsa_user_sgpr_dispatch_id 0
		.amdhsa_user_sgpr_private_segment_size 0
		.amdhsa_wavefront_size32 1
		.amdhsa_uses_dynamic_stack 0
		.amdhsa_enable_private_segment 0
		.amdhsa_system_sgpr_workgroup_id_x 1
		.amdhsa_system_sgpr_workgroup_id_y 0
		.amdhsa_system_sgpr_workgroup_id_z 0
		.amdhsa_system_sgpr_workgroup_info 0
		.amdhsa_system_vgpr_workitem_id 2
		.amdhsa_next_free_vgpr 28
		.amdhsa_next_free_sgpr 21
		.amdhsa_reserve_vcc 1
		.amdhsa_float_round_mode_32 0
		.amdhsa_float_round_mode_16_64 0
		.amdhsa_float_denorm_mode_32 3
		.amdhsa_float_denorm_mode_16_64 3
		.amdhsa_dx10_clamp 1
		.amdhsa_ieee_mode 1
		.amdhsa_fp16_overflow 0
		.amdhsa_workgroup_processor_mode 1
		.amdhsa_memory_ordered 1
		.amdhsa_forward_progress 0
		.amdhsa_shared_vgpr_count 0
		.amdhsa_exception_fp_ieee_invalid_op 0
		.amdhsa_exception_fp_denorm_src 0
		.amdhsa_exception_fp_ieee_div_zero 0
		.amdhsa_exception_fp_ieee_overflow 0
		.amdhsa_exception_fp_ieee_underflow 0
		.amdhsa_exception_fp_ieee_inexact 0
		.amdhsa_exception_int_div_zero 0
	.end_amdhsa_kernel
	.section	.text._ZN9rocsparseL20bsrxmvn_17_32_kernelILj20E21rocsparse_complex_numIdEliS1_IfES2_S2_EEvT2_20rocsparse_direction_NS_24const_host_device_scalarIT0_EES4_PKS4_PKT1_SD_SA_PKT3_PKT4_S8_PT5_21rocsparse_index_base_b,"axG",@progbits,_ZN9rocsparseL20bsrxmvn_17_32_kernelILj20E21rocsparse_complex_numIdEliS1_IfES2_S2_EEvT2_20rocsparse_direction_NS_24const_host_device_scalarIT0_EES4_PKS4_PKT1_SD_SA_PKT3_PKT4_S8_PT5_21rocsparse_index_base_b,comdat
.Lfunc_end547:
	.size	_ZN9rocsparseL20bsrxmvn_17_32_kernelILj20E21rocsparse_complex_numIdEliS1_IfES2_S2_EEvT2_20rocsparse_direction_NS_24const_host_device_scalarIT0_EES4_PKS4_PKT1_SD_SA_PKT3_PKT4_S8_PT5_21rocsparse_index_base_b, .Lfunc_end547-_ZN9rocsparseL20bsrxmvn_17_32_kernelILj20E21rocsparse_complex_numIdEliS1_IfES2_S2_EEvT2_20rocsparse_direction_NS_24const_host_device_scalarIT0_EES4_PKS4_PKT1_SD_SA_PKT3_PKT4_S8_PT5_21rocsparse_index_base_b
                                        ; -- End function
	.section	.AMDGPU.csdata,"",@progbits
; Kernel info:
; codeLenInByte = 2168
; NumSgprs: 23
; NumVgprs: 28
; ScratchSize: 0
; MemoryBound: 0
; FloatMode: 240
; IeeeMode: 1
; LDSByteSize: 12800 bytes/workgroup (compile time only)
; SGPRBlocks: 2
; VGPRBlocks: 3
; NumSGPRsForWavesPerEU: 23
; NumVGPRsForWavesPerEU: 28
; Occupancy: 13
; WaveLimiterHint : 1
; COMPUTE_PGM_RSRC2:SCRATCH_EN: 0
; COMPUTE_PGM_RSRC2:USER_SGPR: 15
; COMPUTE_PGM_RSRC2:TRAP_HANDLER: 0
; COMPUTE_PGM_RSRC2:TGID_X_EN: 1
; COMPUTE_PGM_RSRC2:TGID_Y_EN: 0
; COMPUTE_PGM_RSRC2:TGID_Z_EN: 0
; COMPUTE_PGM_RSRC2:TIDIG_COMP_CNT: 2
	.section	.text._ZN9rocsparseL20bsrxmvn_17_32_kernelILj21E21rocsparse_complex_numIdEliS1_IfES2_S2_EEvT2_20rocsparse_direction_NS_24const_host_device_scalarIT0_EES4_PKS4_PKT1_SD_SA_PKT3_PKT4_S8_PT5_21rocsparse_index_base_b,"axG",@progbits,_ZN9rocsparseL20bsrxmvn_17_32_kernelILj21E21rocsparse_complex_numIdEliS1_IfES2_S2_EEvT2_20rocsparse_direction_NS_24const_host_device_scalarIT0_EES4_PKS4_PKT1_SD_SA_PKT3_PKT4_S8_PT5_21rocsparse_index_base_b,comdat
	.globl	_ZN9rocsparseL20bsrxmvn_17_32_kernelILj21E21rocsparse_complex_numIdEliS1_IfES2_S2_EEvT2_20rocsparse_direction_NS_24const_host_device_scalarIT0_EES4_PKS4_PKT1_SD_SA_PKT3_PKT4_S8_PT5_21rocsparse_index_base_b ; -- Begin function _ZN9rocsparseL20bsrxmvn_17_32_kernelILj21E21rocsparse_complex_numIdEliS1_IfES2_S2_EEvT2_20rocsparse_direction_NS_24const_host_device_scalarIT0_EES4_PKS4_PKT1_SD_SA_PKT3_PKT4_S8_PT5_21rocsparse_index_base_b
	.p2align	8
	.type	_ZN9rocsparseL20bsrxmvn_17_32_kernelILj21E21rocsparse_complex_numIdEliS1_IfES2_S2_EEvT2_20rocsparse_direction_NS_24const_host_device_scalarIT0_EES4_PKS4_PKT1_SD_SA_PKT3_PKT4_S8_PT5_21rocsparse_index_base_b,@function
_ZN9rocsparseL20bsrxmvn_17_32_kernelILj21E21rocsparse_complex_numIdEliS1_IfES2_S2_EEvT2_20rocsparse_direction_NS_24const_host_device_scalarIT0_EES4_PKS4_PKT1_SD_SA_PKT3_PKT4_S8_PT5_21rocsparse_index_base_b: ; @_ZN9rocsparseL20bsrxmvn_17_32_kernelILj21E21rocsparse_complex_numIdEliS1_IfES2_S2_EEvT2_20rocsparse_direction_NS_24const_host_device_scalarIT0_EES4_PKS4_PKT1_SD_SA_PKT3_PKT4_S8_PT5_21rocsparse_index_base_b
; %bb.0:
	s_mov_b32 s12, s15
	s_clause 0x1
	s_load_b64 s[14:15], s[2:3], 0x68
	s_load_b128 s[4:7], s[2:3], 0x8
	s_load_b64 s[16:17], s[0:1], 0x4
	s_mov_b64 s[0:1], src_shared_base
	v_and_b32_e32 v4, 0x3ff, v0
	s_load_b128 s[8:11], s[2:3], 0x50
	v_bfe_u32 v2, v0, 10, 10
	v_bfe_u32 v0, v0, 20, 10
	s_waitcnt lgkmcnt(0)
	s_bitcmp1_b32 s15, 0
	v_mov_b32_e32 v12, s7
	s_cselect_b32 s0, -1, 0
	v_mov_b32_e32 v11, s6
	s_and_b32 vcc_lo, s0, exec_lo
	s_cselect_b32 s13, s1, s5
	s_lshr_b32 s15, s16, 16
	v_mov_b32_e32 v6, s13
	s_mul_i32 s15, s15, s17
	s_xor_b32 s6, s0, -1
	v_mul_lo_u32 v1, s15, v4
	s_delay_alu instid0(VALU_DEP_1) | instskip(SKIP_1) | instid1(VALU_DEP_2)
	v_mad_u32_u24 v1, v2, s17, v1
	v_dual_mov_b32 v2, s8 :: v_dual_mov_b32 v3, s9
	v_add_lshl_u32 v7, v1, v0, 3
	v_dual_mov_b32 v0, s4 :: v_dual_mov_b32 v1, s5
	ds_store_b64 v7, v[0:1] offset:10584
	ds_store_b64 v7, v[2:3] offset:7056
	v_add_nc_u32_e32 v5, 0x2958, v7
	v_add_nc_u32_e32 v0, 0x1b90, v7
	s_delay_alu instid0(VALU_DEP_2)
	v_cndmask_b32_e64 v5, s4, v5, s0
	flat_load_b64 v[9:10], v[5:6]
	s_cbranch_vccnz .LBB548_2
; %bb.1:
	v_dual_mov_b32 v1, s4 :: v_dual_mov_b32 v2, s5
	flat_load_b64 v[11:12], v[1:2] offset:8
.LBB548_2:
	s_and_b32 s4, s0, exec_lo
	s_cselect_b32 s1, s1, s9
	v_cndmask_b32_e64 v0, s8, v0, s0
	v_mov_b32_e32 v1, s1
	v_dual_mov_b32 v7, s10 :: v_dual_mov_b32 v8, s11
	s_and_not1_b32 vcc_lo, exec_lo, s6
	flat_load_b64 v[5:6], v[0:1]
	s_cbranch_vccnz .LBB548_4
; %bb.3:
	v_dual_mov_b32 v0, s8 :: v_dual_mov_b32 v1, s9
	flat_load_b64 v[7:8], v[0:1] offset:8
.LBB548_4:
	s_waitcnt vmcnt(1) lgkmcnt(1)
	v_cmp_eq_f64_e32 vcc_lo, 0, v[9:10]
	v_cmp_eq_f64_e64 s0, 0, v[11:12]
	s_delay_alu instid0(VALU_DEP_1)
	s_and_b32 s4, vcc_lo, s0
	s_mov_b32 s0, -1
	s_and_saveexec_b32 s1, s4
	s_cbranch_execz .LBB548_6
; %bb.5:
	s_waitcnt vmcnt(0) lgkmcnt(0)
	v_cmp_neq_f64_e32 vcc_lo, 1.0, v[5:6]
	v_cmp_neq_f64_e64 s0, 0, v[7:8]
	s_delay_alu instid0(VALU_DEP_1) | instskip(NEXT) | instid1(SALU_CYCLE_1)
	s_or_b32 s0, vcc_lo, s0
	s_or_not1_b32 s0, s0, exec_lo
.LBB548_6:
	s_or_b32 exec_lo, exec_lo, s1
	s_and_saveexec_b32 s1, s0
	s_cbranch_execz .LBB548_43
; %bb.7:
	s_clause 0x1
	s_load_b128 s[4:7], s[2:3], 0x20
	s_load_b64 s[8:9], s[2:3], 0x30
	s_waitcnt lgkmcnt(0)
	s_cmp_eq_u64 s[4:5], 0
	s_cbranch_scc1 .LBB548_9
; %bb.8:
	s_ashr_i32 s13, s12, 31
	s_delay_alu instid0(SALU_CYCLE_1) | instskip(NEXT) | instid1(SALU_CYCLE_1)
	s_lshl_b64 s[0:1], s[12:13], 2
	s_add_u32 s0, s4, s0
	s_addc_u32 s1, s5, s1
	s_load_b32 s0, s[0:1], 0x0
	s_waitcnt lgkmcnt(0)
	s_sub_i32 s12, s0, s14
.LBB548_9:
	s_load_b32 s1, s[2:3], 0x4
	v_mul_u32_u24_e32 v0, 0xc31, v4
	v_mov_b32_e32 v2, 0
	v_mov_b32_e32 v3, 0
	s_delay_alu instid0(VALU_DEP_3) | instskip(NEXT) | instid1(VALU_DEP_1)
	v_lshrrev_b32_e32 v13, 16, v0
	v_mul_lo_u16 v0, v13, 21
	s_delay_alu instid0(VALU_DEP_1) | instskip(NEXT) | instid1(VALU_DEP_4)
	v_sub_nc_u16 v18, v4, v0
	v_dual_mov_b32 v0, v2 :: v_dual_mov_b32 v1, v3
	s_waitcnt lgkmcnt(0)
	s_cmp_eq_u32 s1, 1
	s_cselect_b32 s0, -1, 0
	s_cmp_lg_u32 s1, 1
	s_cselect_b32 s1, -1, 0
	s_ashr_i32 s13, s12, 31
	s_delay_alu instid0(SALU_CYCLE_1) | instskip(NEXT) | instid1(SALU_CYCLE_1)
	s_lshl_b64 s[4:5], s[12:13], 3
	s_add_u32 s6, s6, s4
	s_addc_u32 s7, s7, s5
	s_add_u32 s10, s6, 8
	s_addc_u32 s11, s7, 0
	;; [unrolled: 2-line block ×3, first 2 shown]
	s_cmp_eq_u64 s[8:9], 0
	s_load_b64 s[8:9], s[2:3], 0x60
	s_cselect_b32 s5, s11, s5
	s_cselect_b32 s4, s10, s4
	s_load_b64 s[18:19], s[6:7], 0x0
	s_load_b64 s[16:17], s[4:5], 0x0
	s_waitcnt lgkmcnt(0)
	v_cmp_ge_i64_e64 s4, s[18:19], s[16:17]
	s_delay_alu instid0(VALU_DEP_1)
	s_and_b32 vcc_lo, exec_lo, s4
	s_cbranch_vccnz .LBB548_14
; %bb.10:
	v_mul_lo_u16 v0, v13, 25
	v_and_b32_e32 v1, 0xffff, v4
	s_clause 0x1
	s_load_b64 s[10:11], s[2:3], 0x48
	s_load_b128 s[4:7], s[2:3], 0x38
	s_sub_u32 s2, s16, s14
	s_subb_u32 s3, s17, 0
	v_lshrrev_b16 v0, 9, v0
	v_mul_u32_u24_e32 v1, 0x253, v1
	v_and_b32_e32 v2, 0xffff, v18
	s_sub_u32 s16, s18, s14
	s_subb_u32 s17, s19, 0
	v_mul_lo_u16 v0, v0, 21
	v_lshrrev_b32_e32 v19, 18, v1
	s_mul_hi_u32 s13, s16, 0xdc8
	s_mul_i32 s20, s17, 0xdc8
	s_mul_i32 s15, s16, 0xdc8
	v_sub_nc_u16 v0, v13, v0
	v_add_co_u32 v1, s18, s18, v19
	s_delay_alu instid0(VALU_DEP_1) | instskip(NEXT) | instid1(VALU_DEP_3)
	v_add_co_ci_u32_e64 v3, null, s19, 0, s18
	v_and_b32_e32 v0, 0xff, v0
	s_add_i32 s13, s13, s20
	s_delay_alu instid0(VALU_DEP_1) | instskip(SKIP_4) | instid1(VALU_DEP_3)
	v_cndmask_b32_e64 v13, v2, v0, s0
	v_sub_co_u32 v0, vcc_lo, v1, s14
	v_subrev_co_ci_u32_e32 v1, vcc_lo, 0, v3, vcc_lo
	v_mov_b32_e32 v2, 0
	v_dual_mov_b32 v3, 0 :: v_dual_lshlrev_b32 v14, 3, v4
	v_lshlrev_b64 v[0:1], 2, v[0:1]
	s_waitcnt lgkmcnt(0)
	s_add_u32 s0, s6, s15
	s_addc_u32 s6, s7, s13
	s_delay_alu instid0(VALU_DEP_1) | instskip(NEXT) | instid1(VALU_DEP_2)
	v_add_co_u32 v16, vcc_lo, s4, v0
	v_add_co_ci_u32_e32 v17, vcc_lo, s5, v1, vcc_lo
	v_dual_mov_b32 v0, v2 :: v_dual_mov_b32 v1, v3
	v_add_co_u32 v14, s0, s0, v14
	s_delay_alu instid0(VALU_DEP_1)
	v_add_co_ci_u32_e64 v15, null, s6, 0, s0
	s_set_inst_prefetch_distance 0x1
	s_branch .LBB548_12
	.p2align	6
.LBB548_11:                             ;   in Loop: Header=BB548_12 Depth=1
	s_or_b32 exec_lo, exec_lo, s0
	s_add_u32 s16, s16, 1
	s_addc_u32 s17, s17, 0
	v_add_co_u32 v16, vcc_lo, v16, 4
	v_cmp_lt_i64_e64 s0, s[16:17], s[2:3]
	v_add_co_ci_u32_e32 v17, vcc_lo, 0, v17, vcc_lo
	s_delay_alu instid0(VALU_DEP_2)
	s_and_b32 vcc_lo, exec_lo, s0
	s_cbranch_vccz .LBB548_14
.LBB548_12:                             ; =>This Inner Loop Header: Depth=1
	v_add_co_u32 v20, s0, v19, s16
	s_delay_alu instid0(VALU_DEP_1) | instskip(SKIP_1) | instid1(VALU_DEP_1)
	v_add_co_ci_u32_e64 v21, null, 0, s17, s0
	s_mov_b32 s0, exec_lo
	v_cmpx_gt_i64_e64 s[2:3], v[20:21]
	s_cbranch_execz .LBB548_11
; %bb.13:                               ;   in Loop: Header=BB548_12 Depth=1
	global_load_b32 v20, v[16:17], off
	global_load_b64 v[24:25], v[14:15], off
	s_waitcnt vmcnt(1)
	v_subrev_nc_u32_e32 v22, s14, v20
	s_waitcnt vmcnt(0)
	v_cvt_f64_f32_e32 v[26:27], v24
	v_cvt_f64_f32_e32 v[24:25], v25
	s_delay_alu instid0(VALU_DEP_3) | instskip(NEXT) | instid1(VALU_DEP_1)
	v_mad_u64_u32 v[20:21], null, v22, 21, v[13:14]
	v_ashrrev_i32_e32 v21, 31, v20
	s_delay_alu instid0(VALU_DEP_1) | instskip(NEXT) | instid1(VALU_DEP_1)
	v_lshlrev_b64 v[20:21], 4, v[20:21]
	v_add_co_u32 v20, vcc_lo, s10, v20
	s_delay_alu instid0(VALU_DEP_2)
	v_add_co_ci_u32_e32 v21, vcc_lo, s11, v21, vcc_lo
	v_add_co_u32 v14, vcc_lo, 0xdc8, v14
	v_add_co_ci_u32_e32 v15, vcc_lo, 0, v15, vcc_lo
	global_load_b128 v[20:23], v[20:21], off
	s_waitcnt vmcnt(0)
	v_fma_f64 v[0:1], v[26:27], v[20:21], v[0:1]
	v_fma_f64 v[2:3], v[24:25], v[20:21], v[2:3]
	s_delay_alu instid0(VALU_DEP_2) | instskip(NEXT) | instid1(VALU_DEP_2)
	v_fma_f64 v[0:1], -v[24:25], v[22:23], v[0:1]
	v_fma_f64 v[2:3], v[26:27], v[22:23], v[2:3]
	s_branch .LBB548_11
.LBB548_14:
	s_set_inst_prefetch_distance 0x2
	v_lshlrev_b32_e32 v17, 4, v4
	s_and_b32 vcc_lo, exec_lo, s1
	ds_store_b128 v17, v[0:3]
	s_waitcnt vmcnt(0) lgkmcnt(0)
	s_barrier
	buffer_gl0_inv
	s_cbranch_vccz .LBB548_26
; %bb.15:
	s_mov_b32 s0, exec_lo
	v_cmpx_gt_u16_e32 5, v18
	s_cbranch_execz .LBB548_17
; %bb.16:
	ds_load_b128 v[13:16], v17 offset:256
	ds_load_b128 v[19:22], v17
	s_waitcnt lgkmcnt(0)
	v_add_f64 v[13:14], v[13:14], v[19:20]
	v_add_f64 v[15:16], v[15:16], v[21:22]
	ds_store_b128 v17, v[13:16]
.LBB548_17:
	s_or_b32 exec_lo, exec_lo, s0
	s_delay_alu instid0(SALU_CYCLE_1)
	s_mov_b32 s0, exec_lo
	s_waitcnt lgkmcnt(0)
	s_barrier
	buffer_gl0_inv
	v_cmpx_gt_u16_e32 8, v18
	s_cbranch_execz .LBB548_19
; %bb.18:
	ds_load_b128 v[13:16], v17 offset:128
	ds_load_b128 v[19:22], v17
	s_waitcnt lgkmcnt(0)
	v_add_f64 v[13:14], v[13:14], v[19:20]
	v_add_f64 v[15:16], v[15:16], v[21:22]
	ds_store_b128 v17, v[13:16]
.LBB548_19:
	s_or_b32 exec_lo, exec_lo, s0
	s_delay_alu instid0(SALU_CYCLE_1)
	s_mov_b32 s0, exec_lo
	s_waitcnt lgkmcnt(0)
	s_barrier
	buffer_gl0_inv
	;; [unrolled: 16-line block ×3, first 2 shown]
	v_cmpx_gt_u16_e32 2, v18
	s_cbranch_execz .LBB548_23
; %bb.22:
	ds_load_b128 v[13:16], v17
	ds_load_b128 v[18:21], v17 offset:32
	s_waitcnt lgkmcnt(0)
	v_add_f64 v[13:14], v[18:19], v[13:14]
	v_add_f64 v[15:16], v[20:21], v[15:16]
	ds_store_b128 v17, v[13:16]
.LBB548_23:
	s_or_b32 exec_lo, exec_lo, s0
	v_dual_mov_b32 v16, v3 :: v_dual_mov_b32 v15, v2
	v_dual_mov_b32 v14, v1 :: v_dual_mov_b32 v13, v0
	s_mov_b32 s0, exec_lo
	s_waitcnt lgkmcnt(0)
	s_barrier
	buffer_gl0_inv
	v_cmpx_gt_u32_e32 21, v4
	s_cbranch_execz .LBB548_25
; %bb.24:
	v_mul_u32_u24_e32 v13, 21, v4
	s_delay_alu instid0(VALU_DEP_1)
	v_lshlrev_b32_e32 v18, 4, v13
	ds_load_b128 v[13:16], v18
	ds_load_b128 v[18:21], v18 offset:16
	s_waitcnt lgkmcnt(0)
	v_add_f64 v[13:14], v[18:19], v[13:14]
	v_add_f64 v[15:16], v[20:21], v[15:16]
.LBB548_25:
	s_or_b32 exec_lo, exec_lo, s0
	s_branch .LBB548_38
.LBB548_26:
                                        ; implicit-def: $vgpr15_vgpr16
                                        ; implicit-def: $vgpr13_vgpr14
	s_cbranch_execz .LBB548_38
; %bb.27:
	s_mov_b32 s0, exec_lo
	v_cmpx_gt_u32_e32 0x69, v4
	s_cbranch_execz .LBB548_29
; %bb.28:
	ds_load_b128 v[13:16], v17 offset:5376
	ds_load_b128 v[18:21], v17
	s_waitcnt lgkmcnt(0)
	v_add_f64 v[13:14], v[13:14], v[18:19]
	v_add_f64 v[15:16], v[15:16], v[20:21]
	ds_store_b128 v17, v[13:16]
.LBB548_29:
	s_or_b32 exec_lo, exec_lo, s0
	s_delay_alu instid0(SALU_CYCLE_1)
	s_mov_b32 s0, exec_lo
	s_waitcnt lgkmcnt(0)
	s_barrier
	buffer_gl0_inv
	v_cmpx_gt_u32_e32 0xa8, v4
	s_cbranch_execz .LBB548_31
; %bb.30:
	ds_load_b128 v[13:16], v17 offset:2688
	ds_load_b128 v[18:21], v17
	s_waitcnt lgkmcnt(0)
	v_add_f64 v[13:14], v[13:14], v[18:19]
	v_add_f64 v[15:16], v[15:16], v[20:21]
	ds_store_b128 v17, v[13:16]
.LBB548_31:
	s_or_b32 exec_lo, exec_lo, s0
	s_delay_alu instid0(SALU_CYCLE_1)
	s_mov_b32 s0, exec_lo
	s_waitcnt lgkmcnt(0)
	s_barrier
	buffer_gl0_inv
	;; [unrolled: 16-line block ×3, first 2 shown]
	v_cmpx_gt_u32_e32 42, v4
	s_cbranch_execz .LBB548_35
; %bb.34:
	ds_load_b128 v[13:16], v17 offset:672
	ds_load_b128 v[18:21], v17
	s_waitcnt lgkmcnt(0)
	v_add_f64 v[13:14], v[13:14], v[18:19]
	v_add_f64 v[15:16], v[15:16], v[20:21]
	ds_store_b128 v17, v[13:16]
.LBB548_35:
	s_or_b32 exec_lo, exec_lo, s0
	s_delay_alu instid0(SALU_CYCLE_1)
	s_mov_b32 s0, exec_lo
	s_waitcnt lgkmcnt(0)
	buffer_gl0_inv
	v_cmpx_gt_u32_e32 21, v4
	s_cbranch_execz .LBB548_37
; %bb.36:
	ds_load_b128 v[0:3], v17 offset:336
	ds_load_b128 v[13:16], v17
	s_waitcnt lgkmcnt(0)
	v_add_f64 v[0:1], v[0:1], v[13:14]
	v_add_f64 v[2:3], v[2:3], v[15:16]
.LBB548_37:
	s_or_b32 exec_lo, exec_lo, s0
	s_delay_alu instid0(VALU_DEP_1) | instskip(NEXT) | instid1(VALU_DEP_3)
	v_dual_mov_b32 v16, v3 :: v_dual_mov_b32 v15, v2
	v_dual_mov_b32 v14, v1 :: v_dual_mov_b32 v13, v0
.LBB548_38:
	v_cmp_gt_u32_e32 vcc_lo, 21, v4
	s_and_b32 exec_lo, exec_lo, vcc_lo
	s_cbranch_execz .LBB548_43
; %bb.39:
	s_delay_alu instid0(VALU_DEP_2) | instskip(SKIP_3) | instid1(VALU_DEP_4)
	v_mul_f64 v[0:1], v[15:16], -v[11:12]
	v_mul_f64 v[2:3], v[9:10], v[15:16]
	v_cmp_eq_f64_e32 vcc_lo, 0, v[5:6]
	v_cmp_eq_f64_e64 s0, 0, v[7:8]
	v_fma_f64 v[0:1], v[9:10], v[13:14], v[0:1]
	s_delay_alu instid0(VALU_DEP_4) | instskip(NEXT) | instid1(VALU_DEP_3)
	v_fma_f64 v[2:3], v[11:12], v[13:14], v[2:3]
	s_and_b32 s0, vcc_lo, s0
	s_delay_alu instid0(SALU_CYCLE_1) | instskip(NEXT) | instid1(SALU_CYCLE_1)
	s_and_saveexec_b32 s1, s0
	s_xor_b32 s0, exec_lo, s1
	s_cbranch_execz .LBB548_41
; %bb.40:
	v_mad_u64_u32 v[5:6], null, s12, 21, v[4:5]
	v_mov_b32_e32 v6, 0
                                        ; implicit-def: $vgpr7_vgpr8
	s_delay_alu instid0(VALU_DEP_1) | instskip(NEXT) | instid1(VALU_DEP_1)
	v_lshlrev_b64 v[4:5], 4, v[5:6]
	v_add_co_u32 v4, vcc_lo, s8, v4
	s_delay_alu instid0(VALU_DEP_2)
	v_add_co_ci_u32_e32 v5, vcc_lo, s9, v5, vcc_lo
	global_store_b128 v[4:5], v[0:3], off
                                        ; implicit-def: $vgpr4
                                        ; implicit-def: $vgpr5_vgpr6
                                        ; implicit-def: $vgpr0_vgpr1
.LBB548_41:
	s_and_not1_saveexec_b32 s0, s0
	s_cbranch_execz .LBB548_43
; %bb.42:
	v_mad_u64_u32 v[9:10], null, s12, 21, v[4:5]
	v_mov_b32_e32 v10, 0
	s_delay_alu instid0(VALU_DEP_1) | instskip(NEXT) | instid1(VALU_DEP_1)
	v_lshlrev_b64 v[9:10], 4, v[9:10]
	v_add_co_u32 v13, vcc_lo, s8, v9
	s_delay_alu instid0(VALU_DEP_2) | instskip(SKIP_4) | instid1(VALU_DEP_2)
	v_add_co_ci_u32_e32 v14, vcc_lo, s9, v10, vcc_lo
	global_load_b128 v[9:12], v[13:14], off
	s_waitcnt vmcnt(0)
	v_fma_f64 v[0:1], v[5:6], v[9:10], v[0:1]
	v_fma_f64 v[2:3], v[7:8], v[9:10], v[2:3]
	v_fma_f64 v[0:1], -v[7:8], v[11:12], v[0:1]
	s_delay_alu instid0(VALU_DEP_2)
	v_fma_f64 v[2:3], v[5:6], v[11:12], v[2:3]
	global_store_b128 v[13:14], v[0:3], off
.LBB548_43:
	s_nop 0
	s_sendmsg sendmsg(MSG_DEALLOC_VGPRS)
	s_endpgm
	.section	.rodata,"a",@progbits
	.p2align	6, 0x0
	.amdhsa_kernel _ZN9rocsparseL20bsrxmvn_17_32_kernelILj21E21rocsparse_complex_numIdEliS1_IfES2_S2_EEvT2_20rocsparse_direction_NS_24const_host_device_scalarIT0_EES4_PKS4_PKT1_SD_SA_PKT3_PKT4_S8_PT5_21rocsparse_index_base_b
		.amdhsa_group_segment_fixed_size 14112
		.amdhsa_private_segment_fixed_size 0
		.amdhsa_kernarg_size 112
		.amdhsa_user_sgpr_count 15
		.amdhsa_user_sgpr_dispatch_ptr 1
		.amdhsa_user_sgpr_queue_ptr 0
		.amdhsa_user_sgpr_kernarg_segment_ptr 1
		.amdhsa_user_sgpr_dispatch_id 0
		.amdhsa_user_sgpr_private_segment_size 0
		.amdhsa_wavefront_size32 1
		.amdhsa_uses_dynamic_stack 0
		.amdhsa_enable_private_segment 0
		.amdhsa_system_sgpr_workgroup_id_x 1
		.amdhsa_system_sgpr_workgroup_id_y 0
		.amdhsa_system_sgpr_workgroup_id_z 0
		.amdhsa_system_sgpr_workgroup_info 0
		.amdhsa_system_vgpr_workitem_id 2
		.amdhsa_next_free_vgpr 28
		.amdhsa_next_free_sgpr 21
		.amdhsa_reserve_vcc 1
		.amdhsa_float_round_mode_32 0
		.amdhsa_float_round_mode_16_64 0
		.amdhsa_float_denorm_mode_32 3
		.amdhsa_float_denorm_mode_16_64 3
		.amdhsa_dx10_clamp 1
		.amdhsa_ieee_mode 1
		.amdhsa_fp16_overflow 0
		.amdhsa_workgroup_processor_mode 1
		.amdhsa_memory_ordered 1
		.amdhsa_forward_progress 0
		.amdhsa_shared_vgpr_count 0
		.amdhsa_exception_fp_ieee_invalid_op 0
		.amdhsa_exception_fp_denorm_src 0
		.amdhsa_exception_fp_ieee_div_zero 0
		.amdhsa_exception_fp_ieee_overflow 0
		.amdhsa_exception_fp_ieee_underflow 0
		.amdhsa_exception_fp_ieee_inexact 0
		.amdhsa_exception_int_div_zero 0
	.end_amdhsa_kernel
	.section	.text._ZN9rocsparseL20bsrxmvn_17_32_kernelILj21E21rocsparse_complex_numIdEliS1_IfES2_S2_EEvT2_20rocsparse_direction_NS_24const_host_device_scalarIT0_EES4_PKS4_PKT1_SD_SA_PKT3_PKT4_S8_PT5_21rocsparse_index_base_b,"axG",@progbits,_ZN9rocsparseL20bsrxmvn_17_32_kernelILj21E21rocsparse_complex_numIdEliS1_IfES2_S2_EEvT2_20rocsparse_direction_NS_24const_host_device_scalarIT0_EES4_PKS4_PKT1_SD_SA_PKT3_PKT4_S8_PT5_21rocsparse_index_base_b,comdat
.Lfunc_end548:
	.size	_ZN9rocsparseL20bsrxmvn_17_32_kernelILj21E21rocsparse_complex_numIdEliS1_IfES2_S2_EEvT2_20rocsparse_direction_NS_24const_host_device_scalarIT0_EES4_PKS4_PKT1_SD_SA_PKT3_PKT4_S8_PT5_21rocsparse_index_base_b, .Lfunc_end548-_ZN9rocsparseL20bsrxmvn_17_32_kernelILj21E21rocsparse_complex_numIdEliS1_IfES2_S2_EEvT2_20rocsparse_direction_NS_24const_host_device_scalarIT0_EES4_PKS4_PKT1_SD_SA_PKT3_PKT4_S8_PT5_21rocsparse_index_base_b
                                        ; -- End function
	.section	.AMDGPU.csdata,"",@progbits
; Kernel info:
; codeLenInByte = 2188
; NumSgprs: 23
; NumVgprs: 28
; ScratchSize: 0
; MemoryBound: 0
; FloatMode: 240
; IeeeMode: 1
; LDSByteSize: 14112 bytes/workgroup (compile time only)
; SGPRBlocks: 2
; VGPRBlocks: 3
; NumSGPRsForWavesPerEU: 23
; NumVGPRsForWavesPerEU: 28
; Occupancy: 14
; WaveLimiterHint : 1
; COMPUTE_PGM_RSRC2:SCRATCH_EN: 0
; COMPUTE_PGM_RSRC2:USER_SGPR: 15
; COMPUTE_PGM_RSRC2:TRAP_HANDLER: 0
; COMPUTE_PGM_RSRC2:TGID_X_EN: 1
; COMPUTE_PGM_RSRC2:TGID_Y_EN: 0
; COMPUTE_PGM_RSRC2:TGID_Z_EN: 0
; COMPUTE_PGM_RSRC2:TIDIG_COMP_CNT: 2
	.section	.text._ZN9rocsparseL20bsrxmvn_17_32_kernelILj22E21rocsparse_complex_numIdEliS1_IfES2_S2_EEvT2_20rocsparse_direction_NS_24const_host_device_scalarIT0_EES4_PKS4_PKT1_SD_SA_PKT3_PKT4_S8_PT5_21rocsparse_index_base_b,"axG",@progbits,_ZN9rocsparseL20bsrxmvn_17_32_kernelILj22E21rocsparse_complex_numIdEliS1_IfES2_S2_EEvT2_20rocsparse_direction_NS_24const_host_device_scalarIT0_EES4_PKS4_PKT1_SD_SA_PKT3_PKT4_S8_PT5_21rocsparse_index_base_b,comdat
	.globl	_ZN9rocsparseL20bsrxmvn_17_32_kernelILj22E21rocsparse_complex_numIdEliS1_IfES2_S2_EEvT2_20rocsparse_direction_NS_24const_host_device_scalarIT0_EES4_PKS4_PKT1_SD_SA_PKT3_PKT4_S8_PT5_21rocsparse_index_base_b ; -- Begin function _ZN9rocsparseL20bsrxmvn_17_32_kernelILj22E21rocsparse_complex_numIdEliS1_IfES2_S2_EEvT2_20rocsparse_direction_NS_24const_host_device_scalarIT0_EES4_PKS4_PKT1_SD_SA_PKT3_PKT4_S8_PT5_21rocsparse_index_base_b
	.p2align	8
	.type	_ZN9rocsparseL20bsrxmvn_17_32_kernelILj22E21rocsparse_complex_numIdEliS1_IfES2_S2_EEvT2_20rocsparse_direction_NS_24const_host_device_scalarIT0_EES4_PKS4_PKT1_SD_SA_PKT3_PKT4_S8_PT5_21rocsparse_index_base_b,@function
_ZN9rocsparseL20bsrxmvn_17_32_kernelILj22E21rocsparse_complex_numIdEliS1_IfES2_S2_EEvT2_20rocsparse_direction_NS_24const_host_device_scalarIT0_EES4_PKS4_PKT1_SD_SA_PKT3_PKT4_S8_PT5_21rocsparse_index_base_b: ; @_ZN9rocsparseL20bsrxmvn_17_32_kernelILj22E21rocsparse_complex_numIdEliS1_IfES2_S2_EEvT2_20rocsparse_direction_NS_24const_host_device_scalarIT0_EES4_PKS4_PKT1_SD_SA_PKT3_PKT4_S8_PT5_21rocsparse_index_base_b
; %bb.0:
	s_mov_b32 s12, s15
	s_clause 0x1
	s_load_b64 s[14:15], s[2:3], 0x68
	s_load_b128 s[4:7], s[2:3], 0x8
	s_load_b64 s[16:17], s[0:1], 0x4
	s_mov_b64 s[0:1], src_shared_base
	v_and_b32_e32 v4, 0x3ff, v0
	s_load_b128 s[8:11], s[2:3], 0x50
	v_bfe_u32 v2, v0, 10, 10
	v_bfe_u32 v0, v0, 20, 10
	s_waitcnt lgkmcnt(0)
	s_bitcmp1_b32 s15, 0
	v_mov_b32_e32 v12, s7
	s_cselect_b32 s0, -1, 0
	v_mov_b32_e32 v11, s6
	s_and_b32 vcc_lo, s0, exec_lo
	s_cselect_b32 s13, s1, s5
	s_lshr_b32 s15, s16, 16
	v_mov_b32_e32 v6, s13
	s_mul_i32 s15, s15, s17
	s_xor_b32 s6, s0, -1
	v_mul_lo_u32 v1, s15, v4
	s_delay_alu instid0(VALU_DEP_1) | instskip(SKIP_1) | instid1(VALU_DEP_2)
	v_mad_u32_u24 v1, v2, s17, v1
	v_dual_mov_b32 v2, s8 :: v_dual_mov_b32 v3, s9
	v_add_lshl_u32 v7, v1, v0, 3
	v_dual_mov_b32 v0, s4 :: v_dual_mov_b32 v1, s5
	ds_store_b64 v7, v[0:1] offset:11616
	ds_store_b64 v7, v[2:3] offset:7744
	v_add_nc_u32_e32 v5, 0x2d60, v7
	v_add_nc_u32_e32 v0, 0x1e40, v7
	s_delay_alu instid0(VALU_DEP_2)
	v_cndmask_b32_e64 v5, s4, v5, s0
	flat_load_b64 v[9:10], v[5:6]
	s_cbranch_vccnz .LBB549_2
; %bb.1:
	v_dual_mov_b32 v1, s4 :: v_dual_mov_b32 v2, s5
	flat_load_b64 v[11:12], v[1:2] offset:8
.LBB549_2:
	s_and_b32 s4, s0, exec_lo
	s_cselect_b32 s1, s1, s9
	v_cndmask_b32_e64 v0, s8, v0, s0
	v_mov_b32_e32 v1, s1
	v_dual_mov_b32 v7, s10 :: v_dual_mov_b32 v8, s11
	s_and_not1_b32 vcc_lo, exec_lo, s6
	flat_load_b64 v[5:6], v[0:1]
	s_cbranch_vccnz .LBB549_4
; %bb.3:
	v_dual_mov_b32 v0, s8 :: v_dual_mov_b32 v1, s9
	flat_load_b64 v[7:8], v[0:1] offset:8
.LBB549_4:
	s_waitcnt vmcnt(1) lgkmcnt(1)
	v_cmp_eq_f64_e32 vcc_lo, 0, v[9:10]
	v_cmp_eq_f64_e64 s0, 0, v[11:12]
	s_delay_alu instid0(VALU_DEP_1)
	s_and_b32 s4, vcc_lo, s0
	s_mov_b32 s0, -1
	s_and_saveexec_b32 s1, s4
	s_cbranch_execz .LBB549_6
; %bb.5:
	s_waitcnt vmcnt(0) lgkmcnt(0)
	v_cmp_neq_f64_e32 vcc_lo, 1.0, v[5:6]
	v_cmp_neq_f64_e64 s0, 0, v[7:8]
	s_delay_alu instid0(VALU_DEP_1) | instskip(NEXT) | instid1(SALU_CYCLE_1)
	s_or_b32 s0, vcc_lo, s0
	s_or_not1_b32 s0, s0, exec_lo
.LBB549_6:
	s_or_b32 exec_lo, exec_lo, s1
	s_and_saveexec_b32 s1, s0
	s_cbranch_execz .LBB549_43
; %bb.7:
	s_clause 0x1
	s_load_b128 s[4:7], s[2:3], 0x20
	s_load_b64 s[8:9], s[2:3], 0x30
	s_waitcnt lgkmcnt(0)
	s_cmp_eq_u64 s[4:5], 0
	s_cbranch_scc1 .LBB549_9
; %bb.8:
	s_ashr_i32 s13, s12, 31
	s_delay_alu instid0(SALU_CYCLE_1) | instskip(NEXT) | instid1(SALU_CYCLE_1)
	s_lshl_b64 s[0:1], s[12:13], 2
	s_add_u32 s0, s4, s0
	s_addc_u32 s1, s5, s1
	s_load_b32 s0, s[0:1], 0x0
	s_waitcnt lgkmcnt(0)
	s_sub_i32 s12, s0, s14
.LBB549_9:
	s_load_b32 s1, s[2:3], 0x4
	v_mul_u32_u24_e32 v0, 0xba3, v4
	v_mov_b32_e32 v2, 0
	v_mov_b32_e32 v3, 0
	s_delay_alu instid0(VALU_DEP_3) | instskip(NEXT) | instid1(VALU_DEP_1)
	v_lshrrev_b32_e32 v13, 16, v0
	v_mul_lo_u16 v0, v13, 22
	s_delay_alu instid0(VALU_DEP_1) | instskip(NEXT) | instid1(VALU_DEP_4)
	v_sub_nc_u16 v18, v4, v0
	v_dual_mov_b32 v0, v2 :: v_dual_mov_b32 v1, v3
	s_waitcnt lgkmcnt(0)
	s_cmp_eq_u32 s1, 1
	s_cselect_b32 s0, -1, 0
	s_cmp_lg_u32 s1, 1
	s_cselect_b32 s1, -1, 0
	s_ashr_i32 s13, s12, 31
	s_delay_alu instid0(SALU_CYCLE_1) | instskip(NEXT) | instid1(SALU_CYCLE_1)
	s_lshl_b64 s[4:5], s[12:13], 3
	s_add_u32 s6, s6, s4
	s_addc_u32 s7, s7, s5
	s_add_u32 s10, s6, 8
	s_addc_u32 s11, s7, 0
	;; [unrolled: 2-line block ×3, first 2 shown]
	s_cmp_eq_u64 s[8:9], 0
	s_load_b64 s[8:9], s[2:3], 0x60
	s_cselect_b32 s5, s11, s5
	s_cselect_b32 s4, s10, s4
	s_load_b64 s[18:19], s[6:7], 0x0
	s_load_b64 s[16:17], s[4:5], 0x0
	s_waitcnt lgkmcnt(0)
	v_cmp_ge_i64_e64 s4, s[18:19], s[16:17]
	s_delay_alu instid0(VALU_DEP_1)
	s_and_b32 vcc_lo, exec_lo, s4
	s_cbranch_vccnz .LBB549_14
; %bb.10:
	v_mul_lo_u16 v0, v13, 12
	v_and_b32_e32 v1, 0xffff, v4
	s_clause 0x1
	s_load_b64 s[10:11], s[2:3], 0x48
	s_load_b128 s[4:7], s[2:3], 0x38
	s_sub_u32 s2, s16, s14
	s_subb_u32 s3, s17, 0
	v_lshrrev_b16 v0, 8, v0
	v_mul_u32_u24_e32 v1, 0x10f, v1
	v_and_b32_e32 v2, 0xffff, v18
	s_sub_u32 s16, s18, s14
	s_subb_u32 s17, s19, 0
	v_mul_lo_u16 v0, v0, 22
	v_lshrrev_b32_e32 v19, 17, v1
	s_mul_hi_u32 s13, s16, 0xf20
	s_mul_i32 s20, s17, 0xf20
	s_mul_i32 s15, s16, 0xf20
	v_sub_nc_u16 v0, v13, v0
	v_add_co_u32 v1, s18, s18, v19
	s_delay_alu instid0(VALU_DEP_1) | instskip(NEXT) | instid1(VALU_DEP_3)
	v_add_co_ci_u32_e64 v3, null, s19, 0, s18
	v_and_b32_e32 v0, 0xff, v0
	s_add_i32 s13, s13, s20
	s_delay_alu instid0(VALU_DEP_1) | instskip(SKIP_4) | instid1(VALU_DEP_3)
	v_cndmask_b32_e64 v13, v2, v0, s0
	v_sub_co_u32 v0, vcc_lo, v1, s14
	v_subrev_co_ci_u32_e32 v1, vcc_lo, 0, v3, vcc_lo
	v_mov_b32_e32 v2, 0
	v_dual_mov_b32 v3, 0 :: v_dual_lshlrev_b32 v14, 3, v4
	v_lshlrev_b64 v[0:1], 2, v[0:1]
	s_waitcnt lgkmcnt(0)
	s_add_u32 s0, s6, s15
	s_addc_u32 s6, s7, s13
	s_delay_alu instid0(VALU_DEP_1) | instskip(NEXT) | instid1(VALU_DEP_2)
	v_add_co_u32 v16, vcc_lo, s4, v0
	v_add_co_ci_u32_e32 v17, vcc_lo, s5, v1, vcc_lo
	v_dual_mov_b32 v0, v2 :: v_dual_mov_b32 v1, v3
	v_add_co_u32 v14, s0, s0, v14
	s_delay_alu instid0(VALU_DEP_1)
	v_add_co_ci_u32_e64 v15, null, s6, 0, s0
	s_set_inst_prefetch_distance 0x1
	s_branch .LBB549_12
	.p2align	6
.LBB549_11:                             ;   in Loop: Header=BB549_12 Depth=1
	s_or_b32 exec_lo, exec_lo, s0
	s_add_u32 s16, s16, 1
	s_addc_u32 s17, s17, 0
	v_add_co_u32 v16, vcc_lo, v16, 4
	v_cmp_lt_i64_e64 s0, s[16:17], s[2:3]
	v_add_co_ci_u32_e32 v17, vcc_lo, 0, v17, vcc_lo
	s_delay_alu instid0(VALU_DEP_2)
	s_and_b32 vcc_lo, exec_lo, s0
	s_cbranch_vccz .LBB549_14
.LBB549_12:                             ; =>This Inner Loop Header: Depth=1
	v_add_co_u32 v20, s0, v19, s16
	s_delay_alu instid0(VALU_DEP_1) | instskip(SKIP_1) | instid1(VALU_DEP_1)
	v_add_co_ci_u32_e64 v21, null, 0, s17, s0
	s_mov_b32 s0, exec_lo
	v_cmpx_gt_i64_e64 s[2:3], v[20:21]
	s_cbranch_execz .LBB549_11
; %bb.13:                               ;   in Loop: Header=BB549_12 Depth=1
	global_load_b32 v20, v[16:17], off
	global_load_b64 v[24:25], v[14:15], off
	s_waitcnt vmcnt(1)
	v_subrev_nc_u32_e32 v22, s14, v20
	s_waitcnt vmcnt(0)
	v_cvt_f64_f32_e32 v[26:27], v24
	v_cvt_f64_f32_e32 v[24:25], v25
	s_delay_alu instid0(VALU_DEP_3) | instskip(NEXT) | instid1(VALU_DEP_1)
	v_mad_u64_u32 v[20:21], null, v22, 22, v[13:14]
	v_ashrrev_i32_e32 v21, 31, v20
	s_delay_alu instid0(VALU_DEP_1) | instskip(NEXT) | instid1(VALU_DEP_1)
	v_lshlrev_b64 v[20:21], 4, v[20:21]
	v_add_co_u32 v20, vcc_lo, s10, v20
	s_delay_alu instid0(VALU_DEP_2)
	v_add_co_ci_u32_e32 v21, vcc_lo, s11, v21, vcc_lo
	v_add_co_u32 v14, vcc_lo, 0xf20, v14
	v_add_co_ci_u32_e32 v15, vcc_lo, 0, v15, vcc_lo
	global_load_b128 v[20:23], v[20:21], off
	s_waitcnt vmcnt(0)
	v_fma_f64 v[0:1], v[26:27], v[20:21], v[0:1]
	v_fma_f64 v[2:3], v[24:25], v[20:21], v[2:3]
	s_delay_alu instid0(VALU_DEP_2) | instskip(NEXT) | instid1(VALU_DEP_2)
	v_fma_f64 v[0:1], -v[24:25], v[22:23], v[0:1]
	v_fma_f64 v[2:3], v[26:27], v[22:23], v[2:3]
	s_branch .LBB549_11
.LBB549_14:
	s_set_inst_prefetch_distance 0x2
	v_lshlrev_b32_e32 v17, 4, v4
	s_and_b32 vcc_lo, exec_lo, s1
	ds_store_b128 v17, v[0:3]
	s_waitcnt vmcnt(0) lgkmcnt(0)
	s_barrier
	buffer_gl0_inv
	s_cbranch_vccz .LBB549_26
; %bb.15:
	s_mov_b32 s0, exec_lo
	v_cmpx_gt_u16_e32 6, v18
	s_cbranch_execz .LBB549_17
; %bb.16:
	ds_load_b128 v[13:16], v17 offset:256
	ds_load_b128 v[19:22], v17
	s_waitcnt lgkmcnt(0)
	v_add_f64 v[13:14], v[13:14], v[19:20]
	v_add_f64 v[15:16], v[15:16], v[21:22]
	ds_store_b128 v17, v[13:16]
.LBB549_17:
	s_or_b32 exec_lo, exec_lo, s0
	s_delay_alu instid0(SALU_CYCLE_1)
	s_mov_b32 s0, exec_lo
	s_waitcnt lgkmcnt(0)
	s_barrier
	buffer_gl0_inv
	v_cmpx_gt_u16_e32 8, v18
	s_cbranch_execz .LBB549_19
; %bb.18:
	ds_load_b128 v[13:16], v17 offset:128
	ds_load_b128 v[19:22], v17
	s_waitcnt lgkmcnt(0)
	v_add_f64 v[13:14], v[13:14], v[19:20]
	v_add_f64 v[15:16], v[15:16], v[21:22]
	ds_store_b128 v17, v[13:16]
.LBB549_19:
	s_or_b32 exec_lo, exec_lo, s0
	s_delay_alu instid0(SALU_CYCLE_1)
	s_mov_b32 s0, exec_lo
	s_waitcnt lgkmcnt(0)
	s_barrier
	buffer_gl0_inv
	;; [unrolled: 16-line block ×3, first 2 shown]
	v_cmpx_gt_u16_e32 2, v18
	s_cbranch_execz .LBB549_23
; %bb.22:
	ds_load_b128 v[13:16], v17
	ds_load_b128 v[18:21], v17 offset:32
	s_waitcnt lgkmcnt(0)
	v_add_f64 v[13:14], v[18:19], v[13:14]
	v_add_f64 v[15:16], v[20:21], v[15:16]
	ds_store_b128 v17, v[13:16]
.LBB549_23:
	s_or_b32 exec_lo, exec_lo, s0
	v_dual_mov_b32 v16, v3 :: v_dual_mov_b32 v15, v2
	v_dual_mov_b32 v14, v1 :: v_dual_mov_b32 v13, v0
	s_mov_b32 s0, exec_lo
	s_waitcnt lgkmcnt(0)
	s_barrier
	buffer_gl0_inv
	v_cmpx_gt_u32_e32 22, v4
	s_cbranch_execz .LBB549_25
; %bb.24:
	v_mul_u32_u24_e32 v13, 22, v4
	s_delay_alu instid0(VALU_DEP_1)
	v_lshlrev_b32_e32 v18, 4, v13
	ds_load_b128 v[13:16], v18
	ds_load_b128 v[18:21], v18 offset:16
	s_waitcnt lgkmcnt(0)
	v_add_f64 v[13:14], v[18:19], v[13:14]
	v_add_f64 v[15:16], v[20:21], v[15:16]
.LBB549_25:
	s_or_b32 exec_lo, exec_lo, s0
	s_branch .LBB549_38
.LBB549_26:
                                        ; implicit-def: $vgpr15_vgpr16
                                        ; implicit-def: $vgpr13_vgpr14
	s_cbranch_execz .LBB549_38
; %bb.27:
	s_mov_b32 s0, exec_lo
	v_cmpx_gt_u32_e32 0x84, v4
	s_cbranch_execz .LBB549_29
; %bb.28:
	ds_load_b128 v[13:16], v17 offset:5632
	ds_load_b128 v[18:21], v17
	s_waitcnt lgkmcnt(0)
	v_add_f64 v[13:14], v[13:14], v[18:19]
	v_add_f64 v[15:16], v[15:16], v[20:21]
	ds_store_b128 v17, v[13:16]
.LBB549_29:
	s_or_b32 exec_lo, exec_lo, s0
	s_delay_alu instid0(SALU_CYCLE_1)
	s_mov_b32 s0, exec_lo
	s_waitcnt lgkmcnt(0)
	s_barrier
	buffer_gl0_inv
	v_cmpx_gt_u32_e32 0xb0, v4
	s_cbranch_execz .LBB549_31
; %bb.30:
	ds_load_b128 v[13:16], v17 offset:2816
	ds_load_b128 v[18:21], v17
	s_waitcnt lgkmcnt(0)
	v_add_f64 v[13:14], v[13:14], v[18:19]
	v_add_f64 v[15:16], v[15:16], v[20:21]
	ds_store_b128 v17, v[13:16]
.LBB549_31:
	s_or_b32 exec_lo, exec_lo, s0
	s_delay_alu instid0(SALU_CYCLE_1)
	s_mov_b32 s0, exec_lo
	s_waitcnt lgkmcnt(0)
	s_barrier
	buffer_gl0_inv
	v_cmpx_gt_u32_e32 0x58, v4
	s_cbranch_execz .LBB549_33
; %bb.32:
	ds_load_b128 v[13:16], v17 offset:1408
	ds_load_b128 v[18:21], v17
	s_waitcnt lgkmcnt(0)
	v_add_f64 v[13:14], v[13:14], v[18:19]
	v_add_f64 v[15:16], v[15:16], v[20:21]
	ds_store_b128 v17, v[13:16]
.LBB549_33:
	s_or_b32 exec_lo, exec_lo, s0
	s_delay_alu instid0(SALU_CYCLE_1)
	s_mov_b32 s0, exec_lo
	s_waitcnt lgkmcnt(0)
	s_barrier
	buffer_gl0_inv
	v_cmpx_gt_u32_e32 44, v4
	s_cbranch_execz .LBB549_35
; %bb.34:
	ds_load_b128 v[13:16], v17 offset:704
	ds_load_b128 v[18:21], v17
	s_waitcnt lgkmcnt(0)
	v_add_f64 v[13:14], v[13:14], v[18:19]
	v_add_f64 v[15:16], v[15:16], v[20:21]
	ds_store_b128 v17, v[13:16]
.LBB549_35:
	s_or_b32 exec_lo, exec_lo, s0
	s_delay_alu instid0(SALU_CYCLE_1)
	s_mov_b32 s0, exec_lo
	s_waitcnt lgkmcnt(0)
	buffer_gl0_inv
	v_cmpx_gt_u32_e32 22, v4
	s_cbranch_execz .LBB549_37
; %bb.36:
	ds_load_b128 v[0:3], v17 offset:352
	ds_load_b128 v[13:16], v17
	s_waitcnt lgkmcnt(0)
	v_add_f64 v[0:1], v[0:1], v[13:14]
	v_add_f64 v[2:3], v[2:3], v[15:16]
.LBB549_37:
	s_or_b32 exec_lo, exec_lo, s0
	s_delay_alu instid0(VALU_DEP_1) | instskip(NEXT) | instid1(VALU_DEP_3)
	v_dual_mov_b32 v16, v3 :: v_dual_mov_b32 v15, v2
	v_dual_mov_b32 v14, v1 :: v_dual_mov_b32 v13, v0
.LBB549_38:
	v_cmp_gt_u32_e32 vcc_lo, 22, v4
	s_and_b32 exec_lo, exec_lo, vcc_lo
	s_cbranch_execz .LBB549_43
; %bb.39:
	s_delay_alu instid0(VALU_DEP_2) | instskip(SKIP_3) | instid1(VALU_DEP_4)
	v_mul_f64 v[0:1], v[15:16], -v[11:12]
	v_mul_f64 v[2:3], v[9:10], v[15:16]
	v_cmp_eq_f64_e32 vcc_lo, 0, v[5:6]
	v_cmp_eq_f64_e64 s0, 0, v[7:8]
	v_fma_f64 v[0:1], v[9:10], v[13:14], v[0:1]
	s_delay_alu instid0(VALU_DEP_4) | instskip(NEXT) | instid1(VALU_DEP_3)
	v_fma_f64 v[2:3], v[11:12], v[13:14], v[2:3]
	s_and_b32 s0, vcc_lo, s0
	s_delay_alu instid0(SALU_CYCLE_1) | instskip(NEXT) | instid1(SALU_CYCLE_1)
	s_and_saveexec_b32 s1, s0
	s_xor_b32 s0, exec_lo, s1
	s_cbranch_execz .LBB549_41
; %bb.40:
	v_mad_u64_u32 v[5:6], null, s12, 22, v[4:5]
	v_mov_b32_e32 v6, 0
                                        ; implicit-def: $vgpr7_vgpr8
	s_delay_alu instid0(VALU_DEP_1) | instskip(NEXT) | instid1(VALU_DEP_1)
	v_lshlrev_b64 v[4:5], 4, v[5:6]
	v_add_co_u32 v4, vcc_lo, s8, v4
	s_delay_alu instid0(VALU_DEP_2)
	v_add_co_ci_u32_e32 v5, vcc_lo, s9, v5, vcc_lo
	global_store_b128 v[4:5], v[0:3], off
                                        ; implicit-def: $vgpr4
                                        ; implicit-def: $vgpr5_vgpr6
                                        ; implicit-def: $vgpr0_vgpr1
.LBB549_41:
	s_and_not1_saveexec_b32 s0, s0
	s_cbranch_execz .LBB549_43
; %bb.42:
	v_mad_u64_u32 v[9:10], null, s12, 22, v[4:5]
	v_mov_b32_e32 v10, 0
	s_delay_alu instid0(VALU_DEP_1) | instskip(NEXT) | instid1(VALU_DEP_1)
	v_lshlrev_b64 v[9:10], 4, v[9:10]
	v_add_co_u32 v13, vcc_lo, s8, v9
	s_delay_alu instid0(VALU_DEP_2) | instskip(SKIP_4) | instid1(VALU_DEP_2)
	v_add_co_ci_u32_e32 v14, vcc_lo, s9, v10, vcc_lo
	global_load_b128 v[9:12], v[13:14], off
	s_waitcnt vmcnt(0)
	v_fma_f64 v[0:1], v[5:6], v[9:10], v[0:1]
	v_fma_f64 v[2:3], v[7:8], v[9:10], v[2:3]
	v_fma_f64 v[0:1], -v[7:8], v[11:12], v[0:1]
	s_delay_alu instid0(VALU_DEP_2)
	v_fma_f64 v[2:3], v[5:6], v[11:12], v[2:3]
	global_store_b128 v[13:14], v[0:3], off
.LBB549_43:
	s_nop 0
	s_sendmsg sendmsg(MSG_DEALLOC_VGPRS)
	s_endpgm
	.section	.rodata,"a",@progbits
	.p2align	6, 0x0
	.amdhsa_kernel _ZN9rocsparseL20bsrxmvn_17_32_kernelILj22E21rocsparse_complex_numIdEliS1_IfES2_S2_EEvT2_20rocsparse_direction_NS_24const_host_device_scalarIT0_EES4_PKS4_PKT1_SD_SA_PKT3_PKT4_S8_PT5_21rocsparse_index_base_b
		.amdhsa_group_segment_fixed_size 15488
		.amdhsa_private_segment_fixed_size 0
		.amdhsa_kernarg_size 112
		.amdhsa_user_sgpr_count 15
		.amdhsa_user_sgpr_dispatch_ptr 1
		.amdhsa_user_sgpr_queue_ptr 0
		.amdhsa_user_sgpr_kernarg_segment_ptr 1
		.amdhsa_user_sgpr_dispatch_id 0
		.amdhsa_user_sgpr_private_segment_size 0
		.amdhsa_wavefront_size32 1
		.amdhsa_uses_dynamic_stack 0
		.amdhsa_enable_private_segment 0
		.amdhsa_system_sgpr_workgroup_id_x 1
		.amdhsa_system_sgpr_workgroup_id_y 0
		.amdhsa_system_sgpr_workgroup_id_z 0
		.amdhsa_system_sgpr_workgroup_info 0
		.amdhsa_system_vgpr_workitem_id 2
		.amdhsa_next_free_vgpr 28
		.amdhsa_next_free_sgpr 21
		.amdhsa_reserve_vcc 1
		.amdhsa_float_round_mode_32 0
		.amdhsa_float_round_mode_16_64 0
		.amdhsa_float_denorm_mode_32 3
		.amdhsa_float_denorm_mode_16_64 3
		.amdhsa_dx10_clamp 1
		.amdhsa_ieee_mode 1
		.amdhsa_fp16_overflow 0
		.amdhsa_workgroup_processor_mode 1
		.amdhsa_memory_ordered 1
		.amdhsa_forward_progress 0
		.amdhsa_shared_vgpr_count 0
		.amdhsa_exception_fp_ieee_invalid_op 0
		.amdhsa_exception_fp_denorm_src 0
		.amdhsa_exception_fp_ieee_div_zero 0
		.amdhsa_exception_fp_ieee_overflow 0
		.amdhsa_exception_fp_ieee_underflow 0
		.amdhsa_exception_fp_ieee_inexact 0
		.amdhsa_exception_int_div_zero 0
	.end_amdhsa_kernel
	.section	.text._ZN9rocsparseL20bsrxmvn_17_32_kernelILj22E21rocsparse_complex_numIdEliS1_IfES2_S2_EEvT2_20rocsparse_direction_NS_24const_host_device_scalarIT0_EES4_PKS4_PKT1_SD_SA_PKT3_PKT4_S8_PT5_21rocsparse_index_base_b,"axG",@progbits,_ZN9rocsparseL20bsrxmvn_17_32_kernelILj22E21rocsparse_complex_numIdEliS1_IfES2_S2_EEvT2_20rocsparse_direction_NS_24const_host_device_scalarIT0_EES4_PKS4_PKT1_SD_SA_PKT3_PKT4_S8_PT5_21rocsparse_index_base_b,comdat
.Lfunc_end549:
	.size	_ZN9rocsparseL20bsrxmvn_17_32_kernelILj22E21rocsparse_complex_numIdEliS1_IfES2_S2_EEvT2_20rocsparse_direction_NS_24const_host_device_scalarIT0_EES4_PKS4_PKT1_SD_SA_PKT3_PKT4_S8_PT5_21rocsparse_index_base_b, .Lfunc_end549-_ZN9rocsparseL20bsrxmvn_17_32_kernelILj22E21rocsparse_complex_numIdEliS1_IfES2_S2_EEvT2_20rocsparse_direction_NS_24const_host_device_scalarIT0_EES4_PKS4_PKT1_SD_SA_PKT3_PKT4_S8_PT5_21rocsparse_index_base_b
                                        ; -- End function
	.section	.AMDGPU.csdata,"",@progbits
; Kernel info:
; codeLenInByte = 2188
; NumSgprs: 23
; NumVgprs: 28
; ScratchSize: 0
; MemoryBound: 0
; FloatMode: 240
; IeeeMode: 1
; LDSByteSize: 15488 bytes/workgroup (compile time only)
; SGPRBlocks: 2
; VGPRBlocks: 3
; NumSGPRsForWavesPerEU: 23
; NumVGPRsForWavesPerEU: 28
; Occupancy: 16
; WaveLimiterHint : 1
; COMPUTE_PGM_RSRC2:SCRATCH_EN: 0
; COMPUTE_PGM_RSRC2:USER_SGPR: 15
; COMPUTE_PGM_RSRC2:TRAP_HANDLER: 0
; COMPUTE_PGM_RSRC2:TGID_X_EN: 1
; COMPUTE_PGM_RSRC2:TGID_Y_EN: 0
; COMPUTE_PGM_RSRC2:TGID_Z_EN: 0
; COMPUTE_PGM_RSRC2:TIDIG_COMP_CNT: 2
	.section	.text._ZN9rocsparseL20bsrxmvn_17_32_kernelILj23E21rocsparse_complex_numIdEliS1_IfES2_S2_EEvT2_20rocsparse_direction_NS_24const_host_device_scalarIT0_EES4_PKS4_PKT1_SD_SA_PKT3_PKT4_S8_PT5_21rocsparse_index_base_b,"axG",@progbits,_ZN9rocsparseL20bsrxmvn_17_32_kernelILj23E21rocsparse_complex_numIdEliS1_IfES2_S2_EEvT2_20rocsparse_direction_NS_24const_host_device_scalarIT0_EES4_PKS4_PKT1_SD_SA_PKT3_PKT4_S8_PT5_21rocsparse_index_base_b,comdat
	.globl	_ZN9rocsparseL20bsrxmvn_17_32_kernelILj23E21rocsparse_complex_numIdEliS1_IfES2_S2_EEvT2_20rocsparse_direction_NS_24const_host_device_scalarIT0_EES4_PKS4_PKT1_SD_SA_PKT3_PKT4_S8_PT5_21rocsparse_index_base_b ; -- Begin function _ZN9rocsparseL20bsrxmvn_17_32_kernelILj23E21rocsparse_complex_numIdEliS1_IfES2_S2_EEvT2_20rocsparse_direction_NS_24const_host_device_scalarIT0_EES4_PKS4_PKT1_SD_SA_PKT3_PKT4_S8_PT5_21rocsparse_index_base_b
	.p2align	8
	.type	_ZN9rocsparseL20bsrxmvn_17_32_kernelILj23E21rocsparse_complex_numIdEliS1_IfES2_S2_EEvT2_20rocsparse_direction_NS_24const_host_device_scalarIT0_EES4_PKS4_PKT1_SD_SA_PKT3_PKT4_S8_PT5_21rocsparse_index_base_b,@function
_ZN9rocsparseL20bsrxmvn_17_32_kernelILj23E21rocsparse_complex_numIdEliS1_IfES2_S2_EEvT2_20rocsparse_direction_NS_24const_host_device_scalarIT0_EES4_PKS4_PKT1_SD_SA_PKT3_PKT4_S8_PT5_21rocsparse_index_base_b: ; @_ZN9rocsparseL20bsrxmvn_17_32_kernelILj23E21rocsparse_complex_numIdEliS1_IfES2_S2_EEvT2_20rocsparse_direction_NS_24const_host_device_scalarIT0_EES4_PKS4_PKT1_SD_SA_PKT3_PKT4_S8_PT5_21rocsparse_index_base_b
; %bb.0:
	s_mov_b32 s12, s15
	s_clause 0x1
	s_load_b64 s[14:15], s[2:3], 0x68
	s_load_b128 s[4:7], s[2:3], 0x8
	s_load_b64 s[16:17], s[0:1], 0x4
	s_mov_b64 s[0:1], src_shared_base
	v_and_b32_e32 v4, 0x3ff, v0
	s_load_b128 s[8:11], s[2:3], 0x50
	v_bfe_u32 v2, v0, 10, 10
	v_bfe_u32 v0, v0, 20, 10
	s_waitcnt lgkmcnt(0)
	s_bitcmp1_b32 s15, 0
	v_mov_b32_e32 v12, s7
	s_cselect_b32 s0, -1, 0
	v_mov_b32_e32 v11, s6
	s_and_b32 vcc_lo, s0, exec_lo
	s_cselect_b32 s13, s1, s5
	s_lshr_b32 s15, s16, 16
	v_mov_b32_e32 v6, s13
	s_mul_i32 s15, s15, s17
	s_xor_b32 s6, s0, -1
	v_mul_lo_u32 v1, s15, v4
	s_delay_alu instid0(VALU_DEP_1) | instskip(SKIP_1) | instid1(VALU_DEP_2)
	v_mad_u32_u24 v1, v2, s17, v1
	v_dual_mov_b32 v2, s8 :: v_dual_mov_b32 v3, s9
	v_add_lshl_u32 v7, v1, v0, 3
	v_dual_mov_b32 v0, s4 :: v_dual_mov_b32 v1, s5
	ds_store_b64 v7, v[0:1] offset:12696
	ds_store_b64 v7, v[2:3] offset:8464
	v_add_nc_u32_e32 v5, 0x3198, v7
	v_add_nc_u32_e32 v0, 0x2110, v7
	s_delay_alu instid0(VALU_DEP_2)
	v_cndmask_b32_e64 v5, s4, v5, s0
	flat_load_b64 v[9:10], v[5:6]
	s_cbranch_vccnz .LBB550_2
; %bb.1:
	v_dual_mov_b32 v1, s4 :: v_dual_mov_b32 v2, s5
	flat_load_b64 v[11:12], v[1:2] offset:8
.LBB550_2:
	s_and_b32 s4, s0, exec_lo
	s_cselect_b32 s1, s1, s9
	v_cndmask_b32_e64 v0, s8, v0, s0
	v_mov_b32_e32 v1, s1
	v_dual_mov_b32 v7, s10 :: v_dual_mov_b32 v8, s11
	s_and_not1_b32 vcc_lo, exec_lo, s6
	flat_load_b64 v[5:6], v[0:1]
	s_cbranch_vccnz .LBB550_4
; %bb.3:
	v_dual_mov_b32 v0, s8 :: v_dual_mov_b32 v1, s9
	flat_load_b64 v[7:8], v[0:1] offset:8
.LBB550_4:
	s_waitcnt vmcnt(1) lgkmcnt(1)
	v_cmp_eq_f64_e32 vcc_lo, 0, v[9:10]
	v_cmp_eq_f64_e64 s0, 0, v[11:12]
	s_delay_alu instid0(VALU_DEP_1)
	s_and_b32 s4, vcc_lo, s0
	s_mov_b32 s0, -1
	s_and_saveexec_b32 s1, s4
	s_cbranch_execz .LBB550_6
; %bb.5:
	s_waitcnt vmcnt(0) lgkmcnt(0)
	v_cmp_neq_f64_e32 vcc_lo, 1.0, v[5:6]
	v_cmp_neq_f64_e64 s0, 0, v[7:8]
	s_delay_alu instid0(VALU_DEP_1) | instskip(NEXT) | instid1(SALU_CYCLE_1)
	s_or_b32 s0, vcc_lo, s0
	s_or_not1_b32 s0, s0, exec_lo
.LBB550_6:
	s_or_b32 exec_lo, exec_lo, s1
	s_and_saveexec_b32 s1, s0
	s_cbranch_execz .LBB550_43
; %bb.7:
	s_clause 0x1
	s_load_b128 s[4:7], s[2:3], 0x20
	s_load_b64 s[8:9], s[2:3], 0x30
	s_waitcnt lgkmcnt(0)
	s_cmp_eq_u64 s[4:5], 0
	s_cbranch_scc1 .LBB550_9
; %bb.8:
	s_ashr_i32 s13, s12, 31
	s_delay_alu instid0(SALU_CYCLE_1) | instskip(NEXT) | instid1(SALU_CYCLE_1)
	s_lshl_b64 s[0:1], s[12:13], 2
	s_add_u32 s0, s4, s0
	s_addc_u32 s1, s5, s1
	s_load_b32 s0, s[0:1], 0x0
	s_waitcnt lgkmcnt(0)
	s_sub_i32 s12, s0, s14
.LBB550_9:
	s_load_b32 s1, s[2:3], 0x4
	v_mul_u32_u24_e32 v0, 0xb22, v4
	v_mov_b32_e32 v2, 0
	v_mov_b32_e32 v3, 0
	s_delay_alu instid0(VALU_DEP_3) | instskip(NEXT) | instid1(VALU_DEP_1)
	v_lshrrev_b32_e32 v13, 16, v0
	v_mul_lo_u16 v0, v13, 23
	s_delay_alu instid0(VALU_DEP_1) | instskip(NEXT) | instid1(VALU_DEP_4)
	v_sub_nc_u16 v16, v4, v0
	v_dual_mov_b32 v0, v2 :: v_dual_mov_b32 v1, v3
	s_waitcnt lgkmcnt(0)
	s_cmp_eq_u32 s1, 1
	s_cselect_b32 s0, -1, 0
	s_cmp_lg_u32 s1, 1
	s_cselect_b32 s20, -1, 0
	s_ashr_i32 s13, s12, 31
	s_delay_alu instid0(SALU_CYCLE_1) | instskip(NEXT) | instid1(SALU_CYCLE_1)
	s_lshl_b64 s[4:5], s[12:13], 3
	s_add_u32 s6, s6, s4
	s_addc_u32 s7, s7, s5
	s_add_u32 s1, s6, 8
	s_addc_u32 s10, s7, 0
	;; [unrolled: 2-line block ×3, first 2 shown]
	s_cmp_eq_u64 s[8:9], 0
	s_load_b64 s[8:9], s[2:3], 0x60
	s_cselect_b32 s5, s10, s5
	s_cselect_b32 s4, s1, s4
	s_load_b64 s[18:19], s[6:7], 0x0
	s_load_b64 s[10:11], s[4:5], 0x0
	s_waitcnt lgkmcnt(0)
	v_cmp_ge_i64_e64 s1, s[18:19], s[10:11]
	s_delay_alu instid0(VALU_DEP_1)
	s_and_b32 vcc_lo, exec_lo, s1
	s_cbranch_vccnz .LBB550_14
; %bb.10:
	s_clause 0x1
	s_load_b128 s[4:7], s[2:3], 0x38
	s_load_b64 s[2:3], s[2:3], 0x48
	s_sub_u32 s10, s10, s14
	s_subb_u32 s11, s11, 0
	s_sub_u32 s16, s18, s14
	s_subb_u32 s17, s19, 0
	v_and_b32_e32 v0, 0xffff, v16
	v_dual_mov_b32 v2, 0 :: v_dual_and_b32 v1, 0xffff, v13
	v_dual_mov_b32 v3, 0 :: v_dual_lshlrev_b32 v14, 3, v4
	s_mul_hi_u32 s1, s16, 0x1088
	s_mul_i32 s21, s17, 0x1088
	s_mul_i32 s13, s16, 0x1088
	s_add_i32 s1, s1, s21
	s_mov_b32 s15, 0
	v_cndmask_b32_e64 v13, v0, v1, s0
	v_dual_mov_b32 v0, v2 :: v_dual_mov_b32 v1, v3
	s_waitcnt lgkmcnt(0)
	s_add_u32 s13, s6, s13
	s_addc_u32 s21, s7, s1
	s_lshl_b64 s[0:1], s[18:19], 2
	s_lshl_b64 s[6:7], s[14:15], 2
	v_add_co_u32 v14, s13, s13, v14
	s_delay_alu instid0(VALU_DEP_1)
	v_add_co_ci_u32_e64 v15, null, s21, 0, s13
	s_sub_u32 s0, s0, s6
	s_subb_u32 s1, s1, s7
	s_add_u32 s0, s4, s0
	s_addc_u32 s1, s5, s1
	s_set_inst_prefetch_distance 0x1
	s_branch .LBB550_12
	.p2align	6
.LBB550_11:                             ;   in Loop: Header=BB550_12 Depth=1
	s_add_u32 s16, s16, 1
	s_addc_u32 s17, s17, 0
	s_add_u32 s0, s0, 4
	v_cmp_lt_i64_e64 s4, s[16:17], s[10:11]
	s_addc_u32 s1, s1, 0
	s_delay_alu instid0(VALU_DEP_1)
	s_and_b32 vcc_lo, exec_lo, s4
	s_cbranch_vccz .LBB550_14
.LBB550_12:                             ; =>This Inner Loop Header: Depth=1
	v_cmp_ge_i64_e64 s4, s[16:17], s[10:11]
	s_delay_alu instid0(VALU_DEP_1)
	s_and_b32 vcc_lo, exec_lo, s4
	s_cbranch_vccnz .LBB550_11
; %bb.13:                               ;   in Loop: Header=BB550_12 Depth=1
	s_load_b32 s4, s[0:1], 0x0
	global_load_b64 v[21:22], v[14:15], off
	s_waitcnt lgkmcnt(0)
	s_sub_i32 s4, s4, s14
	s_delay_alu instid0(SALU_CYCLE_1) | instskip(NEXT) | instid1(VALU_DEP_1)
	v_mad_u64_u32 v[17:18], null, s4, 23, v[13:14]
	v_ashrrev_i32_e32 v18, 31, v17
	s_delay_alu instid0(VALU_DEP_1) | instskip(NEXT) | instid1(VALU_DEP_1)
	v_lshlrev_b64 v[17:18], 4, v[17:18]
	v_add_co_u32 v17, vcc_lo, s2, v17
	s_delay_alu instid0(VALU_DEP_2)
	v_add_co_ci_u32_e32 v18, vcc_lo, s3, v18, vcc_lo
	v_add_co_u32 v14, vcc_lo, 0x1088, v14
	v_add_co_ci_u32_e32 v15, vcc_lo, 0, v15, vcc_lo
	global_load_b128 v[17:20], v[17:18], off
	s_waitcnt vmcnt(1)
	v_cvt_f64_f32_e32 v[23:24], v21
	v_cvt_f64_f32_e32 v[21:22], v22
	s_waitcnt vmcnt(0)
	s_delay_alu instid0(VALU_DEP_2) | instskip(NEXT) | instid1(VALU_DEP_2)
	v_fma_f64 v[0:1], v[23:24], v[17:18], v[0:1]
	v_fma_f64 v[2:3], v[21:22], v[17:18], v[2:3]
	s_delay_alu instid0(VALU_DEP_2) | instskip(NEXT) | instid1(VALU_DEP_2)
	v_fma_f64 v[0:1], -v[21:22], v[19:20], v[0:1]
	v_fma_f64 v[2:3], v[23:24], v[19:20], v[2:3]
	s_branch .LBB550_11
.LBB550_14:
	s_set_inst_prefetch_distance 0x2
	v_lshlrev_b32_e32 v17, 4, v4
	s_and_b32 vcc_lo, exec_lo, s20
	ds_store_b128 v17, v[0:3]
	s_waitcnt vmcnt(0) lgkmcnt(0)
	s_barrier
	buffer_gl0_inv
	s_cbranch_vccz .LBB550_26
; %bb.15:
	s_mov_b32 s0, exec_lo
	v_cmpx_gt_u16_e32 7, v16
	s_cbranch_execz .LBB550_17
; %bb.16:
	ds_load_b128 v[18:21], v17 offset:256
	ds_load_b128 v[22:25], v17
	s_waitcnt lgkmcnt(0)
	v_add_f64 v[18:19], v[18:19], v[22:23]
	v_add_f64 v[20:21], v[20:21], v[24:25]
	ds_store_b128 v17, v[18:21]
.LBB550_17:
	s_or_b32 exec_lo, exec_lo, s0
	s_delay_alu instid0(SALU_CYCLE_1)
	s_mov_b32 s0, exec_lo
	s_waitcnt lgkmcnt(0)
	s_barrier
	buffer_gl0_inv
	v_cmpx_gt_u16_e32 8, v16
	s_cbranch_execz .LBB550_19
; %bb.18:
	ds_load_b128 v[18:21], v17 offset:128
	ds_load_b128 v[22:25], v17
	s_waitcnt lgkmcnt(0)
	v_add_f64 v[18:19], v[18:19], v[22:23]
	v_add_f64 v[20:21], v[20:21], v[24:25]
	ds_store_b128 v17, v[18:21]
.LBB550_19:
	s_or_b32 exec_lo, exec_lo, s0
	s_delay_alu instid0(SALU_CYCLE_1)
	s_mov_b32 s0, exec_lo
	s_waitcnt lgkmcnt(0)
	s_barrier
	buffer_gl0_inv
	;; [unrolled: 16-line block ×3, first 2 shown]
	v_cmpx_gt_u16_e32 2, v16
	s_cbranch_execz .LBB550_23
; %bb.22:
	ds_load_b128 v[13:16], v17
	ds_load_b128 v[18:21], v17 offset:32
	s_waitcnt lgkmcnt(0)
	v_add_f64 v[13:14], v[18:19], v[13:14]
	v_add_f64 v[15:16], v[20:21], v[15:16]
	ds_store_b128 v17, v[13:16]
.LBB550_23:
	s_or_b32 exec_lo, exec_lo, s0
	v_dual_mov_b32 v16, v3 :: v_dual_mov_b32 v15, v2
	v_dual_mov_b32 v14, v1 :: v_dual_mov_b32 v13, v0
	s_mov_b32 s0, exec_lo
	s_waitcnt lgkmcnt(0)
	s_barrier
	buffer_gl0_inv
	v_cmpx_gt_u32_e32 23, v4
	s_cbranch_execz .LBB550_25
; %bb.24:
	v_mul_u32_u24_e32 v13, 23, v4
	s_delay_alu instid0(VALU_DEP_1)
	v_lshlrev_b32_e32 v18, 4, v13
	ds_load_b128 v[13:16], v18
	ds_load_b128 v[18:21], v18 offset:16
	s_waitcnt lgkmcnt(0)
	v_add_f64 v[13:14], v[18:19], v[13:14]
	v_add_f64 v[15:16], v[20:21], v[15:16]
.LBB550_25:
	s_or_b32 exec_lo, exec_lo, s0
	s_branch .LBB550_38
.LBB550_26:
                                        ; implicit-def: $vgpr15_vgpr16
                                        ; implicit-def: $vgpr13_vgpr14
	s_cbranch_execz .LBB550_38
; %bb.27:
	s_mov_b32 s0, exec_lo
	v_cmpx_gt_u32_e32 0xa1, v4
	s_cbranch_execz .LBB550_29
; %bb.28:
	ds_load_b128 v[13:16], v17 offset:5888
	ds_load_b128 v[18:21], v17
	s_waitcnt lgkmcnt(0)
	v_add_f64 v[13:14], v[13:14], v[18:19]
	v_add_f64 v[15:16], v[15:16], v[20:21]
	ds_store_b128 v17, v[13:16]
.LBB550_29:
	s_or_b32 exec_lo, exec_lo, s0
	s_delay_alu instid0(SALU_CYCLE_1)
	s_mov_b32 s0, exec_lo
	s_waitcnt lgkmcnt(0)
	s_barrier
	buffer_gl0_inv
	v_cmpx_gt_u32_e32 0xb8, v4
	s_cbranch_execz .LBB550_31
; %bb.30:
	ds_load_b128 v[13:16], v17 offset:2944
	ds_load_b128 v[18:21], v17
	s_waitcnt lgkmcnt(0)
	v_add_f64 v[13:14], v[13:14], v[18:19]
	v_add_f64 v[15:16], v[15:16], v[20:21]
	ds_store_b128 v17, v[13:16]
.LBB550_31:
	s_or_b32 exec_lo, exec_lo, s0
	s_delay_alu instid0(SALU_CYCLE_1)
	s_mov_b32 s0, exec_lo
	s_waitcnt lgkmcnt(0)
	s_barrier
	buffer_gl0_inv
	;; [unrolled: 16-line block ×3, first 2 shown]
	v_cmpx_gt_u32_e32 46, v4
	s_cbranch_execz .LBB550_35
; %bb.34:
	ds_load_b128 v[13:16], v17 offset:736
	ds_load_b128 v[18:21], v17
	s_waitcnt lgkmcnt(0)
	v_add_f64 v[13:14], v[13:14], v[18:19]
	v_add_f64 v[15:16], v[15:16], v[20:21]
	ds_store_b128 v17, v[13:16]
.LBB550_35:
	s_or_b32 exec_lo, exec_lo, s0
	s_delay_alu instid0(SALU_CYCLE_1)
	s_mov_b32 s0, exec_lo
	s_waitcnt lgkmcnt(0)
	buffer_gl0_inv
	v_cmpx_gt_u32_e32 23, v4
	s_cbranch_execz .LBB550_37
; %bb.36:
	ds_load_b128 v[0:3], v17 offset:368
	ds_load_b128 v[13:16], v17
	s_waitcnt lgkmcnt(0)
	v_add_f64 v[0:1], v[0:1], v[13:14]
	v_add_f64 v[2:3], v[2:3], v[15:16]
.LBB550_37:
	s_or_b32 exec_lo, exec_lo, s0
	s_delay_alu instid0(VALU_DEP_1) | instskip(NEXT) | instid1(VALU_DEP_3)
	v_dual_mov_b32 v16, v3 :: v_dual_mov_b32 v15, v2
	v_dual_mov_b32 v14, v1 :: v_dual_mov_b32 v13, v0
.LBB550_38:
	v_cmp_gt_u32_e32 vcc_lo, 23, v4
	s_and_b32 exec_lo, exec_lo, vcc_lo
	s_cbranch_execz .LBB550_43
; %bb.39:
	s_delay_alu instid0(VALU_DEP_2) | instskip(SKIP_3) | instid1(VALU_DEP_4)
	v_mul_f64 v[0:1], v[15:16], -v[11:12]
	v_mul_f64 v[2:3], v[9:10], v[15:16]
	v_cmp_eq_f64_e32 vcc_lo, 0, v[5:6]
	v_cmp_eq_f64_e64 s0, 0, v[7:8]
	v_fma_f64 v[0:1], v[9:10], v[13:14], v[0:1]
	s_delay_alu instid0(VALU_DEP_4) | instskip(NEXT) | instid1(VALU_DEP_3)
	v_fma_f64 v[2:3], v[11:12], v[13:14], v[2:3]
	s_and_b32 s0, vcc_lo, s0
	s_delay_alu instid0(SALU_CYCLE_1) | instskip(NEXT) | instid1(SALU_CYCLE_1)
	s_and_saveexec_b32 s1, s0
	s_xor_b32 s0, exec_lo, s1
	s_cbranch_execz .LBB550_41
; %bb.40:
	v_mad_u64_u32 v[5:6], null, s12, 23, v[4:5]
	v_mov_b32_e32 v6, 0
                                        ; implicit-def: $vgpr7_vgpr8
	s_delay_alu instid0(VALU_DEP_1) | instskip(NEXT) | instid1(VALU_DEP_1)
	v_lshlrev_b64 v[4:5], 4, v[5:6]
	v_add_co_u32 v4, vcc_lo, s8, v4
	s_delay_alu instid0(VALU_DEP_2)
	v_add_co_ci_u32_e32 v5, vcc_lo, s9, v5, vcc_lo
	global_store_b128 v[4:5], v[0:3], off
                                        ; implicit-def: $vgpr4
                                        ; implicit-def: $vgpr5_vgpr6
                                        ; implicit-def: $vgpr0_vgpr1
.LBB550_41:
	s_and_not1_saveexec_b32 s0, s0
	s_cbranch_execz .LBB550_43
; %bb.42:
	v_mad_u64_u32 v[9:10], null, s12, 23, v[4:5]
	v_mov_b32_e32 v10, 0
	s_delay_alu instid0(VALU_DEP_1) | instskip(NEXT) | instid1(VALU_DEP_1)
	v_lshlrev_b64 v[9:10], 4, v[9:10]
	v_add_co_u32 v13, vcc_lo, s8, v9
	s_delay_alu instid0(VALU_DEP_2) | instskip(SKIP_4) | instid1(VALU_DEP_2)
	v_add_co_ci_u32_e32 v14, vcc_lo, s9, v10, vcc_lo
	global_load_b128 v[9:12], v[13:14], off
	s_waitcnt vmcnt(0)
	v_fma_f64 v[0:1], v[5:6], v[9:10], v[0:1]
	v_fma_f64 v[2:3], v[7:8], v[9:10], v[2:3]
	v_fma_f64 v[0:1], -v[7:8], v[11:12], v[0:1]
	s_delay_alu instid0(VALU_DEP_2)
	v_fma_f64 v[2:3], v[5:6], v[11:12], v[2:3]
	global_store_b128 v[13:14], v[0:3], off
.LBB550_43:
	s_nop 0
	s_sendmsg sendmsg(MSG_DEALLOC_VGPRS)
	s_endpgm
	.section	.rodata,"a",@progbits
	.p2align	6, 0x0
	.amdhsa_kernel _ZN9rocsparseL20bsrxmvn_17_32_kernelILj23E21rocsparse_complex_numIdEliS1_IfES2_S2_EEvT2_20rocsparse_direction_NS_24const_host_device_scalarIT0_EES4_PKS4_PKT1_SD_SA_PKT3_PKT4_S8_PT5_21rocsparse_index_base_b
		.amdhsa_group_segment_fixed_size 16928
		.amdhsa_private_segment_fixed_size 0
		.amdhsa_kernarg_size 112
		.amdhsa_user_sgpr_count 15
		.amdhsa_user_sgpr_dispatch_ptr 1
		.amdhsa_user_sgpr_queue_ptr 0
		.amdhsa_user_sgpr_kernarg_segment_ptr 1
		.amdhsa_user_sgpr_dispatch_id 0
		.amdhsa_user_sgpr_private_segment_size 0
		.amdhsa_wavefront_size32 1
		.amdhsa_uses_dynamic_stack 0
		.amdhsa_enable_private_segment 0
		.amdhsa_system_sgpr_workgroup_id_x 1
		.amdhsa_system_sgpr_workgroup_id_y 0
		.amdhsa_system_sgpr_workgroup_id_z 0
		.amdhsa_system_sgpr_workgroup_info 0
		.amdhsa_system_vgpr_workitem_id 2
		.amdhsa_next_free_vgpr 26
		.amdhsa_next_free_sgpr 22
		.amdhsa_reserve_vcc 1
		.amdhsa_float_round_mode_32 0
		.amdhsa_float_round_mode_16_64 0
		.amdhsa_float_denorm_mode_32 3
		.amdhsa_float_denorm_mode_16_64 3
		.amdhsa_dx10_clamp 1
		.amdhsa_ieee_mode 1
		.amdhsa_fp16_overflow 0
		.amdhsa_workgroup_processor_mode 1
		.amdhsa_memory_ordered 1
		.amdhsa_forward_progress 0
		.amdhsa_shared_vgpr_count 0
		.amdhsa_exception_fp_ieee_invalid_op 0
		.amdhsa_exception_fp_denorm_src 0
		.amdhsa_exception_fp_ieee_div_zero 0
		.amdhsa_exception_fp_ieee_overflow 0
		.amdhsa_exception_fp_ieee_underflow 0
		.amdhsa_exception_fp_ieee_inexact 0
		.amdhsa_exception_int_div_zero 0
	.end_amdhsa_kernel
	.section	.text._ZN9rocsparseL20bsrxmvn_17_32_kernelILj23E21rocsparse_complex_numIdEliS1_IfES2_S2_EEvT2_20rocsparse_direction_NS_24const_host_device_scalarIT0_EES4_PKS4_PKT1_SD_SA_PKT3_PKT4_S8_PT5_21rocsparse_index_base_b,"axG",@progbits,_ZN9rocsparseL20bsrxmvn_17_32_kernelILj23E21rocsparse_complex_numIdEliS1_IfES2_S2_EEvT2_20rocsparse_direction_NS_24const_host_device_scalarIT0_EES4_PKS4_PKT1_SD_SA_PKT3_PKT4_S8_PT5_21rocsparse_index_base_b,comdat
.Lfunc_end550:
	.size	_ZN9rocsparseL20bsrxmvn_17_32_kernelILj23E21rocsparse_complex_numIdEliS1_IfES2_S2_EEvT2_20rocsparse_direction_NS_24const_host_device_scalarIT0_EES4_PKS4_PKT1_SD_SA_PKT3_PKT4_S8_PT5_21rocsparse_index_base_b, .Lfunc_end550-_ZN9rocsparseL20bsrxmvn_17_32_kernelILj23E21rocsparse_complex_numIdEliS1_IfES2_S2_EEvT2_20rocsparse_direction_NS_24const_host_device_scalarIT0_EES4_PKS4_PKT1_SD_SA_PKT3_PKT4_S8_PT5_21rocsparse_index_base_b
                                        ; -- End function
	.section	.AMDGPU.csdata,"",@progbits
; Kernel info:
; codeLenInByte = 2084
; NumSgprs: 24
; NumVgprs: 26
; ScratchSize: 0
; MemoryBound: 0
; FloatMode: 240
; IeeeMode: 1
; LDSByteSize: 16928 bytes/workgroup (compile time only)
; SGPRBlocks: 2
; VGPRBlocks: 3
; NumSGPRsForWavesPerEU: 24
; NumVGPRsForWavesPerEU: 26
; Occupancy: 13
; WaveLimiterHint : 1
; COMPUTE_PGM_RSRC2:SCRATCH_EN: 0
; COMPUTE_PGM_RSRC2:USER_SGPR: 15
; COMPUTE_PGM_RSRC2:TRAP_HANDLER: 0
; COMPUTE_PGM_RSRC2:TGID_X_EN: 1
; COMPUTE_PGM_RSRC2:TGID_Y_EN: 0
; COMPUTE_PGM_RSRC2:TGID_Z_EN: 0
; COMPUTE_PGM_RSRC2:TIDIG_COMP_CNT: 2
	.section	.text._ZN9rocsparseL20bsrxmvn_17_32_kernelILj24E21rocsparse_complex_numIdEliS1_IfES2_S2_EEvT2_20rocsparse_direction_NS_24const_host_device_scalarIT0_EES4_PKS4_PKT1_SD_SA_PKT3_PKT4_S8_PT5_21rocsparse_index_base_b,"axG",@progbits,_ZN9rocsparseL20bsrxmvn_17_32_kernelILj24E21rocsparse_complex_numIdEliS1_IfES2_S2_EEvT2_20rocsparse_direction_NS_24const_host_device_scalarIT0_EES4_PKS4_PKT1_SD_SA_PKT3_PKT4_S8_PT5_21rocsparse_index_base_b,comdat
	.globl	_ZN9rocsparseL20bsrxmvn_17_32_kernelILj24E21rocsparse_complex_numIdEliS1_IfES2_S2_EEvT2_20rocsparse_direction_NS_24const_host_device_scalarIT0_EES4_PKS4_PKT1_SD_SA_PKT3_PKT4_S8_PT5_21rocsparse_index_base_b ; -- Begin function _ZN9rocsparseL20bsrxmvn_17_32_kernelILj24E21rocsparse_complex_numIdEliS1_IfES2_S2_EEvT2_20rocsparse_direction_NS_24const_host_device_scalarIT0_EES4_PKS4_PKT1_SD_SA_PKT3_PKT4_S8_PT5_21rocsparse_index_base_b
	.p2align	8
	.type	_ZN9rocsparseL20bsrxmvn_17_32_kernelILj24E21rocsparse_complex_numIdEliS1_IfES2_S2_EEvT2_20rocsparse_direction_NS_24const_host_device_scalarIT0_EES4_PKS4_PKT1_SD_SA_PKT3_PKT4_S8_PT5_21rocsparse_index_base_b,@function
_ZN9rocsparseL20bsrxmvn_17_32_kernelILj24E21rocsparse_complex_numIdEliS1_IfES2_S2_EEvT2_20rocsparse_direction_NS_24const_host_device_scalarIT0_EES4_PKS4_PKT1_SD_SA_PKT3_PKT4_S8_PT5_21rocsparse_index_base_b: ; @_ZN9rocsparseL20bsrxmvn_17_32_kernelILj24E21rocsparse_complex_numIdEliS1_IfES2_S2_EEvT2_20rocsparse_direction_NS_24const_host_device_scalarIT0_EES4_PKS4_PKT1_SD_SA_PKT3_PKT4_S8_PT5_21rocsparse_index_base_b
; %bb.0:
	s_mov_b32 s12, s15
	s_clause 0x1
	s_load_b64 s[14:15], s[2:3], 0x68
	s_load_b128 s[4:7], s[2:3], 0x8
	s_load_b64 s[16:17], s[0:1], 0x4
	s_mov_b64 s[0:1], src_shared_base
	v_and_b32_e32 v4, 0x3ff, v0
	s_load_b128 s[8:11], s[2:3], 0x50
	v_bfe_u32 v2, v0, 10, 10
	v_bfe_u32 v0, v0, 20, 10
	s_waitcnt lgkmcnt(0)
	s_bitcmp1_b32 s15, 0
	v_mov_b32_e32 v12, s7
	s_cselect_b32 s0, -1, 0
	v_mov_b32_e32 v11, s6
	s_and_b32 vcc_lo, s0, exec_lo
	s_cselect_b32 s13, s1, s5
	s_lshr_b32 s15, s16, 16
	v_mov_b32_e32 v6, s13
	s_mul_i32 s15, s15, s17
	s_xor_b32 s6, s0, -1
	v_mul_lo_u32 v1, s15, v4
	s_delay_alu instid0(VALU_DEP_1) | instskip(SKIP_1) | instid1(VALU_DEP_2)
	v_mad_u32_u24 v1, v2, s17, v1
	v_dual_mov_b32 v2, s8 :: v_dual_mov_b32 v3, s9
	v_add_lshl_u32 v7, v1, v0, 3
	v_dual_mov_b32 v0, s4 :: v_dual_mov_b32 v1, s5
	s_delay_alu instid0(VALU_DEP_2)
	v_add_nc_u32_e32 v5, 0x3600, v7
	ds_store_2addr_stride64_b64 v7, v[2:3], v[0:1] offset0:18 offset1:27
	v_add_nc_u32_e32 v0, 0x2400, v7
	v_cndmask_b32_e64 v5, s4, v5, s0
	flat_load_b64 v[9:10], v[5:6]
	s_cbranch_vccnz .LBB551_2
; %bb.1:
	v_dual_mov_b32 v1, s4 :: v_dual_mov_b32 v2, s5
	flat_load_b64 v[11:12], v[1:2] offset:8
.LBB551_2:
	s_and_b32 s4, s0, exec_lo
	s_cselect_b32 s1, s1, s9
	v_cndmask_b32_e64 v0, s8, v0, s0
	v_mov_b32_e32 v1, s1
	v_dual_mov_b32 v7, s10 :: v_dual_mov_b32 v8, s11
	s_and_not1_b32 vcc_lo, exec_lo, s6
	flat_load_b64 v[5:6], v[0:1]
	s_cbranch_vccnz .LBB551_4
; %bb.3:
	v_dual_mov_b32 v0, s8 :: v_dual_mov_b32 v1, s9
	flat_load_b64 v[7:8], v[0:1] offset:8
.LBB551_4:
	s_waitcnt vmcnt(1) lgkmcnt(1)
	v_cmp_eq_f64_e32 vcc_lo, 0, v[9:10]
	v_cmp_eq_f64_e64 s0, 0, v[11:12]
	s_delay_alu instid0(VALU_DEP_1)
	s_and_b32 s4, vcc_lo, s0
	s_mov_b32 s0, -1
	s_and_saveexec_b32 s1, s4
	s_cbranch_execz .LBB551_6
; %bb.5:
	s_waitcnt vmcnt(0) lgkmcnt(0)
	v_cmp_neq_f64_e32 vcc_lo, 1.0, v[5:6]
	v_cmp_neq_f64_e64 s0, 0, v[7:8]
	s_delay_alu instid0(VALU_DEP_1) | instskip(NEXT) | instid1(SALU_CYCLE_1)
	s_or_b32 s0, vcc_lo, s0
	s_or_not1_b32 s0, s0, exec_lo
.LBB551_6:
	s_or_b32 exec_lo, exec_lo, s1
	s_and_saveexec_b32 s1, s0
	s_cbranch_execz .LBB551_43
; %bb.7:
	s_clause 0x1
	s_load_b128 s[4:7], s[2:3], 0x20
	s_load_b64 s[8:9], s[2:3], 0x30
	s_waitcnt lgkmcnt(0)
	s_cmp_eq_u64 s[4:5], 0
	s_cbranch_scc1 .LBB551_9
; %bb.8:
	s_ashr_i32 s13, s12, 31
	s_delay_alu instid0(SALU_CYCLE_1) | instskip(NEXT) | instid1(SALU_CYCLE_1)
	s_lshl_b64 s[0:1], s[12:13], 2
	s_add_u32 s0, s4, s0
	s_addc_u32 s1, s5, s1
	s_load_b32 s0, s[0:1], 0x0
	s_waitcnt lgkmcnt(0)
	s_sub_i32 s12, s0, s14
.LBB551_9:
	s_load_b32 s1, s[2:3], 0x4
	v_mul_u32_u24_e32 v0, 0xaab, v4
	v_mov_b32_e32 v2, 0
	v_mov_b32_e32 v3, 0
	s_delay_alu instid0(VALU_DEP_3) | instskip(NEXT) | instid1(VALU_DEP_1)
	v_lshrrev_b32_e32 v13, 16, v0
	v_mul_lo_u16 v0, v13, 24
	s_delay_alu instid0(VALU_DEP_1) | instskip(NEXT) | instid1(VALU_DEP_4)
	v_sub_nc_u16 v16, v4, v0
	v_dual_mov_b32 v0, v2 :: v_dual_mov_b32 v1, v3
	s_waitcnt lgkmcnt(0)
	s_cmp_eq_u32 s1, 1
	s_cselect_b32 s0, -1, 0
	s_cmp_lg_u32 s1, 1
	s_cselect_b32 s20, -1, 0
	s_ashr_i32 s13, s12, 31
	s_delay_alu instid0(SALU_CYCLE_1) | instskip(NEXT) | instid1(SALU_CYCLE_1)
	s_lshl_b64 s[4:5], s[12:13], 3
	s_add_u32 s6, s6, s4
	s_addc_u32 s7, s7, s5
	s_add_u32 s1, s6, 8
	s_addc_u32 s10, s7, 0
	;; [unrolled: 2-line block ×3, first 2 shown]
	s_cmp_eq_u64 s[8:9], 0
	s_load_b64 s[8:9], s[2:3], 0x60
	s_cselect_b32 s5, s10, s5
	s_cselect_b32 s4, s1, s4
	s_load_b64 s[18:19], s[6:7], 0x0
	s_load_b64 s[10:11], s[4:5], 0x0
	s_waitcnt lgkmcnt(0)
	v_cmp_ge_i64_e64 s1, s[18:19], s[10:11]
	s_delay_alu instid0(VALU_DEP_1)
	s_and_b32 vcc_lo, exec_lo, s1
	s_cbranch_vccnz .LBB551_14
; %bb.10:
	s_clause 0x1
	s_load_b128 s[4:7], s[2:3], 0x38
	s_load_b64 s[2:3], s[2:3], 0x48
	s_sub_u32 s10, s10, s14
	s_subb_u32 s11, s11, 0
	s_sub_u32 s16, s18, s14
	s_subb_u32 s17, s19, 0
	v_and_b32_e32 v0, 0xffff, v16
	v_dual_mov_b32 v2, 0 :: v_dual_and_b32 v1, 0xffff, v13
	v_dual_mov_b32 v3, 0 :: v_dual_lshlrev_b32 v14, 3, v4
	s_mul_hi_u32 s1, s16, 0x1200
	s_mul_i32 s21, s17, 0x1200
	s_mul_i32 s13, s16, 0x1200
	s_add_i32 s1, s1, s21
	s_mov_b32 s15, 0
	v_cndmask_b32_e64 v13, v0, v1, s0
	v_dual_mov_b32 v0, v2 :: v_dual_mov_b32 v1, v3
	s_waitcnt lgkmcnt(0)
	s_add_u32 s13, s6, s13
	s_addc_u32 s21, s7, s1
	s_lshl_b64 s[0:1], s[18:19], 2
	s_lshl_b64 s[6:7], s[14:15], 2
	v_add_co_u32 v14, s13, s13, v14
	s_delay_alu instid0(VALU_DEP_1)
	v_add_co_ci_u32_e64 v15, null, s21, 0, s13
	s_sub_u32 s0, s0, s6
	s_subb_u32 s1, s1, s7
	s_add_u32 s0, s4, s0
	s_addc_u32 s1, s5, s1
	s_set_inst_prefetch_distance 0x1
	s_branch .LBB551_12
	.p2align	6
.LBB551_11:                             ;   in Loop: Header=BB551_12 Depth=1
	s_add_u32 s16, s16, 1
	s_addc_u32 s17, s17, 0
	s_add_u32 s0, s0, 4
	v_cmp_lt_i64_e64 s4, s[16:17], s[10:11]
	s_addc_u32 s1, s1, 0
	s_delay_alu instid0(VALU_DEP_1)
	s_and_b32 vcc_lo, exec_lo, s4
	s_cbranch_vccz .LBB551_14
.LBB551_12:                             ; =>This Inner Loop Header: Depth=1
	v_cmp_ge_i64_e64 s4, s[16:17], s[10:11]
	s_delay_alu instid0(VALU_DEP_1)
	s_and_b32 vcc_lo, exec_lo, s4
	s_cbranch_vccnz .LBB551_11
; %bb.13:                               ;   in Loop: Header=BB551_12 Depth=1
	s_load_b32 s4, s[0:1], 0x0
	global_load_b64 v[21:22], v[14:15], off
	s_waitcnt lgkmcnt(0)
	s_sub_i32 s4, s4, s14
	s_delay_alu instid0(SALU_CYCLE_1) | instskip(NEXT) | instid1(VALU_DEP_1)
	v_mad_u64_u32 v[17:18], null, s4, 24, v[13:14]
	v_ashrrev_i32_e32 v18, 31, v17
	s_delay_alu instid0(VALU_DEP_1) | instskip(NEXT) | instid1(VALU_DEP_1)
	v_lshlrev_b64 v[17:18], 4, v[17:18]
	v_add_co_u32 v17, vcc_lo, s2, v17
	s_delay_alu instid0(VALU_DEP_2)
	v_add_co_ci_u32_e32 v18, vcc_lo, s3, v18, vcc_lo
	v_add_co_u32 v14, vcc_lo, 0x1200, v14
	v_add_co_ci_u32_e32 v15, vcc_lo, 0, v15, vcc_lo
	global_load_b128 v[17:20], v[17:18], off
	s_waitcnt vmcnt(1)
	v_cvt_f64_f32_e32 v[23:24], v21
	v_cvt_f64_f32_e32 v[21:22], v22
	s_waitcnt vmcnt(0)
	s_delay_alu instid0(VALU_DEP_2) | instskip(NEXT) | instid1(VALU_DEP_2)
	v_fma_f64 v[0:1], v[23:24], v[17:18], v[0:1]
	v_fma_f64 v[2:3], v[21:22], v[17:18], v[2:3]
	s_delay_alu instid0(VALU_DEP_2) | instskip(NEXT) | instid1(VALU_DEP_2)
	v_fma_f64 v[0:1], -v[21:22], v[19:20], v[0:1]
	v_fma_f64 v[2:3], v[23:24], v[19:20], v[2:3]
	s_branch .LBB551_11
.LBB551_14:
	s_set_inst_prefetch_distance 0x2
	v_lshlrev_b32_e32 v17, 4, v4
	s_and_b32 vcc_lo, exec_lo, s20
	ds_store_b128 v17, v[0:3]
	s_waitcnt vmcnt(0) lgkmcnt(0)
	s_barrier
	buffer_gl0_inv
	s_cbranch_vccz .LBB551_26
; %bb.15:
	v_cmp_gt_u16_e32 vcc_lo, 8, v16
	s_and_saveexec_b32 s0, vcc_lo
	s_cbranch_execz .LBB551_17
; %bb.16:
	ds_load_b128 v[18:21], v17 offset:256
	ds_load_b128 v[22:25], v17
	s_waitcnt lgkmcnt(0)
	v_add_f64 v[18:19], v[18:19], v[22:23]
	v_add_f64 v[20:21], v[20:21], v[24:25]
	ds_store_b128 v17, v[18:21]
.LBB551_17:
	s_or_b32 exec_lo, exec_lo, s0
	s_waitcnt lgkmcnt(0)
	s_barrier
	buffer_gl0_inv
	s_and_saveexec_b32 s0, vcc_lo
	s_cbranch_execz .LBB551_19
; %bb.18:
	ds_load_b128 v[18:21], v17 offset:128
	ds_load_b128 v[22:25], v17
	s_waitcnt lgkmcnt(0)
	v_add_f64 v[18:19], v[18:19], v[22:23]
	v_add_f64 v[20:21], v[20:21], v[24:25]
	ds_store_b128 v17, v[18:21]
.LBB551_19:
	s_or_b32 exec_lo, exec_lo, s0
	s_delay_alu instid0(SALU_CYCLE_1)
	s_mov_b32 s0, exec_lo
	s_waitcnt lgkmcnt(0)
	s_barrier
	buffer_gl0_inv
	v_cmpx_gt_u16_e32 4, v16
	s_cbranch_execz .LBB551_21
; %bb.20:
	ds_load_b128 v[18:21], v17 offset:64
	ds_load_b128 v[22:25], v17
	s_waitcnt lgkmcnt(0)
	v_add_f64 v[18:19], v[18:19], v[22:23]
	v_add_f64 v[20:21], v[20:21], v[24:25]
	ds_store_b128 v17, v[18:21]
.LBB551_21:
	s_or_b32 exec_lo, exec_lo, s0
	s_delay_alu instid0(SALU_CYCLE_1)
	s_mov_b32 s0, exec_lo
	s_waitcnt lgkmcnt(0)
	s_barrier
	buffer_gl0_inv
	v_cmpx_gt_u16_e32 2, v16
	s_cbranch_execz .LBB551_23
; %bb.22:
	ds_load_b128 v[13:16], v17
	ds_load_b128 v[18:21], v17 offset:32
	s_waitcnt lgkmcnt(0)
	v_add_f64 v[13:14], v[18:19], v[13:14]
	v_add_f64 v[15:16], v[20:21], v[15:16]
	ds_store_b128 v17, v[13:16]
.LBB551_23:
	s_or_b32 exec_lo, exec_lo, s0
	v_dual_mov_b32 v16, v3 :: v_dual_mov_b32 v15, v2
	v_dual_mov_b32 v14, v1 :: v_dual_mov_b32 v13, v0
	s_mov_b32 s0, exec_lo
	s_waitcnt lgkmcnt(0)
	s_barrier
	buffer_gl0_inv
	v_cmpx_gt_u32_e32 24, v4
	s_cbranch_execz .LBB551_25
; %bb.24:
	v_mul_u32_u24_e32 v13, 24, v4
	s_delay_alu instid0(VALU_DEP_1)
	v_lshlrev_b32_e32 v18, 4, v13
	ds_load_b128 v[13:16], v18
	ds_load_b128 v[18:21], v18 offset:16
	s_waitcnt lgkmcnt(0)
	v_add_f64 v[13:14], v[18:19], v[13:14]
	v_add_f64 v[15:16], v[20:21], v[15:16]
.LBB551_25:
	s_or_b32 exec_lo, exec_lo, s0
	s_branch .LBB551_38
.LBB551_26:
                                        ; implicit-def: $vgpr15_vgpr16
                                        ; implicit-def: $vgpr13_vgpr14
	s_cbranch_execz .LBB551_38
; %bb.27:
	v_cmp_gt_u32_e32 vcc_lo, 0xc0, v4
	s_and_saveexec_b32 s0, vcc_lo
	s_cbranch_execz .LBB551_29
; %bb.28:
	ds_load_b128 v[13:16], v17 offset:6144
	ds_load_b128 v[18:21], v17
	s_waitcnt lgkmcnt(0)
	v_add_f64 v[13:14], v[13:14], v[18:19]
	v_add_f64 v[15:16], v[15:16], v[20:21]
	ds_store_b128 v17, v[13:16]
.LBB551_29:
	s_or_b32 exec_lo, exec_lo, s0
	s_waitcnt lgkmcnt(0)
	s_barrier
	buffer_gl0_inv
	s_and_saveexec_b32 s0, vcc_lo
	s_cbranch_execz .LBB551_31
; %bb.30:
	ds_load_b128 v[13:16], v17 offset:3072
	ds_load_b128 v[18:21], v17
	s_waitcnt lgkmcnt(0)
	v_add_f64 v[13:14], v[13:14], v[18:19]
	v_add_f64 v[15:16], v[15:16], v[20:21]
	ds_store_b128 v17, v[13:16]
.LBB551_31:
	s_or_b32 exec_lo, exec_lo, s0
	s_delay_alu instid0(SALU_CYCLE_1)
	s_mov_b32 s0, exec_lo
	s_waitcnt lgkmcnt(0)
	s_barrier
	buffer_gl0_inv
	v_cmpx_gt_u32_e32 0x60, v4
	s_cbranch_execz .LBB551_33
; %bb.32:
	ds_load_b128 v[13:16], v17 offset:1536
	ds_load_b128 v[18:21], v17
	s_waitcnt lgkmcnt(0)
	v_add_f64 v[13:14], v[13:14], v[18:19]
	v_add_f64 v[15:16], v[15:16], v[20:21]
	ds_store_b128 v17, v[13:16]
.LBB551_33:
	s_or_b32 exec_lo, exec_lo, s0
	s_delay_alu instid0(SALU_CYCLE_1)
	s_mov_b32 s0, exec_lo
	s_waitcnt lgkmcnt(0)
	s_barrier
	buffer_gl0_inv
	v_cmpx_gt_u32_e32 48, v4
	s_cbranch_execz .LBB551_35
; %bb.34:
	ds_load_b128 v[13:16], v17 offset:768
	ds_load_b128 v[18:21], v17
	s_waitcnt lgkmcnt(0)
	v_add_f64 v[13:14], v[13:14], v[18:19]
	v_add_f64 v[15:16], v[15:16], v[20:21]
	ds_store_b128 v17, v[13:16]
.LBB551_35:
	s_or_b32 exec_lo, exec_lo, s0
	s_delay_alu instid0(SALU_CYCLE_1)
	s_mov_b32 s0, exec_lo
	s_waitcnt lgkmcnt(0)
	buffer_gl0_inv
	v_cmpx_gt_u32_e32 24, v4
	s_cbranch_execz .LBB551_37
; %bb.36:
	ds_load_b128 v[0:3], v17 offset:384
	ds_load_b128 v[13:16], v17
	s_waitcnt lgkmcnt(0)
	v_add_f64 v[0:1], v[0:1], v[13:14]
	v_add_f64 v[2:3], v[2:3], v[15:16]
.LBB551_37:
	s_or_b32 exec_lo, exec_lo, s0
	s_delay_alu instid0(VALU_DEP_1) | instskip(NEXT) | instid1(VALU_DEP_3)
	v_dual_mov_b32 v16, v3 :: v_dual_mov_b32 v15, v2
	v_dual_mov_b32 v14, v1 :: v_dual_mov_b32 v13, v0
.LBB551_38:
	v_cmp_gt_u32_e32 vcc_lo, 24, v4
	s_and_b32 exec_lo, exec_lo, vcc_lo
	s_cbranch_execz .LBB551_43
; %bb.39:
	s_delay_alu instid0(VALU_DEP_2) | instskip(SKIP_3) | instid1(VALU_DEP_4)
	v_mul_f64 v[0:1], v[15:16], -v[11:12]
	v_mul_f64 v[2:3], v[9:10], v[15:16]
	v_cmp_eq_f64_e32 vcc_lo, 0, v[5:6]
	v_cmp_eq_f64_e64 s0, 0, v[7:8]
	v_fma_f64 v[0:1], v[9:10], v[13:14], v[0:1]
	s_delay_alu instid0(VALU_DEP_4) | instskip(NEXT) | instid1(VALU_DEP_3)
	v_fma_f64 v[2:3], v[11:12], v[13:14], v[2:3]
	s_and_b32 s0, vcc_lo, s0
	s_delay_alu instid0(SALU_CYCLE_1) | instskip(NEXT) | instid1(SALU_CYCLE_1)
	s_and_saveexec_b32 s1, s0
	s_xor_b32 s0, exec_lo, s1
	s_cbranch_execz .LBB551_41
; %bb.40:
	v_mad_u64_u32 v[5:6], null, s12, 24, v[4:5]
	v_mov_b32_e32 v6, 0
                                        ; implicit-def: $vgpr7_vgpr8
	s_delay_alu instid0(VALU_DEP_1) | instskip(NEXT) | instid1(VALU_DEP_1)
	v_lshlrev_b64 v[4:5], 4, v[5:6]
	v_add_co_u32 v4, vcc_lo, s8, v4
	s_delay_alu instid0(VALU_DEP_2)
	v_add_co_ci_u32_e32 v5, vcc_lo, s9, v5, vcc_lo
	global_store_b128 v[4:5], v[0:3], off
                                        ; implicit-def: $vgpr4
                                        ; implicit-def: $vgpr5_vgpr6
                                        ; implicit-def: $vgpr0_vgpr1
.LBB551_41:
	s_and_not1_saveexec_b32 s0, s0
	s_cbranch_execz .LBB551_43
; %bb.42:
	v_mad_u64_u32 v[9:10], null, s12, 24, v[4:5]
	v_mov_b32_e32 v10, 0
	s_delay_alu instid0(VALU_DEP_1) | instskip(NEXT) | instid1(VALU_DEP_1)
	v_lshlrev_b64 v[9:10], 4, v[9:10]
	v_add_co_u32 v13, vcc_lo, s8, v9
	s_delay_alu instid0(VALU_DEP_2) | instskip(SKIP_4) | instid1(VALU_DEP_2)
	v_add_co_ci_u32_e32 v14, vcc_lo, s9, v10, vcc_lo
	global_load_b128 v[9:12], v[13:14], off
	s_waitcnt vmcnt(0)
	v_fma_f64 v[0:1], v[5:6], v[9:10], v[0:1]
	v_fma_f64 v[2:3], v[7:8], v[9:10], v[2:3]
	v_fma_f64 v[0:1], -v[7:8], v[11:12], v[0:1]
	s_delay_alu instid0(VALU_DEP_2)
	v_fma_f64 v[2:3], v[5:6], v[11:12], v[2:3]
	global_store_b128 v[13:14], v[0:3], off
.LBB551_43:
	s_nop 0
	s_sendmsg sendmsg(MSG_DEALLOC_VGPRS)
	s_endpgm
	.section	.rodata,"a",@progbits
	.p2align	6, 0x0
	.amdhsa_kernel _ZN9rocsparseL20bsrxmvn_17_32_kernelILj24E21rocsparse_complex_numIdEliS1_IfES2_S2_EEvT2_20rocsparse_direction_NS_24const_host_device_scalarIT0_EES4_PKS4_PKT1_SD_SA_PKT3_PKT4_S8_PT5_21rocsparse_index_base_b
		.amdhsa_group_segment_fixed_size 18432
		.amdhsa_private_segment_fixed_size 0
		.amdhsa_kernarg_size 112
		.amdhsa_user_sgpr_count 15
		.amdhsa_user_sgpr_dispatch_ptr 1
		.amdhsa_user_sgpr_queue_ptr 0
		.amdhsa_user_sgpr_kernarg_segment_ptr 1
		.amdhsa_user_sgpr_dispatch_id 0
		.amdhsa_user_sgpr_private_segment_size 0
		.amdhsa_wavefront_size32 1
		.amdhsa_uses_dynamic_stack 0
		.amdhsa_enable_private_segment 0
		.amdhsa_system_sgpr_workgroup_id_x 1
		.amdhsa_system_sgpr_workgroup_id_y 0
		.amdhsa_system_sgpr_workgroup_id_z 0
		.amdhsa_system_sgpr_workgroup_info 0
		.amdhsa_system_vgpr_workitem_id 2
		.amdhsa_next_free_vgpr 26
		.amdhsa_next_free_sgpr 22
		.amdhsa_reserve_vcc 1
		.amdhsa_float_round_mode_32 0
		.amdhsa_float_round_mode_16_64 0
		.amdhsa_float_denorm_mode_32 3
		.amdhsa_float_denorm_mode_16_64 3
		.amdhsa_dx10_clamp 1
		.amdhsa_ieee_mode 1
		.amdhsa_fp16_overflow 0
		.amdhsa_workgroup_processor_mode 1
		.amdhsa_memory_ordered 1
		.amdhsa_forward_progress 0
		.amdhsa_shared_vgpr_count 0
		.amdhsa_exception_fp_ieee_invalid_op 0
		.amdhsa_exception_fp_denorm_src 0
		.amdhsa_exception_fp_ieee_div_zero 0
		.amdhsa_exception_fp_ieee_overflow 0
		.amdhsa_exception_fp_ieee_underflow 0
		.amdhsa_exception_fp_ieee_inexact 0
		.amdhsa_exception_int_div_zero 0
	.end_amdhsa_kernel
	.section	.text._ZN9rocsparseL20bsrxmvn_17_32_kernelILj24E21rocsparse_complex_numIdEliS1_IfES2_S2_EEvT2_20rocsparse_direction_NS_24const_host_device_scalarIT0_EES4_PKS4_PKT1_SD_SA_PKT3_PKT4_S8_PT5_21rocsparse_index_base_b,"axG",@progbits,_ZN9rocsparseL20bsrxmvn_17_32_kernelILj24E21rocsparse_complex_numIdEliS1_IfES2_S2_EEvT2_20rocsparse_direction_NS_24const_host_device_scalarIT0_EES4_PKS4_PKT1_SD_SA_PKT3_PKT4_S8_PT5_21rocsparse_index_base_b,comdat
.Lfunc_end551:
	.size	_ZN9rocsparseL20bsrxmvn_17_32_kernelILj24E21rocsparse_complex_numIdEliS1_IfES2_S2_EEvT2_20rocsparse_direction_NS_24const_host_device_scalarIT0_EES4_PKS4_PKT1_SD_SA_PKT3_PKT4_S8_PT5_21rocsparse_index_base_b, .Lfunc_end551-_ZN9rocsparseL20bsrxmvn_17_32_kernelILj24E21rocsparse_complex_numIdEliS1_IfES2_S2_EEvT2_20rocsparse_direction_NS_24const_host_device_scalarIT0_EES4_PKS4_PKT1_SD_SA_PKT3_PKT4_S8_PT5_21rocsparse_index_base_b
                                        ; -- End function
	.section	.AMDGPU.csdata,"",@progbits
; Kernel info:
; codeLenInByte = 2056
; NumSgprs: 24
; NumVgprs: 26
; ScratchSize: 0
; MemoryBound: 0
; FloatMode: 240
; IeeeMode: 1
; LDSByteSize: 18432 bytes/workgroup (compile time only)
; SGPRBlocks: 2
; VGPRBlocks: 3
; NumSGPRsForWavesPerEU: 24
; NumVGPRsForWavesPerEU: 26
; Occupancy: 14
; WaveLimiterHint : 1
; COMPUTE_PGM_RSRC2:SCRATCH_EN: 0
; COMPUTE_PGM_RSRC2:USER_SGPR: 15
; COMPUTE_PGM_RSRC2:TRAP_HANDLER: 0
; COMPUTE_PGM_RSRC2:TGID_X_EN: 1
; COMPUTE_PGM_RSRC2:TGID_Y_EN: 0
; COMPUTE_PGM_RSRC2:TGID_Z_EN: 0
; COMPUTE_PGM_RSRC2:TIDIG_COMP_CNT: 2
	.section	.text._ZN9rocsparseL20bsrxmvn_17_32_kernelILj25E21rocsparse_complex_numIdEliS1_IfES2_S2_EEvT2_20rocsparse_direction_NS_24const_host_device_scalarIT0_EES4_PKS4_PKT1_SD_SA_PKT3_PKT4_S8_PT5_21rocsparse_index_base_b,"axG",@progbits,_ZN9rocsparseL20bsrxmvn_17_32_kernelILj25E21rocsparse_complex_numIdEliS1_IfES2_S2_EEvT2_20rocsparse_direction_NS_24const_host_device_scalarIT0_EES4_PKS4_PKT1_SD_SA_PKT3_PKT4_S8_PT5_21rocsparse_index_base_b,comdat
	.globl	_ZN9rocsparseL20bsrxmvn_17_32_kernelILj25E21rocsparse_complex_numIdEliS1_IfES2_S2_EEvT2_20rocsparse_direction_NS_24const_host_device_scalarIT0_EES4_PKS4_PKT1_SD_SA_PKT3_PKT4_S8_PT5_21rocsparse_index_base_b ; -- Begin function _ZN9rocsparseL20bsrxmvn_17_32_kernelILj25E21rocsparse_complex_numIdEliS1_IfES2_S2_EEvT2_20rocsparse_direction_NS_24const_host_device_scalarIT0_EES4_PKS4_PKT1_SD_SA_PKT3_PKT4_S8_PT5_21rocsparse_index_base_b
	.p2align	8
	.type	_ZN9rocsparseL20bsrxmvn_17_32_kernelILj25E21rocsparse_complex_numIdEliS1_IfES2_S2_EEvT2_20rocsparse_direction_NS_24const_host_device_scalarIT0_EES4_PKS4_PKT1_SD_SA_PKT3_PKT4_S8_PT5_21rocsparse_index_base_b,@function
_ZN9rocsparseL20bsrxmvn_17_32_kernelILj25E21rocsparse_complex_numIdEliS1_IfES2_S2_EEvT2_20rocsparse_direction_NS_24const_host_device_scalarIT0_EES4_PKS4_PKT1_SD_SA_PKT3_PKT4_S8_PT5_21rocsparse_index_base_b: ; @_ZN9rocsparseL20bsrxmvn_17_32_kernelILj25E21rocsparse_complex_numIdEliS1_IfES2_S2_EEvT2_20rocsparse_direction_NS_24const_host_device_scalarIT0_EES4_PKS4_PKT1_SD_SA_PKT3_PKT4_S8_PT5_21rocsparse_index_base_b
; %bb.0:
	s_mov_b32 s12, s15
	s_clause 0x1
	s_load_b64 s[14:15], s[2:3], 0x68
	s_load_b128 s[4:7], s[2:3], 0x8
	s_load_b64 s[16:17], s[0:1], 0x4
	s_mov_b64 s[0:1], src_shared_base
	v_and_b32_e32 v4, 0x3ff, v0
	s_load_b128 s[8:11], s[2:3], 0x50
	v_bfe_u32 v2, v0, 10, 10
	v_bfe_u32 v0, v0, 20, 10
	s_waitcnt lgkmcnt(0)
	s_bitcmp1_b32 s15, 0
	v_mov_b32_e32 v12, s7
	s_cselect_b32 s0, -1, 0
	v_mov_b32_e32 v11, s6
	s_and_b32 vcc_lo, s0, exec_lo
	s_cselect_b32 s13, s1, s5
	s_lshr_b32 s15, s16, 16
	v_mov_b32_e32 v6, s13
	s_mul_i32 s15, s15, s17
	s_xor_b32 s6, s0, -1
	v_mul_lo_u32 v1, s15, v4
	s_delay_alu instid0(VALU_DEP_1) | instskip(SKIP_1) | instid1(VALU_DEP_2)
	v_mad_u32_u24 v1, v2, s17, v1
	v_dual_mov_b32 v2, s8 :: v_dual_mov_b32 v3, s9
	v_add_lshl_u32 v7, v1, v0, 3
	v_dual_mov_b32 v0, s4 :: v_dual_mov_b32 v1, s5
	ds_store_b64 v7, v[0:1] offset:15000
	ds_store_b64 v7, v[2:3] offset:10000
	v_add_nc_u32_e32 v5, 0x3a98, v7
	v_add_nc_u32_e32 v0, 0x2710, v7
	s_delay_alu instid0(VALU_DEP_2)
	v_cndmask_b32_e64 v5, s4, v5, s0
	flat_load_b64 v[9:10], v[5:6]
	s_cbranch_vccnz .LBB552_2
; %bb.1:
	v_dual_mov_b32 v1, s4 :: v_dual_mov_b32 v2, s5
	flat_load_b64 v[11:12], v[1:2] offset:8
.LBB552_2:
	s_and_b32 s4, s0, exec_lo
	s_cselect_b32 s1, s1, s9
	v_cndmask_b32_e64 v0, s8, v0, s0
	v_mov_b32_e32 v1, s1
	v_dual_mov_b32 v7, s10 :: v_dual_mov_b32 v8, s11
	s_and_not1_b32 vcc_lo, exec_lo, s6
	flat_load_b64 v[5:6], v[0:1]
	s_cbranch_vccnz .LBB552_4
; %bb.3:
	v_dual_mov_b32 v0, s8 :: v_dual_mov_b32 v1, s9
	flat_load_b64 v[7:8], v[0:1] offset:8
.LBB552_4:
	s_waitcnt vmcnt(1) lgkmcnt(1)
	v_cmp_eq_f64_e32 vcc_lo, 0, v[9:10]
	v_cmp_eq_f64_e64 s0, 0, v[11:12]
	s_delay_alu instid0(VALU_DEP_1)
	s_and_b32 s4, vcc_lo, s0
	s_mov_b32 s0, -1
	s_and_saveexec_b32 s1, s4
	s_cbranch_execz .LBB552_6
; %bb.5:
	s_waitcnt vmcnt(0) lgkmcnt(0)
	v_cmp_neq_f64_e32 vcc_lo, 1.0, v[5:6]
	v_cmp_neq_f64_e64 s0, 0, v[7:8]
	s_delay_alu instid0(VALU_DEP_1) | instskip(NEXT) | instid1(SALU_CYCLE_1)
	s_or_b32 s0, vcc_lo, s0
	s_or_not1_b32 s0, s0, exec_lo
.LBB552_6:
	s_or_b32 exec_lo, exec_lo, s1
	s_and_saveexec_b32 s1, s0
	s_cbranch_execz .LBB552_43
; %bb.7:
	s_clause 0x1
	s_load_b128 s[4:7], s[2:3], 0x20
	s_load_b64 s[8:9], s[2:3], 0x30
	s_waitcnt lgkmcnt(0)
	s_cmp_eq_u64 s[4:5], 0
	s_cbranch_scc1 .LBB552_9
; %bb.8:
	s_ashr_i32 s13, s12, 31
	s_delay_alu instid0(SALU_CYCLE_1) | instskip(NEXT) | instid1(SALU_CYCLE_1)
	s_lshl_b64 s[0:1], s[12:13], 2
	s_add_u32 s0, s4, s0
	s_addc_u32 s1, s5, s1
	s_load_b32 s0, s[0:1], 0x0
	s_waitcnt lgkmcnt(0)
	s_sub_i32 s12, s0, s14
.LBB552_9:
	s_load_b32 s1, s[2:3], 0x4
	v_mul_u32_u24_e32 v0, 0xa3e, v4
	v_mov_b32_e32 v2, 0
	v_mov_b32_e32 v3, 0
	s_delay_alu instid0(VALU_DEP_3) | instskip(NEXT) | instid1(VALU_DEP_1)
	v_lshrrev_b32_e32 v13, 16, v0
	v_mul_lo_u16 v0, v13, 25
	s_delay_alu instid0(VALU_DEP_1) | instskip(NEXT) | instid1(VALU_DEP_4)
	v_sub_nc_u16 v16, v4, v0
	v_dual_mov_b32 v0, v2 :: v_dual_mov_b32 v1, v3
	s_waitcnt lgkmcnt(0)
	s_cmp_eq_u32 s1, 1
	s_cselect_b32 s0, -1, 0
	s_cmp_lg_u32 s1, 1
	s_cselect_b32 s20, -1, 0
	s_ashr_i32 s13, s12, 31
	s_delay_alu instid0(SALU_CYCLE_1) | instskip(NEXT) | instid1(SALU_CYCLE_1)
	s_lshl_b64 s[4:5], s[12:13], 3
	s_add_u32 s6, s6, s4
	s_addc_u32 s7, s7, s5
	s_add_u32 s1, s6, 8
	s_addc_u32 s10, s7, 0
	;; [unrolled: 2-line block ×3, first 2 shown]
	s_cmp_eq_u64 s[8:9], 0
	s_load_b64 s[8:9], s[2:3], 0x60
	s_cselect_b32 s5, s10, s5
	s_cselect_b32 s4, s1, s4
	s_load_b64 s[18:19], s[6:7], 0x0
	s_load_b64 s[10:11], s[4:5], 0x0
	s_waitcnt lgkmcnt(0)
	v_cmp_ge_i64_e64 s1, s[18:19], s[10:11]
	s_delay_alu instid0(VALU_DEP_1)
	s_and_b32 vcc_lo, exec_lo, s1
	s_cbranch_vccnz .LBB552_14
; %bb.10:
	s_clause 0x1
	s_load_b128 s[4:7], s[2:3], 0x38
	s_load_b64 s[2:3], s[2:3], 0x48
	s_sub_u32 s10, s10, s14
	s_subb_u32 s11, s11, 0
	s_sub_u32 s16, s18, s14
	s_subb_u32 s17, s19, 0
	v_and_b32_e32 v0, 0xffff, v16
	v_dual_mov_b32 v2, 0 :: v_dual_and_b32 v1, 0xffff, v13
	v_dual_mov_b32 v3, 0 :: v_dual_lshlrev_b32 v14, 3, v4
	s_mul_hi_u32 s1, s16, 0x1388
	s_mul_i32 s21, s17, 0x1388
	s_mul_i32 s13, s16, 0x1388
	s_add_i32 s1, s1, s21
	s_mov_b32 s15, 0
	v_cndmask_b32_e64 v13, v0, v1, s0
	v_dual_mov_b32 v0, v2 :: v_dual_mov_b32 v1, v3
	s_waitcnt lgkmcnt(0)
	s_add_u32 s13, s6, s13
	s_addc_u32 s21, s7, s1
	s_lshl_b64 s[0:1], s[18:19], 2
	s_lshl_b64 s[6:7], s[14:15], 2
	v_add_co_u32 v14, s13, s13, v14
	s_delay_alu instid0(VALU_DEP_1)
	v_add_co_ci_u32_e64 v15, null, s21, 0, s13
	s_sub_u32 s0, s0, s6
	s_subb_u32 s1, s1, s7
	s_add_u32 s0, s4, s0
	s_addc_u32 s1, s5, s1
	s_set_inst_prefetch_distance 0x1
	s_branch .LBB552_12
	.p2align	6
.LBB552_11:                             ;   in Loop: Header=BB552_12 Depth=1
	s_add_u32 s16, s16, 1
	s_addc_u32 s17, s17, 0
	s_add_u32 s0, s0, 4
	v_cmp_lt_i64_e64 s4, s[16:17], s[10:11]
	s_addc_u32 s1, s1, 0
	s_delay_alu instid0(VALU_DEP_1)
	s_and_b32 vcc_lo, exec_lo, s4
	s_cbranch_vccz .LBB552_14
.LBB552_12:                             ; =>This Inner Loop Header: Depth=1
	v_cmp_ge_i64_e64 s4, s[16:17], s[10:11]
	s_delay_alu instid0(VALU_DEP_1)
	s_and_b32 vcc_lo, exec_lo, s4
	s_cbranch_vccnz .LBB552_11
; %bb.13:                               ;   in Loop: Header=BB552_12 Depth=1
	s_load_b32 s4, s[0:1], 0x0
	global_load_b64 v[21:22], v[14:15], off
	s_waitcnt lgkmcnt(0)
	s_sub_i32 s4, s4, s14
	s_delay_alu instid0(SALU_CYCLE_1) | instskip(NEXT) | instid1(VALU_DEP_1)
	v_mad_u64_u32 v[17:18], null, s4, 25, v[13:14]
	v_ashrrev_i32_e32 v18, 31, v17
	s_delay_alu instid0(VALU_DEP_1) | instskip(NEXT) | instid1(VALU_DEP_1)
	v_lshlrev_b64 v[17:18], 4, v[17:18]
	v_add_co_u32 v17, vcc_lo, s2, v17
	s_delay_alu instid0(VALU_DEP_2)
	v_add_co_ci_u32_e32 v18, vcc_lo, s3, v18, vcc_lo
	v_add_co_u32 v14, vcc_lo, 0x1388, v14
	v_add_co_ci_u32_e32 v15, vcc_lo, 0, v15, vcc_lo
	global_load_b128 v[17:20], v[17:18], off
	s_waitcnt vmcnt(1)
	v_cvt_f64_f32_e32 v[23:24], v21
	v_cvt_f64_f32_e32 v[21:22], v22
	s_waitcnt vmcnt(0)
	s_delay_alu instid0(VALU_DEP_2) | instskip(NEXT) | instid1(VALU_DEP_2)
	v_fma_f64 v[0:1], v[23:24], v[17:18], v[0:1]
	v_fma_f64 v[2:3], v[21:22], v[17:18], v[2:3]
	s_delay_alu instid0(VALU_DEP_2) | instskip(NEXT) | instid1(VALU_DEP_2)
	v_fma_f64 v[0:1], -v[21:22], v[19:20], v[0:1]
	v_fma_f64 v[2:3], v[23:24], v[19:20], v[2:3]
	s_branch .LBB552_11
.LBB552_14:
	s_set_inst_prefetch_distance 0x2
	v_lshlrev_b32_e32 v17, 4, v4
	s_and_b32 vcc_lo, exec_lo, s20
	ds_store_b128 v17, v[0:3]
	s_waitcnt vmcnt(0) lgkmcnt(0)
	s_barrier
	buffer_gl0_inv
	s_cbranch_vccz .LBB552_26
; %bb.15:
	s_mov_b32 s0, exec_lo
	v_cmpx_gt_u16_e32 9, v16
	s_cbranch_execz .LBB552_17
; %bb.16:
	ds_load_b128 v[18:21], v17 offset:256
	ds_load_b128 v[22:25], v17
	s_waitcnt lgkmcnt(0)
	v_add_f64 v[18:19], v[18:19], v[22:23]
	v_add_f64 v[20:21], v[20:21], v[24:25]
	ds_store_b128 v17, v[18:21]
.LBB552_17:
	s_or_b32 exec_lo, exec_lo, s0
	s_delay_alu instid0(SALU_CYCLE_1)
	s_mov_b32 s0, exec_lo
	s_waitcnt lgkmcnt(0)
	s_barrier
	buffer_gl0_inv
	v_cmpx_gt_u16_e32 8, v16
	s_cbranch_execz .LBB552_19
; %bb.18:
	ds_load_b128 v[18:21], v17 offset:128
	ds_load_b128 v[22:25], v17
	s_waitcnt lgkmcnt(0)
	v_add_f64 v[18:19], v[18:19], v[22:23]
	v_add_f64 v[20:21], v[20:21], v[24:25]
	ds_store_b128 v17, v[18:21]
.LBB552_19:
	s_or_b32 exec_lo, exec_lo, s0
	s_delay_alu instid0(SALU_CYCLE_1)
	s_mov_b32 s0, exec_lo
	s_waitcnt lgkmcnt(0)
	s_barrier
	buffer_gl0_inv
	;; [unrolled: 16-line block ×3, first 2 shown]
	v_cmpx_gt_u16_e32 2, v16
	s_cbranch_execz .LBB552_23
; %bb.22:
	ds_load_b128 v[13:16], v17
	ds_load_b128 v[18:21], v17 offset:32
	s_waitcnt lgkmcnt(0)
	v_add_f64 v[13:14], v[18:19], v[13:14]
	v_add_f64 v[15:16], v[20:21], v[15:16]
	ds_store_b128 v17, v[13:16]
.LBB552_23:
	s_or_b32 exec_lo, exec_lo, s0
	v_dual_mov_b32 v16, v3 :: v_dual_mov_b32 v15, v2
	v_dual_mov_b32 v14, v1 :: v_dual_mov_b32 v13, v0
	s_mov_b32 s0, exec_lo
	s_waitcnt lgkmcnt(0)
	s_barrier
	buffer_gl0_inv
	v_cmpx_gt_u32_e32 25, v4
	s_cbranch_execz .LBB552_25
; %bb.24:
	v_mul_u32_u24_e32 v13, 25, v4
	s_delay_alu instid0(VALU_DEP_1)
	v_lshlrev_b32_e32 v18, 4, v13
	ds_load_b128 v[13:16], v18
	ds_load_b128 v[18:21], v18 offset:16
	s_waitcnt lgkmcnt(0)
	v_add_f64 v[13:14], v[18:19], v[13:14]
	v_add_f64 v[15:16], v[20:21], v[15:16]
.LBB552_25:
	s_or_b32 exec_lo, exec_lo, s0
	s_branch .LBB552_38
.LBB552_26:
                                        ; implicit-def: $vgpr15_vgpr16
                                        ; implicit-def: $vgpr13_vgpr14
	s_cbranch_execz .LBB552_38
; %bb.27:
	s_mov_b32 s0, exec_lo
	v_cmpx_gt_u32_e32 0xe1, v4
	s_cbranch_execz .LBB552_29
; %bb.28:
	ds_load_b128 v[13:16], v17 offset:6400
	ds_load_b128 v[18:21], v17
	s_waitcnt lgkmcnt(0)
	v_add_f64 v[13:14], v[13:14], v[18:19]
	v_add_f64 v[15:16], v[15:16], v[20:21]
	ds_store_b128 v17, v[13:16]
.LBB552_29:
	s_or_b32 exec_lo, exec_lo, s0
	s_delay_alu instid0(SALU_CYCLE_1)
	s_mov_b32 s0, exec_lo
	s_waitcnt lgkmcnt(0)
	s_barrier
	buffer_gl0_inv
	v_cmpx_gt_u32_e32 0xc8, v4
	s_cbranch_execz .LBB552_31
; %bb.30:
	ds_load_b128 v[13:16], v17 offset:3200
	ds_load_b128 v[18:21], v17
	s_waitcnt lgkmcnt(0)
	v_add_f64 v[13:14], v[13:14], v[18:19]
	v_add_f64 v[15:16], v[15:16], v[20:21]
	ds_store_b128 v17, v[13:16]
.LBB552_31:
	s_or_b32 exec_lo, exec_lo, s0
	s_delay_alu instid0(SALU_CYCLE_1)
	s_mov_b32 s0, exec_lo
	s_waitcnt lgkmcnt(0)
	s_barrier
	buffer_gl0_inv
	;; [unrolled: 16-line block ×3, first 2 shown]
	v_cmpx_gt_u32_e32 50, v4
	s_cbranch_execz .LBB552_35
; %bb.34:
	ds_load_b128 v[13:16], v17 offset:800
	ds_load_b128 v[18:21], v17
	s_waitcnt lgkmcnt(0)
	v_add_f64 v[13:14], v[13:14], v[18:19]
	v_add_f64 v[15:16], v[15:16], v[20:21]
	ds_store_b128 v17, v[13:16]
.LBB552_35:
	s_or_b32 exec_lo, exec_lo, s0
	s_delay_alu instid0(SALU_CYCLE_1)
	s_mov_b32 s0, exec_lo
	s_waitcnt lgkmcnt(0)
	buffer_gl0_inv
	v_cmpx_gt_u32_e32 25, v4
	s_cbranch_execz .LBB552_37
; %bb.36:
	ds_load_b128 v[0:3], v17 offset:400
	ds_load_b128 v[13:16], v17
	s_waitcnt lgkmcnt(0)
	v_add_f64 v[0:1], v[0:1], v[13:14]
	v_add_f64 v[2:3], v[2:3], v[15:16]
.LBB552_37:
	s_or_b32 exec_lo, exec_lo, s0
	s_delay_alu instid0(VALU_DEP_1) | instskip(NEXT) | instid1(VALU_DEP_3)
	v_dual_mov_b32 v16, v3 :: v_dual_mov_b32 v15, v2
	v_dual_mov_b32 v14, v1 :: v_dual_mov_b32 v13, v0
.LBB552_38:
	v_cmp_gt_u32_e32 vcc_lo, 25, v4
	s_and_b32 exec_lo, exec_lo, vcc_lo
	s_cbranch_execz .LBB552_43
; %bb.39:
	s_delay_alu instid0(VALU_DEP_2) | instskip(SKIP_3) | instid1(VALU_DEP_4)
	v_mul_f64 v[0:1], v[15:16], -v[11:12]
	v_mul_f64 v[2:3], v[9:10], v[15:16]
	v_cmp_eq_f64_e32 vcc_lo, 0, v[5:6]
	v_cmp_eq_f64_e64 s0, 0, v[7:8]
	v_fma_f64 v[0:1], v[9:10], v[13:14], v[0:1]
	s_delay_alu instid0(VALU_DEP_4) | instskip(NEXT) | instid1(VALU_DEP_3)
	v_fma_f64 v[2:3], v[11:12], v[13:14], v[2:3]
	s_and_b32 s0, vcc_lo, s0
	s_delay_alu instid0(SALU_CYCLE_1) | instskip(NEXT) | instid1(SALU_CYCLE_1)
	s_and_saveexec_b32 s1, s0
	s_xor_b32 s0, exec_lo, s1
	s_cbranch_execz .LBB552_41
; %bb.40:
	v_mad_u64_u32 v[5:6], null, s12, 25, v[4:5]
	v_mov_b32_e32 v6, 0
                                        ; implicit-def: $vgpr7_vgpr8
	s_delay_alu instid0(VALU_DEP_1) | instskip(NEXT) | instid1(VALU_DEP_1)
	v_lshlrev_b64 v[4:5], 4, v[5:6]
	v_add_co_u32 v4, vcc_lo, s8, v4
	s_delay_alu instid0(VALU_DEP_2)
	v_add_co_ci_u32_e32 v5, vcc_lo, s9, v5, vcc_lo
	global_store_b128 v[4:5], v[0:3], off
                                        ; implicit-def: $vgpr4
                                        ; implicit-def: $vgpr5_vgpr6
                                        ; implicit-def: $vgpr0_vgpr1
.LBB552_41:
	s_and_not1_saveexec_b32 s0, s0
	s_cbranch_execz .LBB552_43
; %bb.42:
	v_mad_u64_u32 v[9:10], null, s12, 25, v[4:5]
	v_mov_b32_e32 v10, 0
	s_delay_alu instid0(VALU_DEP_1) | instskip(NEXT) | instid1(VALU_DEP_1)
	v_lshlrev_b64 v[9:10], 4, v[9:10]
	v_add_co_u32 v13, vcc_lo, s8, v9
	s_delay_alu instid0(VALU_DEP_2) | instskip(SKIP_4) | instid1(VALU_DEP_2)
	v_add_co_ci_u32_e32 v14, vcc_lo, s9, v10, vcc_lo
	global_load_b128 v[9:12], v[13:14], off
	s_waitcnt vmcnt(0)
	v_fma_f64 v[0:1], v[5:6], v[9:10], v[0:1]
	v_fma_f64 v[2:3], v[7:8], v[9:10], v[2:3]
	v_fma_f64 v[0:1], -v[7:8], v[11:12], v[0:1]
	s_delay_alu instid0(VALU_DEP_2)
	v_fma_f64 v[2:3], v[5:6], v[11:12], v[2:3]
	global_store_b128 v[13:14], v[0:3], off
.LBB552_43:
	s_nop 0
	s_sendmsg sendmsg(MSG_DEALLOC_VGPRS)
	s_endpgm
	.section	.rodata,"a",@progbits
	.p2align	6, 0x0
	.amdhsa_kernel _ZN9rocsparseL20bsrxmvn_17_32_kernelILj25E21rocsparse_complex_numIdEliS1_IfES2_S2_EEvT2_20rocsparse_direction_NS_24const_host_device_scalarIT0_EES4_PKS4_PKT1_SD_SA_PKT3_PKT4_S8_PT5_21rocsparse_index_base_b
		.amdhsa_group_segment_fixed_size 20000
		.amdhsa_private_segment_fixed_size 0
		.amdhsa_kernarg_size 112
		.amdhsa_user_sgpr_count 15
		.amdhsa_user_sgpr_dispatch_ptr 1
		.amdhsa_user_sgpr_queue_ptr 0
		.amdhsa_user_sgpr_kernarg_segment_ptr 1
		.amdhsa_user_sgpr_dispatch_id 0
		.amdhsa_user_sgpr_private_segment_size 0
		.amdhsa_wavefront_size32 1
		.amdhsa_uses_dynamic_stack 0
		.amdhsa_enable_private_segment 0
		.amdhsa_system_sgpr_workgroup_id_x 1
		.amdhsa_system_sgpr_workgroup_id_y 0
		.amdhsa_system_sgpr_workgroup_id_z 0
		.amdhsa_system_sgpr_workgroup_info 0
		.amdhsa_system_vgpr_workitem_id 2
		.amdhsa_next_free_vgpr 26
		.amdhsa_next_free_sgpr 22
		.amdhsa_reserve_vcc 1
		.amdhsa_float_round_mode_32 0
		.amdhsa_float_round_mode_16_64 0
		.amdhsa_float_denorm_mode_32 3
		.amdhsa_float_denorm_mode_16_64 3
		.amdhsa_dx10_clamp 1
		.amdhsa_ieee_mode 1
		.amdhsa_fp16_overflow 0
		.amdhsa_workgroup_processor_mode 1
		.amdhsa_memory_ordered 1
		.amdhsa_forward_progress 0
		.amdhsa_shared_vgpr_count 0
		.amdhsa_exception_fp_ieee_invalid_op 0
		.amdhsa_exception_fp_denorm_src 0
		.amdhsa_exception_fp_ieee_div_zero 0
		.amdhsa_exception_fp_ieee_overflow 0
		.amdhsa_exception_fp_ieee_underflow 0
		.amdhsa_exception_fp_ieee_inexact 0
		.amdhsa_exception_int_div_zero 0
	.end_amdhsa_kernel
	.section	.text._ZN9rocsparseL20bsrxmvn_17_32_kernelILj25E21rocsparse_complex_numIdEliS1_IfES2_S2_EEvT2_20rocsparse_direction_NS_24const_host_device_scalarIT0_EES4_PKS4_PKT1_SD_SA_PKT3_PKT4_S8_PT5_21rocsparse_index_base_b,"axG",@progbits,_ZN9rocsparseL20bsrxmvn_17_32_kernelILj25E21rocsparse_complex_numIdEliS1_IfES2_S2_EEvT2_20rocsparse_direction_NS_24const_host_device_scalarIT0_EES4_PKS4_PKT1_SD_SA_PKT3_PKT4_S8_PT5_21rocsparse_index_base_b,comdat
.Lfunc_end552:
	.size	_ZN9rocsparseL20bsrxmvn_17_32_kernelILj25E21rocsparse_complex_numIdEliS1_IfES2_S2_EEvT2_20rocsparse_direction_NS_24const_host_device_scalarIT0_EES4_PKS4_PKT1_SD_SA_PKT3_PKT4_S8_PT5_21rocsparse_index_base_b, .Lfunc_end552-_ZN9rocsparseL20bsrxmvn_17_32_kernelILj25E21rocsparse_complex_numIdEliS1_IfES2_S2_EEvT2_20rocsparse_direction_NS_24const_host_device_scalarIT0_EES4_PKS4_PKT1_SD_SA_PKT3_PKT4_S8_PT5_21rocsparse_index_base_b
                                        ; -- End function
	.section	.AMDGPU.csdata,"",@progbits
; Kernel info:
; codeLenInByte = 2084
; NumSgprs: 24
; NumVgprs: 26
; ScratchSize: 0
; MemoryBound: 0
; FloatMode: 240
; IeeeMode: 1
; LDSByteSize: 20000 bytes/workgroup (compile time only)
; SGPRBlocks: 2
; VGPRBlocks: 3
; NumSGPRsForWavesPerEU: 24
; NumVGPRsForWavesPerEU: 26
; Occupancy: 15
; WaveLimiterHint : 1
; COMPUTE_PGM_RSRC2:SCRATCH_EN: 0
; COMPUTE_PGM_RSRC2:USER_SGPR: 15
; COMPUTE_PGM_RSRC2:TRAP_HANDLER: 0
; COMPUTE_PGM_RSRC2:TGID_X_EN: 1
; COMPUTE_PGM_RSRC2:TGID_Y_EN: 0
; COMPUTE_PGM_RSRC2:TGID_Z_EN: 0
; COMPUTE_PGM_RSRC2:TIDIG_COMP_CNT: 2
	.section	.text._ZN9rocsparseL20bsrxmvn_17_32_kernelILj26E21rocsparse_complex_numIdEliS1_IfES2_S2_EEvT2_20rocsparse_direction_NS_24const_host_device_scalarIT0_EES4_PKS4_PKT1_SD_SA_PKT3_PKT4_S8_PT5_21rocsparse_index_base_b,"axG",@progbits,_ZN9rocsparseL20bsrxmvn_17_32_kernelILj26E21rocsparse_complex_numIdEliS1_IfES2_S2_EEvT2_20rocsparse_direction_NS_24const_host_device_scalarIT0_EES4_PKS4_PKT1_SD_SA_PKT3_PKT4_S8_PT5_21rocsparse_index_base_b,comdat
	.globl	_ZN9rocsparseL20bsrxmvn_17_32_kernelILj26E21rocsparse_complex_numIdEliS1_IfES2_S2_EEvT2_20rocsparse_direction_NS_24const_host_device_scalarIT0_EES4_PKS4_PKT1_SD_SA_PKT3_PKT4_S8_PT5_21rocsparse_index_base_b ; -- Begin function _ZN9rocsparseL20bsrxmvn_17_32_kernelILj26E21rocsparse_complex_numIdEliS1_IfES2_S2_EEvT2_20rocsparse_direction_NS_24const_host_device_scalarIT0_EES4_PKS4_PKT1_SD_SA_PKT3_PKT4_S8_PT5_21rocsparse_index_base_b
	.p2align	8
	.type	_ZN9rocsparseL20bsrxmvn_17_32_kernelILj26E21rocsparse_complex_numIdEliS1_IfES2_S2_EEvT2_20rocsparse_direction_NS_24const_host_device_scalarIT0_EES4_PKS4_PKT1_SD_SA_PKT3_PKT4_S8_PT5_21rocsparse_index_base_b,@function
_ZN9rocsparseL20bsrxmvn_17_32_kernelILj26E21rocsparse_complex_numIdEliS1_IfES2_S2_EEvT2_20rocsparse_direction_NS_24const_host_device_scalarIT0_EES4_PKS4_PKT1_SD_SA_PKT3_PKT4_S8_PT5_21rocsparse_index_base_b: ; @_ZN9rocsparseL20bsrxmvn_17_32_kernelILj26E21rocsparse_complex_numIdEliS1_IfES2_S2_EEvT2_20rocsparse_direction_NS_24const_host_device_scalarIT0_EES4_PKS4_PKT1_SD_SA_PKT3_PKT4_S8_PT5_21rocsparse_index_base_b
; %bb.0:
	s_mov_b32 s12, s15
	s_clause 0x1
	s_load_b64 s[14:15], s[2:3], 0x68
	s_load_b128 s[4:7], s[2:3], 0x8
	s_load_b64 s[16:17], s[0:1], 0x4
	s_mov_b64 s[0:1], src_shared_base
	v_and_b32_e32 v4, 0x3ff, v0
	s_load_b128 s[8:11], s[2:3], 0x50
	v_bfe_u32 v2, v0, 10, 10
	v_bfe_u32 v0, v0, 20, 10
	s_waitcnt lgkmcnt(0)
	s_bitcmp1_b32 s15, 0
	v_mov_b32_e32 v12, s7
	s_cselect_b32 s0, -1, 0
	v_mov_b32_e32 v11, s6
	s_and_b32 vcc_lo, s0, exec_lo
	s_cselect_b32 s13, s1, s5
	s_lshr_b32 s15, s16, 16
	v_mov_b32_e32 v6, s13
	s_mul_i32 s15, s15, s17
	s_xor_b32 s6, s0, -1
	v_mul_lo_u32 v1, s15, v4
	s_delay_alu instid0(VALU_DEP_1) | instskip(SKIP_1) | instid1(VALU_DEP_2)
	v_mad_u32_u24 v1, v2, s17, v1
	v_dual_mov_b32 v2, s8 :: v_dual_mov_b32 v3, s9
	v_add_lshl_u32 v7, v1, v0, 3
	v_dual_mov_b32 v0, s4 :: v_dual_mov_b32 v1, s5
	ds_store_b64 v7, v[0:1] offset:16224
	ds_store_b64 v7, v[2:3] offset:10816
	v_add_nc_u32_e32 v5, 0x3f60, v7
	v_add_nc_u32_e32 v0, 0x2a40, v7
	s_delay_alu instid0(VALU_DEP_2)
	v_cndmask_b32_e64 v5, s4, v5, s0
	flat_load_b64 v[9:10], v[5:6]
	s_cbranch_vccnz .LBB553_2
; %bb.1:
	v_dual_mov_b32 v1, s4 :: v_dual_mov_b32 v2, s5
	flat_load_b64 v[11:12], v[1:2] offset:8
.LBB553_2:
	s_and_b32 s4, s0, exec_lo
	s_cselect_b32 s1, s1, s9
	v_cndmask_b32_e64 v0, s8, v0, s0
	v_mov_b32_e32 v1, s1
	v_dual_mov_b32 v7, s10 :: v_dual_mov_b32 v8, s11
	s_and_not1_b32 vcc_lo, exec_lo, s6
	flat_load_b64 v[5:6], v[0:1]
	s_cbranch_vccnz .LBB553_4
; %bb.3:
	v_dual_mov_b32 v0, s8 :: v_dual_mov_b32 v1, s9
	flat_load_b64 v[7:8], v[0:1] offset:8
.LBB553_4:
	s_waitcnt vmcnt(1) lgkmcnt(1)
	v_cmp_eq_f64_e32 vcc_lo, 0, v[9:10]
	v_cmp_eq_f64_e64 s0, 0, v[11:12]
	s_delay_alu instid0(VALU_DEP_1)
	s_and_b32 s4, vcc_lo, s0
	s_mov_b32 s0, -1
	s_and_saveexec_b32 s1, s4
	s_cbranch_execz .LBB553_6
; %bb.5:
	s_waitcnt vmcnt(0) lgkmcnt(0)
	v_cmp_neq_f64_e32 vcc_lo, 1.0, v[5:6]
	v_cmp_neq_f64_e64 s0, 0, v[7:8]
	s_delay_alu instid0(VALU_DEP_1) | instskip(NEXT) | instid1(SALU_CYCLE_1)
	s_or_b32 s0, vcc_lo, s0
	s_or_not1_b32 s0, s0, exec_lo
.LBB553_6:
	s_or_b32 exec_lo, exec_lo, s1
	s_and_saveexec_b32 s1, s0
	s_cbranch_execz .LBB553_43
; %bb.7:
	s_clause 0x1
	s_load_b128 s[4:7], s[2:3], 0x20
	s_load_b64 s[8:9], s[2:3], 0x30
	s_waitcnt lgkmcnt(0)
	s_cmp_eq_u64 s[4:5], 0
	s_cbranch_scc1 .LBB553_9
; %bb.8:
	s_ashr_i32 s13, s12, 31
	s_delay_alu instid0(SALU_CYCLE_1) | instskip(NEXT) | instid1(SALU_CYCLE_1)
	s_lshl_b64 s[0:1], s[12:13], 2
	s_add_u32 s0, s4, s0
	s_addc_u32 s1, s5, s1
	s_load_b32 s0, s[0:1], 0x0
	s_waitcnt lgkmcnt(0)
	s_sub_i32 s12, s0, s14
.LBB553_9:
	s_load_b32 s1, s[2:3], 0x4
	v_mul_u32_u24_e32 v0, 0x9d9, v4
	v_mov_b32_e32 v2, 0
	v_mov_b32_e32 v3, 0
	s_delay_alu instid0(VALU_DEP_3) | instskip(NEXT) | instid1(VALU_DEP_1)
	v_lshrrev_b32_e32 v13, 16, v0
	v_mul_lo_u16 v0, v13, 26
	s_delay_alu instid0(VALU_DEP_1) | instskip(NEXT) | instid1(VALU_DEP_4)
	v_sub_nc_u16 v16, v4, v0
	v_dual_mov_b32 v0, v2 :: v_dual_mov_b32 v1, v3
	s_waitcnt lgkmcnt(0)
	s_cmp_eq_u32 s1, 1
	s_cselect_b32 s0, -1, 0
	s_cmp_lg_u32 s1, 1
	s_cselect_b32 s20, -1, 0
	s_ashr_i32 s13, s12, 31
	s_delay_alu instid0(SALU_CYCLE_1) | instskip(NEXT) | instid1(SALU_CYCLE_1)
	s_lshl_b64 s[4:5], s[12:13], 3
	s_add_u32 s6, s6, s4
	s_addc_u32 s7, s7, s5
	s_add_u32 s1, s6, 8
	s_addc_u32 s10, s7, 0
	;; [unrolled: 2-line block ×3, first 2 shown]
	s_cmp_eq_u64 s[8:9], 0
	s_load_b64 s[8:9], s[2:3], 0x60
	s_cselect_b32 s5, s10, s5
	s_cselect_b32 s4, s1, s4
	s_load_b64 s[18:19], s[6:7], 0x0
	s_load_b64 s[10:11], s[4:5], 0x0
	s_waitcnt lgkmcnt(0)
	v_cmp_ge_i64_e64 s1, s[18:19], s[10:11]
	s_delay_alu instid0(VALU_DEP_1)
	s_and_b32 vcc_lo, exec_lo, s1
	s_cbranch_vccnz .LBB553_14
; %bb.10:
	s_clause 0x1
	s_load_b128 s[4:7], s[2:3], 0x38
	s_load_b64 s[2:3], s[2:3], 0x48
	s_sub_u32 s10, s10, s14
	s_subb_u32 s11, s11, 0
	s_sub_u32 s16, s18, s14
	s_subb_u32 s17, s19, 0
	v_and_b32_e32 v0, 0xffff, v16
	v_dual_mov_b32 v2, 0 :: v_dual_and_b32 v1, 0xffff, v13
	v_dual_mov_b32 v3, 0 :: v_dual_lshlrev_b32 v14, 3, v4
	s_mul_hi_u32 s1, s16, 0x1520
	s_mul_i32 s21, s17, 0x1520
	s_mul_i32 s13, s16, 0x1520
	s_add_i32 s1, s1, s21
	s_mov_b32 s15, 0
	v_cndmask_b32_e64 v13, v0, v1, s0
	v_dual_mov_b32 v0, v2 :: v_dual_mov_b32 v1, v3
	s_waitcnt lgkmcnt(0)
	s_add_u32 s13, s6, s13
	s_addc_u32 s21, s7, s1
	s_lshl_b64 s[0:1], s[18:19], 2
	s_lshl_b64 s[6:7], s[14:15], 2
	v_add_co_u32 v14, s13, s13, v14
	s_delay_alu instid0(VALU_DEP_1)
	v_add_co_ci_u32_e64 v15, null, s21, 0, s13
	s_sub_u32 s0, s0, s6
	s_subb_u32 s1, s1, s7
	s_add_u32 s0, s4, s0
	s_addc_u32 s1, s5, s1
	s_set_inst_prefetch_distance 0x1
	s_branch .LBB553_12
	.p2align	6
.LBB553_11:                             ;   in Loop: Header=BB553_12 Depth=1
	s_add_u32 s16, s16, 1
	s_addc_u32 s17, s17, 0
	s_add_u32 s0, s0, 4
	v_cmp_lt_i64_e64 s4, s[16:17], s[10:11]
	s_addc_u32 s1, s1, 0
	s_delay_alu instid0(VALU_DEP_1)
	s_and_b32 vcc_lo, exec_lo, s4
	s_cbranch_vccz .LBB553_14
.LBB553_12:                             ; =>This Inner Loop Header: Depth=1
	v_cmp_ge_i64_e64 s4, s[16:17], s[10:11]
	s_delay_alu instid0(VALU_DEP_1)
	s_and_b32 vcc_lo, exec_lo, s4
	s_cbranch_vccnz .LBB553_11
; %bb.13:                               ;   in Loop: Header=BB553_12 Depth=1
	s_load_b32 s4, s[0:1], 0x0
	global_load_b64 v[21:22], v[14:15], off
	s_waitcnt lgkmcnt(0)
	s_sub_i32 s4, s4, s14
	s_delay_alu instid0(SALU_CYCLE_1) | instskip(NEXT) | instid1(VALU_DEP_1)
	v_mad_u64_u32 v[17:18], null, s4, 26, v[13:14]
	v_ashrrev_i32_e32 v18, 31, v17
	s_delay_alu instid0(VALU_DEP_1) | instskip(NEXT) | instid1(VALU_DEP_1)
	v_lshlrev_b64 v[17:18], 4, v[17:18]
	v_add_co_u32 v17, vcc_lo, s2, v17
	s_delay_alu instid0(VALU_DEP_2)
	v_add_co_ci_u32_e32 v18, vcc_lo, s3, v18, vcc_lo
	v_add_co_u32 v14, vcc_lo, 0x1520, v14
	v_add_co_ci_u32_e32 v15, vcc_lo, 0, v15, vcc_lo
	global_load_b128 v[17:20], v[17:18], off
	s_waitcnt vmcnt(1)
	v_cvt_f64_f32_e32 v[23:24], v21
	v_cvt_f64_f32_e32 v[21:22], v22
	s_waitcnt vmcnt(0)
	s_delay_alu instid0(VALU_DEP_2) | instskip(NEXT) | instid1(VALU_DEP_2)
	v_fma_f64 v[0:1], v[23:24], v[17:18], v[0:1]
	v_fma_f64 v[2:3], v[21:22], v[17:18], v[2:3]
	s_delay_alu instid0(VALU_DEP_2) | instskip(NEXT) | instid1(VALU_DEP_2)
	v_fma_f64 v[0:1], -v[21:22], v[19:20], v[0:1]
	v_fma_f64 v[2:3], v[23:24], v[19:20], v[2:3]
	s_branch .LBB553_11
.LBB553_14:
	s_set_inst_prefetch_distance 0x2
	v_lshlrev_b32_e32 v17, 4, v4
	s_and_b32 vcc_lo, exec_lo, s20
	ds_store_b128 v17, v[0:3]
	s_waitcnt vmcnt(0) lgkmcnt(0)
	s_barrier
	buffer_gl0_inv
	s_cbranch_vccz .LBB553_26
; %bb.15:
	s_mov_b32 s0, exec_lo
	v_cmpx_gt_u16_e32 10, v16
	s_cbranch_execz .LBB553_17
; %bb.16:
	ds_load_b128 v[18:21], v17 offset:256
	ds_load_b128 v[22:25], v17
	s_waitcnt lgkmcnt(0)
	v_add_f64 v[18:19], v[18:19], v[22:23]
	v_add_f64 v[20:21], v[20:21], v[24:25]
	ds_store_b128 v17, v[18:21]
.LBB553_17:
	s_or_b32 exec_lo, exec_lo, s0
	s_delay_alu instid0(SALU_CYCLE_1)
	s_mov_b32 s0, exec_lo
	s_waitcnt lgkmcnt(0)
	s_barrier
	buffer_gl0_inv
	v_cmpx_gt_u16_e32 8, v16
	s_cbranch_execz .LBB553_19
; %bb.18:
	ds_load_b128 v[18:21], v17 offset:128
	ds_load_b128 v[22:25], v17
	s_waitcnt lgkmcnt(0)
	v_add_f64 v[18:19], v[18:19], v[22:23]
	v_add_f64 v[20:21], v[20:21], v[24:25]
	ds_store_b128 v17, v[18:21]
.LBB553_19:
	s_or_b32 exec_lo, exec_lo, s0
	s_delay_alu instid0(SALU_CYCLE_1)
	s_mov_b32 s0, exec_lo
	s_waitcnt lgkmcnt(0)
	s_barrier
	buffer_gl0_inv
	;; [unrolled: 16-line block ×3, first 2 shown]
	v_cmpx_gt_u16_e32 2, v16
	s_cbranch_execz .LBB553_23
; %bb.22:
	ds_load_b128 v[13:16], v17
	ds_load_b128 v[18:21], v17 offset:32
	s_waitcnt lgkmcnt(0)
	v_add_f64 v[13:14], v[18:19], v[13:14]
	v_add_f64 v[15:16], v[20:21], v[15:16]
	ds_store_b128 v17, v[13:16]
.LBB553_23:
	s_or_b32 exec_lo, exec_lo, s0
	v_dual_mov_b32 v16, v3 :: v_dual_mov_b32 v15, v2
	v_dual_mov_b32 v14, v1 :: v_dual_mov_b32 v13, v0
	s_mov_b32 s0, exec_lo
	s_waitcnt lgkmcnt(0)
	s_barrier
	buffer_gl0_inv
	v_cmpx_gt_u32_e32 26, v4
	s_cbranch_execz .LBB553_25
; %bb.24:
	v_mul_u32_u24_e32 v13, 26, v4
	s_delay_alu instid0(VALU_DEP_1)
	v_lshlrev_b32_e32 v18, 4, v13
	ds_load_b128 v[13:16], v18
	ds_load_b128 v[18:21], v18 offset:16
	s_waitcnt lgkmcnt(0)
	v_add_f64 v[13:14], v[18:19], v[13:14]
	v_add_f64 v[15:16], v[20:21], v[15:16]
.LBB553_25:
	s_or_b32 exec_lo, exec_lo, s0
	s_branch .LBB553_38
.LBB553_26:
                                        ; implicit-def: $vgpr15_vgpr16
                                        ; implicit-def: $vgpr13_vgpr14
	s_cbranch_execz .LBB553_38
; %bb.27:
	s_mov_b32 s0, exec_lo
	v_cmpx_gt_u32_e32 0x104, v4
	s_cbranch_execz .LBB553_29
; %bb.28:
	ds_load_b128 v[13:16], v17 offset:6656
	ds_load_b128 v[18:21], v17
	s_waitcnt lgkmcnt(0)
	v_add_f64 v[13:14], v[13:14], v[18:19]
	v_add_f64 v[15:16], v[15:16], v[20:21]
	ds_store_b128 v17, v[13:16]
.LBB553_29:
	s_or_b32 exec_lo, exec_lo, s0
	s_delay_alu instid0(SALU_CYCLE_1)
	s_mov_b32 s0, exec_lo
	s_waitcnt lgkmcnt(0)
	s_barrier
	buffer_gl0_inv
	v_cmpx_gt_u32_e32 0xd0, v4
	s_cbranch_execz .LBB553_31
; %bb.30:
	ds_load_b128 v[13:16], v17 offset:3328
	ds_load_b128 v[18:21], v17
	s_waitcnt lgkmcnt(0)
	v_add_f64 v[13:14], v[13:14], v[18:19]
	v_add_f64 v[15:16], v[15:16], v[20:21]
	ds_store_b128 v17, v[13:16]
.LBB553_31:
	s_or_b32 exec_lo, exec_lo, s0
	s_delay_alu instid0(SALU_CYCLE_1)
	s_mov_b32 s0, exec_lo
	s_waitcnt lgkmcnt(0)
	s_barrier
	buffer_gl0_inv
	;; [unrolled: 16-line block ×3, first 2 shown]
	v_cmpx_gt_u32_e32 52, v4
	s_cbranch_execz .LBB553_35
; %bb.34:
	ds_load_b128 v[13:16], v17 offset:832
	ds_load_b128 v[18:21], v17
	s_waitcnt lgkmcnt(0)
	v_add_f64 v[13:14], v[13:14], v[18:19]
	v_add_f64 v[15:16], v[15:16], v[20:21]
	ds_store_b128 v17, v[13:16]
.LBB553_35:
	s_or_b32 exec_lo, exec_lo, s0
	s_delay_alu instid0(SALU_CYCLE_1)
	s_mov_b32 s0, exec_lo
	s_waitcnt lgkmcnt(0)
	buffer_gl0_inv
	v_cmpx_gt_u32_e32 26, v4
	s_cbranch_execz .LBB553_37
; %bb.36:
	ds_load_b128 v[0:3], v17 offset:416
	ds_load_b128 v[13:16], v17
	s_waitcnt lgkmcnt(0)
	v_add_f64 v[0:1], v[0:1], v[13:14]
	v_add_f64 v[2:3], v[2:3], v[15:16]
.LBB553_37:
	s_or_b32 exec_lo, exec_lo, s0
	s_delay_alu instid0(VALU_DEP_1) | instskip(NEXT) | instid1(VALU_DEP_3)
	v_dual_mov_b32 v16, v3 :: v_dual_mov_b32 v15, v2
	v_dual_mov_b32 v14, v1 :: v_dual_mov_b32 v13, v0
.LBB553_38:
	v_cmp_gt_u32_e32 vcc_lo, 26, v4
	s_and_b32 exec_lo, exec_lo, vcc_lo
	s_cbranch_execz .LBB553_43
; %bb.39:
	s_delay_alu instid0(VALU_DEP_2) | instskip(SKIP_3) | instid1(VALU_DEP_4)
	v_mul_f64 v[0:1], v[15:16], -v[11:12]
	v_mul_f64 v[2:3], v[9:10], v[15:16]
	v_cmp_eq_f64_e32 vcc_lo, 0, v[5:6]
	v_cmp_eq_f64_e64 s0, 0, v[7:8]
	v_fma_f64 v[0:1], v[9:10], v[13:14], v[0:1]
	s_delay_alu instid0(VALU_DEP_4) | instskip(NEXT) | instid1(VALU_DEP_3)
	v_fma_f64 v[2:3], v[11:12], v[13:14], v[2:3]
	s_and_b32 s0, vcc_lo, s0
	s_delay_alu instid0(SALU_CYCLE_1) | instskip(NEXT) | instid1(SALU_CYCLE_1)
	s_and_saveexec_b32 s1, s0
	s_xor_b32 s0, exec_lo, s1
	s_cbranch_execz .LBB553_41
; %bb.40:
	v_mad_u64_u32 v[5:6], null, s12, 26, v[4:5]
	v_mov_b32_e32 v6, 0
                                        ; implicit-def: $vgpr7_vgpr8
	s_delay_alu instid0(VALU_DEP_1) | instskip(NEXT) | instid1(VALU_DEP_1)
	v_lshlrev_b64 v[4:5], 4, v[5:6]
	v_add_co_u32 v4, vcc_lo, s8, v4
	s_delay_alu instid0(VALU_DEP_2)
	v_add_co_ci_u32_e32 v5, vcc_lo, s9, v5, vcc_lo
	global_store_b128 v[4:5], v[0:3], off
                                        ; implicit-def: $vgpr4
                                        ; implicit-def: $vgpr5_vgpr6
                                        ; implicit-def: $vgpr0_vgpr1
.LBB553_41:
	s_and_not1_saveexec_b32 s0, s0
	s_cbranch_execz .LBB553_43
; %bb.42:
	v_mad_u64_u32 v[9:10], null, s12, 26, v[4:5]
	v_mov_b32_e32 v10, 0
	s_delay_alu instid0(VALU_DEP_1) | instskip(NEXT) | instid1(VALU_DEP_1)
	v_lshlrev_b64 v[9:10], 4, v[9:10]
	v_add_co_u32 v13, vcc_lo, s8, v9
	s_delay_alu instid0(VALU_DEP_2) | instskip(SKIP_4) | instid1(VALU_DEP_2)
	v_add_co_ci_u32_e32 v14, vcc_lo, s9, v10, vcc_lo
	global_load_b128 v[9:12], v[13:14], off
	s_waitcnt vmcnt(0)
	v_fma_f64 v[0:1], v[5:6], v[9:10], v[0:1]
	v_fma_f64 v[2:3], v[7:8], v[9:10], v[2:3]
	v_fma_f64 v[0:1], -v[7:8], v[11:12], v[0:1]
	s_delay_alu instid0(VALU_DEP_2)
	v_fma_f64 v[2:3], v[5:6], v[11:12], v[2:3]
	global_store_b128 v[13:14], v[0:3], off
.LBB553_43:
	s_nop 0
	s_sendmsg sendmsg(MSG_DEALLOC_VGPRS)
	s_endpgm
	.section	.rodata,"a",@progbits
	.p2align	6, 0x0
	.amdhsa_kernel _ZN9rocsparseL20bsrxmvn_17_32_kernelILj26E21rocsparse_complex_numIdEliS1_IfES2_S2_EEvT2_20rocsparse_direction_NS_24const_host_device_scalarIT0_EES4_PKS4_PKT1_SD_SA_PKT3_PKT4_S8_PT5_21rocsparse_index_base_b
		.amdhsa_group_segment_fixed_size 21632
		.amdhsa_private_segment_fixed_size 0
		.amdhsa_kernarg_size 112
		.amdhsa_user_sgpr_count 15
		.amdhsa_user_sgpr_dispatch_ptr 1
		.amdhsa_user_sgpr_queue_ptr 0
		.amdhsa_user_sgpr_kernarg_segment_ptr 1
		.amdhsa_user_sgpr_dispatch_id 0
		.amdhsa_user_sgpr_private_segment_size 0
		.amdhsa_wavefront_size32 1
		.amdhsa_uses_dynamic_stack 0
		.amdhsa_enable_private_segment 0
		.amdhsa_system_sgpr_workgroup_id_x 1
		.amdhsa_system_sgpr_workgroup_id_y 0
		.amdhsa_system_sgpr_workgroup_id_z 0
		.amdhsa_system_sgpr_workgroup_info 0
		.amdhsa_system_vgpr_workitem_id 2
		.amdhsa_next_free_vgpr 26
		.amdhsa_next_free_sgpr 22
		.amdhsa_reserve_vcc 1
		.amdhsa_float_round_mode_32 0
		.amdhsa_float_round_mode_16_64 0
		.amdhsa_float_denorm_mode_32 3
		.amdhsa_float_denorm_mode_16_64 3
		.amdhsa_dx10_clamp 1
		.amdhsa_ieee_mode 1
		.amdhsa_fp16_overflow 0
		.amdhsa_workgroup_processor_mode 1
		.amdhsa_memory_ordered 1
		.amdhsa_forward_progress 0
		.amdhsa_shared_vgpr_count 0
		.amdhsa_exception_fp_ieee_invalid_op 0
		.amdhsa_exception_fp_denorm_src 0
		.amdhsa_exception_fp_ieee_div_zero 0
		.amdhsa_exception_fp_ieee_overflow 0
		.amdhsa_exception_fp_ieee_underflow 0
		.amdhsa_exception_fp_ieee_inexact 0
		.amdhsa_exception_int_div_zero 0
	.end_amdhsa_kernel
	.section	.text._ZN9rocsparseL20bsrxmvn_17_32_kernelILj26E21rocsparse_complex_numIdEliS1_IfES2_S2_EEvT2_20rocsparse_direction_NS_24const_host_device_scalarIT0_EES4_PKS4_PKT1_SD_SA_PKT3_PKT4_S8_PT5_21rocsparse_index_base_b,"axG",@progbits,_ZN9rocsparseL20bsrxmvn_17_32_kernelILj26E21rocsparse_complex_numIdEliS1_IfES2_S2_EEvT2_20rocsparse_direction_NS_24const_host_device_scalarIT0_EES4_PKS4_PKT1_SD_SA_PKT3_PKT4_S8_PT5_21rocsparse_index_base_b,comdat
.Lfunc_end553:
	.size	_ZN9rocsparseL20bsrxmvn_17_32_kernelILj26E21rocsparse_complex_numIdEliS1_IfES2_S2_EEvT2_20rocsparse_direction_NS_24const_host_device_scalarIT0_EES4_PKS4_PKT1_SD_SA_PKT3_PKT4_S8_PT5_21rocsparse_index_base_b, .Lfunc_end553-_ZN9rocsparseL20bsrxmvn_17_32_kernelILj26E21rocsparse_complex_numIdEliS1_IfES2_S2_EEvT2_20rocsparse_direction_NS_24const_host_device_scalarIT0_EES4_PKS4_PKT1_SD_SA_PKT3_PKT4_S8_PT5_21rocsparse_index_base_b
                                        ; -- End function
	.section	.AMDGPU.csdata,"",@progbits
; Kernel info:
; codeLenInByte = 2084
; NumSgprs: 24
; NumVgprs: 26
; ScratchSize: 0
; MemoryBound: 0
; FloatMode: 240
; IeeeMode: 1
; LDSByteSize: 21632 bytes/workgroup (compile time only)
; SGPRBlocks: 2
; VGPRBlocks: 3
; NumSGPRsForWavesPerEU: 24
; NumVGPRsForWavesPerEU: 26
; Occupancy: 11
; WaveLimiterHint : 1
; COMPUTE_PGM_RSRC2:SCRATCH_EN: 0
; COMPUTE_PGM_RSRC2:USER_SGPR: 15
; COMPUTE_PGM_RSRC2:TRAP_HANDLER: 0
; COMPUTE_PGM_RSRC2:TGID_X_EN: 1
; COMPUTE_PGM_RSRC2:TGID_Y_EN: 0
; COMPUTE_PGM_RSRC2:TGID_Z_EN: 0
; COMPUTE_PGM_RSRC2:TIDIG_COMP_CNT: 2
	.section	.text._ZN9rocsparseL20bsrxmvn_17_32_kernelILj27E21rocsparse_complex_numIdEliS1_IfES2_S2_EEvT2_20rocsparse_direction_NS_24const_host_device_scalarIT0_EES4_PKS4_PKT1_SD_SA_PKT3_PKT4_S8_PT5_21rocsparse_index_base_b,"axG",@progbits,_ZN9rocsparseL20bsrxmvn_17_32_kernelILj27E21rocsparse_complex_numIdEliS1_IfES2_S2_EEvT2_20rocsparse_direction_NS_24const_host_device_scalarIT0_EES4_PKS4_PKT1_SD_SA_PKT3_PKT4_S8_PT5_21rocsparse_index_base_b,comdat
	.globl	_ZN9rocsparseL20bsrxmvn_17_32_kernelILj27E21rocsparse_complex_numIdEliS1_IfES2_S2_EEvT2_20rocsparse_direction_NS_24const_host_device_scalarIT0_EES4_PKS4_PKT1_SD_SA_PKT3_PKT4_S8_PT5_21rocsparse_index_base_b ; -- Begin function _ZN9rocsparseL20bsrxmvn_17_32_kernelILj27E21rocsparse_complex_numIdEliS1_IfES2_S2_EEvT2_20rocsparse_direction_NS_24const_host_device_scalarIT0_EES4_PKS4_PKT1_SD_SA_PKT3_PKT4_S8_PT5_21rocsparse_index_base_b
	.p2align	8
	.type	_ZN9rocsparseL20bsrxmvn_17_32_kernelILj27E21rocsparse_complex_numIdEliS1_IfES2_S2_EEvT2_20rocsparse_direction_NS_24const_host_device_scalarIT0_EES4_PKS4_PKT1_SD_SA_PKT3_PKT4_S8_PT5_21rocsparse_index_base_b,@function
_ZN9rocsparseL20bsrxmvn_17_32_kernelILj27E21rocsparse_complex_numIdEliS1_IfES2_S2_EEvT2_20rocsparse_direction_NS_24const_host_device_scalarIT0_EES4_PKS4_PKT1_SD_SA_PKT3_PKT4_S8_PT5_21rocsparse_index_base_b: ; @_ZN9rocsparseL20bsrxmvn_17_32_kernelILj27E21rocsparse_complex_numIdEliS1_IfES2_S2_EEvT2_20rocsparse_direction_NS_24const_host_device_scalarIT0_EES4_PKS4_PKT1_SD_SA_PKT3_PKT4_S8_PT5_21rocsparse_index_base_b
; %bb.0:
	s_mov_b32 s12, s15
	s_clause 0x1
	s_load_b64 s[14:15], s[2:3], 0x68
	s_load_b128 s[4:7], s[2:3], 0x8
	s_load_b64 s[16:17], s[0:1], 0x4
	s_mov_b64 s[0:1], src_shared_base
	v_and_b32_e32 v4, 0x3ff, v0
	s_load_b128 s[8:11], s[2:3], 0x50
	v_bfe_u32 v2, v0, 10, 10
	v_bfe_u32 v0, v0, 20, 10
	s_waitcnt lgkmcnt(0)
	s_bitcmp1_b32 s15, 0
	v_mov_b32_e32 v12, s7
	s_cselect_b32 s0, -1, 0
	v_mov_b32_e32 v11, s6
	s_and_b32 vcc_lo, s0, exec_lo
	s_cselect_b32 s13, s1, s5
	s_lshr_b32 s15, s16, 16
	v_mov_b32_e32 v6, s13
	s_mul_i32 s15, s15, s17
	s_xor_b32 s6, s0, -1
	v_mul_lo_u32 v1, s15, v4
	s_delay_alu instid0(VALU_DEP_1) | instskip(SKIP_1) | instid1(VALU_DEP_2)
	v_mad_u32_u24 v1, v2, s17, v1
	v_dual_mov_b32 v2, s8 :: v_dual_mov_b32 v3, s9
	v_add_lshl_u32 v7, v1, v0, 3
	v_dual_mov_b32 v0, s4 :: v_dual_mov_b32 v1, s5
	ds_store_b64 v7, v[0:1] offset:17496
	ds_store_b64 v7, v[2:3] offset:11664
	v_add_nc_u32_e32 v5, 0x4458, v7
	v_add_nc_u32_e32 v0, 0x2d90, v7
	s_delay_alu instid0(VALU_DEP_2)
	v_cndmask_b32_e64 v5, s4, v5, s0
	flat_load_b64 v[9:10], v[5:6]
	s_cbranch_vccnz .LBB554_2
; %bb.1:
	v_dual_mov_b32 v1, s4 :: v_dual_mov_b32 v2, s5
	flat_load_b64 v[11:12], v[1:2] offset:8
.LBB554_2:
	s_and_b32 s4, s0, exec_lo
	s_cselect_b32 s1, s1, s9
	v_cndmask_b32_e64 v0, s8, v0, s0
	v_mov_b32_e32 v1, s1
	v_dual_mov_b32 v7, s10 :: v_dual_mov_b32 v8, s11
	s_and_not1_b32 vcc_lo, exec_lo, s6
	flat_load_b64 v[5:6], v[0:1]
	s_cbranch_vccnz .LBB554_4
; %bb.3:
	v_dual_mov_b32 v0, s8 :: v_dual_mov_b32 v1, s9
	flat_load_b64 v[7:8], v[0:1] offset:8
.LBB554_4:
	s_waitcnt vmcnt(1) lgkmcnt(1)
	v_cmp_eq_f64_e32 vcc_lo, 0, v[9:10]
	v_cmp_eq_f64_e64 s0, 0, v[11:12]
	s_delay_alu instid0(VALU_DEP_1)
	s_and_b32 s4, vcc_lo, s0
	s_mov_b32 s0, -1
	s_and_saveexec_b32 s1, s4
	s_cbranch_execz .LBB554_6
; %bb.5:
	s_waitcnt vmcnt(0) lgkmcnt(0)
	v_cmp_neq_f64_e32 vcc_lo, 1.0, v[5:6]
	v_cmp_neq_f64_e64 s0, 0, v[7:8]
	s_delay_alu instid0(VALU_DEP_1) | instskip(NEXT) | instid1(SALU_CYCLE_1)
	s_or_b32 s0, vcc_lo, s0
	s_or_not1_b32 s0, s0, exec_lo
.LBB554_6:
	s_or_b32 exec_lo, exec_lo, s1
	s_and_saveexec_b32 s1, s0
	s_cbranch_execz .LBB554_43
; %bb.7:
	s_clause 0x1
	s_load_b128 s[4:7], s[2:3], 0x20
	s_load_b64 s[8:9], s[2:3], 0x30
	s_waitcnt lgkmcnt(0)
	s_cmp_eq_u64 s[4:5], 0
	s_cbranch_scc1 .LBB554_9
; %bb.8:
	s_ashr_i32 s13, s12, 31
	s_delay_alu instid0(SALU_CYCLE_1) | instskip(NEXT) | instid1(SALU_CYCLE_1)
	s_lshl_b64 s[0:1], s[12:13], 2
	s_add_u32 s0, s4, s0
	s_addc_u32 s1, s5, s1
	s_load_b32 s0, s[0:1], 0x0
	s_waitcnt lgkmcnt(0)
	s_sub_i32 s12, s0, s14
.LBB554_9:
	s_load_b32 s1, s[2:3], 0x4
	v_mul_u32_u24_e32 v0, 0x97c, v4
	v_mov_b32_e32 v2, 0
	v_mov_b32_e32 v3, 0
	s_delay_alu instid0(VALU_DEP_3) | instskip(NEXT) | instid1(VALU_DEP_1)
	v_lshrrev_b32_e32 v13, 16, v0
	v_mul_lo_u16 v0, v13, 27
	s_delay_alu instid0(VALU_DEP_1) | instskip(NEXT) | instid1(VALU_DEP_4)
	v_sub_nc_u16 v16, v4, v0
	v_dual_mov_b32 v0, v2 :: v_dual_mov_b32 v1, v3
	s_waitcnt lgkmcnt(0)
	s_cmp_eq_u32 s1, 1
	s_cselect_b32 s0, -1, 0
	s_cmp_lg_u32 s1, 1
	s_cselect_b32 s20, -1, 0
	s_ashr_i32 s13, s12, 31
	s_delay_alu instid0(SALU_CYCLE_1) | instskip(NEXT) | instid1(SALU_CYCLE_1)
	s_lshl_b64 s[4:5], s[12:13], 3
	s_add_u32 s6, s6, s4
	s_addc_u32 s7, s7, s5
	s_add_u32 s1, s6, 8
	s_addc_u32 s10, s7, 0
	s_add_u32 s4, s8, s4
	s_addc_u32 s5, s9, s5
	s_cmp_eq_u64 s[8:9], 0
	s_load_b64 s[8:9], s[2:3], 0x60
	s_cselect_b32 s5, s10, s5
	s_cselect_b32 s4, s1, s4
	s_load_b64 s[18:19], s[6:7], 0x0
	s_load_b64 s[10:11], s[4:5], 0x0
	s_waitcnt lgkmcnt(0)
	v_cmp_ge_i64_e64 s1, s[18:19], s[10:11]
	s_delay_alu instid0(VALU_DEP_1)
	s_and_b32 vcc_lo, exec_lo, s1
	s_cbranch_vccnz .LBB554_14
; %bb.10:
	s_clause 0x1
	s_load_b128 s[4:7], s[2:3], 0x38
	s_load_b64 s[2:3], s[2:3], 0x48
	s_sub_u32 s10, s10, s14
	s_subb_u32 s11, s11, 0
	s_sub_u32 s16, s18, s14
	s_subb_u32 s17, s19, 0
	v_and_b32_e32 v0, 0xffff, v16
	v_dual_mov_b32 v2, 0 :: v_dual_and_b32 v1, 0xffff, v13
	v_dual_mov_b32 v3, 0 :: v_dual_lshlrev_b32 v14, 3, v4
	s_mul_hi_u32 s1, s16, 0x16c8
	s_mul_i32 s21, s17, 0x16c8
	s_mul_i32 s13, s16, 0x16c8
	s_add_i32 s1, s1, s21
	s_mov_b32 s15, 0
	v_cndmask_b32_e64 v13, v0, v1, s0
	v_dual_mov_b32 v0, v2 :: v_dual_mov_b32 v1, v3
	s_waitcnt lgkmcnt(0)
	s_add_u32 s13, s6, s13
	s_addc_u32 s21, s7, s1
	s_lshl_b64 s[0:1], s[18:19], 2
	s_lshl_b64 s[6:7], s[14:15], 2
	v_add_co_u32 v14, s13, s13, v14
	s_delay_alu instid0(VALU_DEP_1)
	v_add_co_ci_u32_e64 v15, null, s21, 0, s13
	s_sub_u32 s0, s0, s6
	s_subb_u32 s1, s1, s7
	s_add_u32 s0, s4, s0
	s_addc_u32 s1, s5, s1
	s_set_inst_prefetch_distance 0x1
	s_branch .LBB554_12
	.p2align	6
.LBB554_11:                             ;   in Loop: Header=BB554_12 Depth=1
	s_add_u32 s16, s16, 1
	s_addc_u32 s17, s17, 0
	s_add_u32 s0, s0, 4
	v_cmp_lt_i64_e64 s4, s[16:17], s[10:11]
	s_addc_u32 s1, s1, 0
	s_delay_alu instid0(VALU_DEP_1)
	s_and_b32 vcc_lo, exec_lo, s4
	s_cbranch_vccz .LBB554_14
.LBB554_12:                             ; =>This Inner Loop Header: Depth=1
	v_cmp_ge_i64_e64 s4, s[16:17], s[10:11]
	s_delay_alu instid0(VALU_DEP_1)
	s_and_b32 vcc_lo, exec_lo, s4
	s_cbranch_vccnz .LBB554_11
; %bb.13:                               ;   in Loop: Header=BB554_12 Depth=1
	s_load_b32 s4, s[0:1], 0x0
	global_load_b64 v[21:22], v[14:15], off
	s_waitcnt lgkmcnt(0)
	s_sub_i32 s4, s4, s14
	s_delay_alu instid0(SALU_CYCLE_1) | instskip(NEXT) | instid1(VALU_DEP_1)
	v_mad_u64_u32 v[17:18], null, s4, 27, v[13:14]
	v_ashrrev_i32_e32 v18, 31, v17
	s_delay_alu instid0(VALU_DEP_1) | instskip(NEXT) | instid1(VALU_DEP_1)
	v_lshlrev_b64 v[17:18], 4, v[17:18]
	v_add_co_u32 v17, vcc_lo, s2, v17
	s_delay_alu instid0(VALU_DEP_2)
	v_add_co_ci_u32_e32 v18, vcc_lo, s3, v18, vcc_lo
	v_add_co_u32 v14, vcc_lo, 0x16c8, v14
	v_add_co_ci_u32_e32 v15, vcc_lo, 0, v15, vcc_lo
	global_load_b128 v[17:20], v[17:18], off
	s_waitcnt vmcnt(1)
	v_cvt_f64_f32_e32 v[23:24], v21
	v_cvt_f64_f32_e32 v[21:22], v22
	s_waitcnt vmcnt(0)
	s_delay_alu instid0(VALU_DEP_2) | instskip(NEXT) | instid1(VALU_DEP_2)
	v_fma_f64 v[0:1], v[23:24], v[17:18], v[0:1]
	v_fma_f64 v[2:3], v[21:22], v[17:18], v[2:3]
	s_delay_alu instid0(VALU_DEP_2) | instskip(NEXT) | instid1(VALU_DEP_2)
	v_fma_f64 v[0:1], -v[21:22], v[19:20], v[0:1]
	v_fma_f64 v[2:3], v[23:24], v[19:20], v[2:3]
	s_branch .LBB554_11
.LBB554_14:
	s_set_inst_prefetch_distance 0x2
	v_lshlrev_b32_e32 v17, 4, v4
	s_and_b32 vcc_lo, exec_lo, s20
	ds_store_b128 v17, v[0:3]
	s_waitcnt vmcnt(0) lgkmcnt(0)
	s_barrier
	buffer_gl0_inv
	s_cbranch_vccz .LBB554_26
; %bb.15:
	s_mov_b32 s0, exec_lo
	v_cmpx_gt_u16_e32 11, v16
	s_cbranch_execz .LBB554_17
; %bb.16:
	ds_load_b128 v[18:21], v17 offset:256
	ds_load_b128 v[22:25], v17
	s_waitcnt lgkmcnt(0)
	v_add_f64 v[18:19], v[18:19], v[22:23]
	v_add_f64 v[20:21], v[20:21], v[24:25]
	ds_store_b128 v17, v[18:21]
.LBB554_17:
	s_or_b32 exec_lo, exec_lo, s0
	s_delay_alu instid0(SALU_CYCLE_1)
	s_mov_b32 s0, exec_lo
	s_waitcnt lgkmcnt(0)
	s_barrier
	buffer_gl0_inv
	v_cmpx_gt_u16_e32 8, v16
	s_cbranch_execz .LBB554_19
; %bb.18:
	ds_load_b128 v[18:21], v17 offset:128
	ds_load_b128 v[22:25], v17
	s_waitcnt lgkmcnt(0)
	v_add_f64 v[18:19], v[18:19], v[22:23]
	v_add_f64 v[20:21], v[20:21], v[24:25]
	ds_store_b128 v17, v[18:21]
.LBB554_19:
	s_or_b32 exec_lo, exec_lo, s0
	s_delay_alu instid0(SALU_CYCLE_1)
	s_mov_b32 s0, exec_lo
	s_waitcnt lgkmcnt(0)
	s_barrier
	buffer_gl0_inv
	;; [unrolled: 16-line block ×3, first 2 shown]
	v_cmpx_gt_u16_e32 2, v16
	s_cbranch_execz .LBB554_23
; %bb.22:
	ds_load_b128 v[13:16], v17
	ds_load_b128 v[18:21], v17 offset:32
	s_waitcnt lgkmcnt(0)
	v_add_f64 v[13:14], v[18:19], v[13:14]
	v_add_f64 v[15:16], v[20:21], v[15:16]
	ds_store_b128 v17, v[13:16]
.LBB554_23:
	s_or_b32 exec_lo, exec_lo, s0
	v_dual_mov_b32 v16, v3 :: v_dual_mov_b32 v15, v2
	v_dual_mov_b32 v14, v1 :: v_dual_mov_b32 v13, v0
	s_mov_b32 s0, exec_lo
	s_waitcnt lgkmcnt(0)
	s_barrier
	buffer_gl0_inv
	v_cmpx_gt_u32_e32 27, v4
	s_cbranch_execz .LBB554_25
; %bb.24:
	v_mul_u32_u24_e32 v13, 27, v4
	s_delay_alu instid0(VALU_DEP_1)
	v_lshlrev_b32_e32 v18, 4, v13
	ds_load_b128 v[13:16], v18
	ds_load_b128 v[18:21], v18 offset:16
	s_waitcnt lgkmcnt(0)
	v_add_f64 v[13:14], v[18:19], v[13:14]
	v_add_f64 v[15:16], v[20:21], v[15:16]
.LBB554_25:
	s_or_b32 exec_lo, exec_lo, s0
	s_branch .LBB554_38
.LBB554_26:
                                        ; implicit-def: $vgpr15_vgpr16
                                        ; implicit-def: $vgpr13_vgpr14
	s_cbranch_execz .LBB554_38
; %bb.27:
	s_mov_b32 s0, exec_lo
	v_cmpx_gt_u32_e32 0x129, v4
	s_cbranch_execz .LBB554_29
; %bb.28:
	ds_load_b128 v[13:16], v17 offset:6912
	ds_load_b128 v[18:21], v17
	s_waitcnt lgkmcnt(0)
	v_add_f64 v[13:14], v[13:14], v[18:19]
	v_add_f64 v[15:16], v[15:16], v[20:21]
	ds_store_b128 v17, v[13:16]
.LBB554_29:
	s_or_b32 exec_lo, exec_lo, s0
	s_delay_alu instid0(SALU_CYCLE_1)
	s_mov_b32 s0, exec_lo
	s_waitcnt lgkmcnt(0)
	s_barrier
	buffer_gl0_inv
	v_cmpx_gt_u32_e32 0xd8, v4
	s_cbranch_execz .LBB554_31
; %bb.30:
	ds_load_b128 v[13:16], v17 offset:3456
	ds_load_b128 v[18:21], v17
	s_waitcnt lgkmcnt(0)
	v_add_f64 v[13:14], v[13:14], v[18:19]
	v_add_f64 v[15:16], v[15:16], v[20:21]
	ds_store_b128 v17, v[13:16]
.LBB554_31:
	s_or_b32 exec_lo, exec_lo, s0
	s_delay_alu instid0(SALU_CYCLE_1)
	s_mov_b32 s0, exec_lo
	s_waitcnt lgkmcnt(0)
	s_barrier
	buffer_gl0_inv
	;; [unrolled: 16-line block ×3, first 2 shown]
	v_cmpx_gt_u32_e32 54, v4
	s_cbranch_execz .LBB554_35
; %bb.34:
	ds_load_b128 v[13:16], v17 offset:864
	ds_load_b128 v[18:21], v17
	s_waitcnt lgkmcnt(0)
	v_add_f64 v[13:14], v[13:14], v[18:19]
	v_add_f64 v[15:16], v[15:16], v[20:21]
	ds_store_b128 v17, v[13:16]
.LBB554_35:
	s_or_b32 exec_lo, exec_lo, s0
	s_delay_alu instid0(SALU_CYCLE_1)
	s_mov_b32 s0, exec_lo
	s_waitcnt lgkmcnt(0)
	buffer_gl0_inv
	v_cmpx_gt_u32_e32 27, v4
	s_cbranch_execz .LBB554_37
; %bb.36:
	ds_load_b128 v[0:3], v17 offset:432
	ds_load_b128 v[13:16], v17
	s_waitcnt lgkmcnt(0)
	v_add_f64 v[0:1], v[0:1], v[13:14]
	v_add_f64 v[2:3], v[2:3], v[15:16]
.LBB554_37:
	s_or_b32 exec_lo, exec_lo, s0
	s_delay_alu instid0(VALU_DEP_1) | instskip(NEXT) | instid1(VALU_DEP_3)
	v_dual_mov_b32 v16, v3 :: v_dual_mov_b32 v15, v2
	v_dual_mov_b32 v14, v1 :: v_dual_mov_b32 v13, v0
.LBB554_38:
	v_cmp_gt_u32_e32 vcc_lo, 27, v4
	s_and_b32 exec_lo, exec_lo, vcc_lo
	s_cbranch_execz .LBB554_43
; %bb.39:
	s_delay_alu instid0(VALU_DEP_2) | instskip(SKIP_3) | instid1(VALU_DEP_4)
	v_mul_f64 v[0:1], v[15:16], -v[11:12]
	v_mul_f64 v[2:3], v[9:10], v[15:16]
	v_cmp_eq_f64_e32 vcc_lo, 0, v[5:6]
	v_cmp_eq_f64_e64 s0, 0, v[7:8]
	v_fma_f64 v[0:1], v[9:10], v[13:14], v[0:1]
	s_delay_alu instid0(VALU_DEP_4) | instskip(NEXT) | instid1(VALU_DEP_3)
	v_fma_f64 v[2:3], v[11:12], v[13:14], v[2:3]
	s_and_b32 s0, vcc_lo, s0
	s_delay_alu instid0(SALU_CYCLE_1) | instskip(NEXT) | instid1(SALU_CYCLE_1)
	s_and_saveexec_b32 s1, s0
	s_xor_b32 s0, exec_lo, s1
	s_cbranch_execz .LBB554_41
; %bb.40:
	v_mad_u64_u32 v[5:6], null, s12, 27, v[4:5]
	v_mov_b32_e32 v6, 0
                                        ; implicit-def: $vgpr7_vgpr8
	s_delay_alu instid0(VALU_DEP_1) | instskip(NEXT) | instid1(VALU_DEP_1)
	v_lshlrev_b64 v[4:5], 4, v[5:6]
	v_add_co_u32 v4, vcc_lo, s8, v4
	s_delay_alu instid0(VALU_DEP_2)
	v_add_co_ci_u32_e32 v5, vcc_lo, s9, v5, vcc_lo
	global_store_b128 v[4:5], v[0:3], off
                                        ; implicit-def: $vgpr4
                                        ; implicit-def: $vgpr5_vgpr6
                                        ; implicit-def: $vgpr0_vgpr1
.LBB554_41:
	s_and_not1_saveexec_b32 s0, s0
	s_cbranch_execz .LBB554_43
; %bb.42:
	v_mad_u64_u32 v[9:10], null, s12, 27, v[4:5]
	v_mov_b32_e32 v10, 0
	s_delay_alu instid0(VALU_DEP_1) | instskip(NEXT) | instid1(VALU_DEP_1)
	v_lshlrev_b64 v[9:10], 4, v[9:10]
	v_add_co_u32 v13, vcc_lo, s8, v9
	s_delay_alu instid0(VALU_DEP_2) | instskip(SKIP_4) | instid1(VALU_DEP_2)
	v_add_co_ci_u32_e32 v14, vcc_lo, s9, v10, vcc_lo
	global_load_b128 v[9:12], v[13:14], off
	s_waitcnt vmcnt(0)
	v_fma_f64 v[0:1], v[5:6], v[9:10], v[0:1]
	v_fma_f64 v[2:3], v[7:8], v[9:10], v[2:3]
	v_fma_f64 v[0:1], -v[7:8], v[11:12], v[0:1]
	s_delay_alu instid0(VALU_DEP_2)
	v_fma_f64 v[2:3], v[5:6], v[11:12], v[2:3]
	global_store_b128 v[13:14], v[0:3], off
.LBB554_43:
	s_nop 0
	s_sendmsg sendmsg(MSG_DEALLOC_VGPRS)
	s_endpgm
	.section	.rodata,"a",@progbits
	.p2align	6, 0x0
	.amdhsa_kernel _ZN9rocsparseL20bsrxmvn_17_32_kernelILj27E21rocsparse_complex_numIdEliS1_IfES2_S2_EEvT2_20rocsparse_direction_NS_24const_host_device_scalarIT0_EES4_PKS4_PKT1_SD_SA_PKT3_PKT4_S8_PT5_21rocsparse_index_base_b
		.amdhsa_group_segment_fixed_size 23328
		.amdhsa_private_segment_fixed_size 0
		.amdhsa_kernarg_size 112
		.amdhsa_user_sgpr_count 15
		.amdhsa_user_sgpr_dispatch_ptr 1
		.amdhsa_user_sgpr_queue_ptr 0
		.amdhsa_user_sgpr_kernarg_segment_ptr 1
		.amdhsa_user_sgpr_dispatch_id 0
		.amdhsa_user_sgpr_private_segment_size 0
		.amdhsa_wavefront_size32 1
		.amdhsa_uses_dynamic_stack 0
		.amdhsa_enable_private_segment 0
		.amdhsa_system_sgpr_workgroup_id_x 1
		.amdhsa_system_sgpr_workgroup_id_y 0
		.amdhsa_system_sgpr_workgroup_id_z 0
		.amdhsa_system_sgpr_workgroup_info 0
		.amdhsa_system_vgpr_workitem_id 2
		.amdhsa_next_free_vgpr 26
		.amdhsa_next_free_sgpr 22
		.amdhsa_reserve_vcc 1
		.amdhsa_float_round_mode_32 0
		.amdhsa_float_round_mode_16_64 0
		.amdhsa_float_denorm_mode_32 3
		.amdhsa_float_denorm_mode_16_64 3
		.amdhsa_dx10_clamp 1
		.amdhsa_ieee_mode 1
		.amdhsa_fp16_overflow 0
		.amdhsa_workgroup_processor_mode 1
		.amdhsa_memory_ordered 1
		.amdhsa_forward_progress 0
		.amdhsa_shared_vgpr_count 0
		.amdhsa_exception_fp_ieee_invalid_op 0
		.amdhsa_exception_fp_denorm_src 0
		.amdhsa_exception_fp_ieee_div_zero 0
		.amdhsa_exception_fp_ieee_overflow 0
		.amdhsa_exception_fp_ieee_underflow 0
		.amdhsa_exception_fp_ieee_inexact 0
		.amdhsa_exception_int_div_zero 0
	.end_amdhsa_kernel
	.section	.text._ZN9rocsparseL20bsrxmvn_17_32_kernelILj27E21rocsparse_complex_numIdEliS1_IfES2_S2_EEvT2_20rocsparse_direction_NS_24const_host_device_scalarIT0_EES4_PKS4_PKT1_SD_SA_PKT3_PKT4_S8_PT5_21rocsparse_index_base_b,"axG",@progbits,_ZN9rocsparseL20bsrxmvn_17_32_kernelILj27E21rocsparse_complex_numIdEliS1_IfES2_S2_EEvT2_20rocsparse_direction_NS_24const_host_device_scalarIT0_EES4_PKS4_PKT1_SD_SA_PKT3_PKT4_S8_PT5_21rocsparse_index_base_b,comdat
.Lfunc_end554:
	.size	_ZN9rocsparseL20bsrxmvn_17_32_kernelILj27E21rocsparse_complex_numIdEliS1_IfES2_S2_EEvT2_20rocsparse_direction_NS_24const_host_device_scalarIT0_EES4_PKS4_PKT1_SD_SA_PKT3_PKT4_S8_PT5_21rocsparse_index_base_b, .Lfunc_end554-_ZN9rocsparseL20bsrxmvn_17_32_kernelILj27E21rocsparse_complex_numIdEliS1_IfES2_S2_EEvT2_20rocsparse_direction_NS_24const_host_device_scalarIT0_EES4_PKS4_PKT1_SD_SA_PKT3_PKT4_S8_PT5_21rocsparse_index_base_b
                                        ; -- End function
	.section	.AMDGPU.csdata,"",@progbits
; Kernel info:
; codeLenInByte = 2084
; NumSgprs: 24
; NumVgprs: 26
; ScratchSize: 0
; MemoryBound: 0
; FloatMode: 240
; IeeeMode: 1
; LDSByteSize: 23328 bytes/workgroup (compile time only)
; SGPRBlocks: 2
; VGPRBlocks: 3
; NumSGPRsForWavesPerEU: 24
; NumVGPRsForWavesPerEU: 26
; Occupancy: 12
; WaveLimiterHint : 1
; COMPUTE_PGM_RSRC2:SCRATCH_EN: 0
; COMPUTE_PGM_RSRC2:USER_SGPR: 15
; COMPUTE_PGM_RSRC2:TRAP_HANDLER: 0
; COMPUTE_PGM_RSRC2:TGID_X_EN: 1
; COMPUTE_PGM_RSRC2:TGID_Y_EN: 0
; COMPUTE_PGM_RSRC2:TGID_Z_EN: 0
; COMPUTE_PGM_RSRC2:TIDIG_COMP_CNT: 2
	.section	.text._ZN9rocsparseL20bsrxmvn_17_32_kernelILj28E21rocsparse_complex_numIdEliS1_IfES2_S2_EEvT2_20rocsparse_direction_NS_24const_host_device_scalarIT0_EES4_PKS4_PKT1_SD_SA_PKT3_PKT4_S8_PT5_21rocsparse_index_base_b,"axG",@progbits,_ZN9rocsparseL20bsrxmvn_17_32_kernelILj28E21rocsparse_complex_numIdEliS1_IfES2_S2_EEvT2_20rocsparse_direction_NS_24const_host_device_scalarIT0_EES4_PKS4_PKT1_SD_SA_PKT3_PKT4_S8_PT5_21rocsparse_index_base_b,comdat
	.globl	_ZN9rocsparseL20bsrxmvn_17_32_kernelILj28E21rocsparse_complex_numIdEliS1_IfES2_S2_EEvT2_20rocsparse_direction_NS_24const_host_device_scalarIT0_EES4_PKS4_PKT1_SD_SA_PKT3_PKT4_S8_PT5_21rocsparse_index_base_b ; -- Begin function _ZN9rocsparseL20bsrxmvn_17_32_kernelILj28E21rocsparse_complex_numIdEliS1_IfES2_S2_EEvT2_20rocsparse_direction_NS_24const_host_device_scalarIT0_EES4_PKS4_PKT1_SD_SA_PKT3_PKT4_S8_PT5_21rocsparse_index_base_b
	.p2align	8
	.type	_ZN9rocsparseL20bsrxmvn_17_32_kernelILj28E21rocsparse_complex_numIdEliS1_IfES2_S2_EEvT2_20rocsparse_direction_NS_24const_host_device_scalarIT0_EES4_PKS4_PKT1_SD_SA_PKT3_PKT4_S8_PT5_21rocsparse_index_base_b,@function
_ZN9rocsparseL20bsrxmvn_17_32_kernelILj28E21rocsparse_complex_numIdEliS1_IfES2_S2_EEvT2_20rocsparse_direction_NS_24const_host_device_scalarIT0_EES4_PKS4_PKT1_SD_SA_PKT3_PKT4_S8_PT5_21rocsparse_index_base_b: ; @_ZN9rocsparseL20bsrxmvn_17_32_kernelILj28E21rocsparse_complex_numIdEliS1_IfES2_S2_EEvT2_20rocsparse_direction_NS_24const_host_device_scalarIT0_EES4_PKS4_PKT1_SD_SA_PKT3_PKT4_S8_PT5_21rocsparse_index_base_b
; %bb.0:
	s_mov_b32 s12, s15
	s_clause 0x1
	s_load_b64 s[14:15], s[2:3], 0x68
	s_load_b128 s[4:7], s[2:3], 0x8
	s_load_b64 s[16:17], s[0:1], 0x4
	s_mov_b64 s[0:1], src_shared_base
	v_and_b32_e32 v4, 0x3ff, v0
	s_load_b128 s[8:11], s[2:3], 0x50
	v_bfe_u32 v2, v0, 10, 10
	v_bfe_u32 v0, v0, 20, 10
	s_waitcnt lgkmcnt(0)
	s_bitcmp1_b32 s15, 0
	v_mov_b32_e32 v12, s7
	s_cselect_b32 s0, -1, 0
	v_mov_b32_e32 v11, s6
	s_and_b32 vcc_lo, s0, exec_lo
	s_cselect_b32 s13, s1, s5
	s_lshr_b32 s15, s16, 16
	v_mov_b32_e32 v6, s13
	s_mul_i32 s15, s15, s17
	s_xor_b32 s6, s0, -1
	v_mul_lo_u32 v1, s15, v4
	s_delay_alu instid0(VALU_DEP_1) | instskip(SKIP_1) | instid1(VALU_DEP_2)
	v_mad_u32_u24 v1, v2, s17, v1
	v_dual_mov_b32 v2, s8 :: v_dual_mov_b32 v3, s9
	v_add_lshl_u32 v7, v1, v0, 3
	v_dual_mov_b32 v0, s4 :: v_dual_mov_b32 v1, s5
	ds_store_b64 v7, v[0:1] offset:18816
	ds_store_b64 v7, v[2:3] offset:12544
	v_add_nc_u32_e32 v5, 0x4980, v7
	v_add_nc_u32_e32 v0, 0x3100, v7
	s_delay_alu instid0(VALU_DEP_2)
	v_cndmask_b32_e64 v5, s4, v5, s0
	flat_load_b64 v[9:10], v[5:6]
	s_cbranch_vccnz .LBB555_2
; %bb.1:
	v_dual_mov_b32 v1, s4 :: v_dual_mov_b32 v2, s5
	flat_load_b64 v[11:12], v[1:2] offset:8
.LBB555_2:
	s_and_b32 s4, s0, exec_lo
	s_cselect_b32 s1, s1, s9
	v_cndmask_b32_e64 v0, s8, v0, s0
	v_mov_b32_e32 v1, s1
	v_dual_mov_b32 v7, s10 :: v_dual_mov_b32 v8, s11
	s_and_not1_b32 vcc_lo, exec_lo, s6
	flat_load_b64 v[5:6], v[0:1]
	s_cbranch_vccnz .LBB555_4
; %bb.3:
	v_dual_mov_b32 v0, s8 :: v_dual_mov_b32 v1, s9
	flat_load_b64 v[7:8], v[0:1] offset:8
.LBB555_4:
	s_waitcnt vmcnt(1) lgkmcnt(1)
	v_cmp_eq_f64_e32 vcc_lo, 0, v[9:10]
	v_cmp_eq_f64_e64 s0, 0, v[11:12]
	s_delay_alu instid0(VALU_DEP_1)
	s_and_b32 s4, vcc_lo, s0
	s_mov_b32 s0, -1
	s_and_saveexec_b32 s1, s4
	s_cbranch_execz .LBB555_6
; %bb.5:
	s_waitcnt vmcnt(0) lgkmcnt(0)
	v_cmp_neq_f64_e32 vcc_lo, 1.0, v[5:6]
	v_cmp_neq_f64_e64 s0, 0, v[7:8]
	s_delay_alu instid0(VALU_DEP_1) | instskip(NEXT) | instid1(SALU_CYCLE_1)
	s_or_b32 s0, vcc_lo, s0
	s_or_not1_b32 s0, s0, exec_lo
.LBB555_6:
	s_or_b32 exec_lo, exec_lo, s1
	s_and_saveexec_b32 s1, s0
	s_cbranch_execz .LBB555_43
; %bb.7:
	s_clause 0x1
	s_load_b128 s[4:7], s[2:3], 0x20
	s_load_b64 s[8:9], s[2:3], 0x30
	s_waitcnt lgkmcnt(0)
	s_cmp_eq_u64 s[4:5], 0
	s_cbranch_scc1 .LBB555_9
; %bb.8:
	s_ashr_i32 s13, s12, 31
	s_delay_alu instid0(SALU_CYCLE_1) | instskip(NEXT) | instid1(SALU_CYCLE_1)
	s_lshl_b64 s[0:1], s[12:13], 2
	s_add_u32 s0, s4, s0
	s_addc_u32 s1, s5, s1
	s_load_b32 s0, s[0:1], 0x0
	s_waitcnt lgkmcnt(0)
	s_sub_i32 s12, s0, s14
.LBB555_9:
	s_load_b32 s1, s[2:3], 0x4
	v_mul_u32_u24_e32 v0, 0x925, v4
	v_mov_b32_e32 v2, 0
	v_mov_b32_e32 v3, 0
	s_delay_alu instid0(VALU_DEP_3) | instskip(NEXT) | instid1(VALU_DEP_1)
	v_lshrrev_b32_e32 v13, 16, v0
	v_mul_lo_u16 v0, v13, 28
	s_delay_alu instid0(VALU_DEP_1) | instskip(NEXT) | instid1(VALU_DEP_4)
	v_sub_nc_u16 v16, v4, v0
	v_dual_mov_b32 v0, v2 :: v_dual_mov_b32 v1, v3
	s_waitcnt lgkmcnt(0)
	s_cmp_eq_u32 s1, 1
	s_cselect_b32 s0, -1, 0
	s_cmp_lg_u32 s1, 1
	s_cselect_b32 s20, -1, 0
	s_ashr_i32 s13, s12, 31
	s_delay_alu instid0(SALU_CYCLE_1) | instskip(NEXT) | instid1(SALU_CYCLE_1)
	s_lshl_b64 s[4:5], s[12:13], 3
	s_add_u32 s6, s6, s4
	s_addc_u32 s7, s7, s5
	s_add_u32 s1, s6, 8
	s_addc_u32 s10, s7, 0
	;; [unrolled: 2-line block ×3, first 2 shown]
	s_cmp_eq_u64 s[8:9], 0
	s_load_b64 s[8:9], s[2:3], 0x60
	s_cselect_b32 s5, s10, s5
	s_cselect_b32 s4, s1, s4
	s_load_b64 s[18:19], s[6:7], 0x0
	s_load_b64 s[10:11], s[4:5], 0x0
	s_waitcnt lgkmcnt(0)
	v_cmp_ge_i64_e64 s1, s[18:19], s[10:11]
	s_delay_alu instid0(VALU_DEP_1)
	s_and_b32 vcc_lo, exec_lo, s1
	s_cbranch_vccnz .LBB555_14
; %bb.10:
	s_clause 0x1
	s_load_b128 s[4:7], s[2:3], 0x38
	s_load_b64 s[2:3], s[2:3], 0x48
	s_sub_u32 s10, s10, s14
	s_subb_u32 s11, s11, 0
	s_sub_u32 s16, s18, s14
	s_subb_u32 s17, s19, 0
	v_and_b32_e32 v0, 0xffff, v16
	v_dual_mov_b32 v2, 0 :: v_dual_and_b32 v1, 0xffff, v13
	v_dual_mov_b32 v3, 0 :: v_dual_lshlrev_b32 v14, 3, v4
	s_mul_hi_u32 s1, s16, 0x1880
	s_mul_i32 s21, s17, 0x1880
	s_mul_i32 s13, s16, 0x1880
	s_add_i32 s1, s1, s21
	s_mov_b32 s15, 0
	v_cndmask_b32_e64 v13, v0, v1, s0
	v_dual_mov_b32 v0, v2 :: v_dual_mov_b32 v1, v3
	s_waitcnt lgkmcnt(0)
	s_add_u32 s13, s6, s13
	s_addc_u32 s21, s7, s1
	s_lshl_b64 s[0:1], s[18:19], 2
	s_lshl_b64 s[6:7], s[14:15], 2
	v_add_co_u32 v14, s13, s13, v14
	s_delay_alu instid0(VALU_DEP_1)
	v_add_co_ci_u32_e64 v15, null, s21, 0, s13
	s_sub_u32 s0, s0, s6
	s_subb_u32 s1, s1, s7
	s_add_u32 s0, s4, s0
	s_addc_u32 s1, s5, s1
	s_set_inst_prefetch_distance 0x1
	s_branch .LBB555_12
	.p2align	6
.LBB555_11:                             ;   in Loop: Header=BB555_12 Depth=1
	s_add_u32 s16, s16, 1
	s_addc_u32 s17, s17, 0
	s_add_u32 s0, s0, 4
	v_cmp_lt_i64_e64 s4, s[16:17], s[10:11]
	s_addc_u32 s1, s1, 0
	s_delay_alu instid0(VALU_DEP_1)
	s_and_b32 vcc_lo, exec_lo, s4
	s_cbranch_vccz .LBB555_14
.LBB555_12:                             ; =>This Inner Loop Header: Depth=1
	v_cmp_ge_i64_e64 s4, s[16:17], s[10:11]
	s_delay_alu instid0(VALU_DEP_1)
	s_and_b32 vcc_lo, exec_lo, s4
	s_cbranch_vccnz .LBB555_11
; %bb.13:                               ;   in Loop: Header=BB555_12 Depth=1
	s_load_b32 s4, s[0:1], 0x0
	global_load_b64 v[21:22], v[14:15], off
	s_waitcnt lgkmcnt(0)
	s_sub_i32 s4, s4, s14
	s_delay_alu instid0(SALU_CYCLE_1) | instskip(NEXT) | instid1(VALU_DEP_1)
	v_mad_u64_u32 v[17:18], null, s4, 28, v[13:14]
	v_ashrrev_i32_e32 v18, 31, v17
	s_delay_alu instid0(VALU_DEP_1) | instskip(NEXT) | instid1(VALU_DEP_1)
	v_lshlrev_b64 v[17:18], 4, v[17:18]
	v_add_co_u32 v17, vcc_lo, s2, v17
	s_delay_alu instid0(VALU_DEP_2)
	v_add_co_ci_u32_e32 v18, vcc_lo, s3, v18, vcc_lo
	v_add_co_u32 v14, vcc_lo, 0x1880, v14
	v_add_co_ci_u32_e32 v15, vcc_lo, 0, v15, vcc_lo
	global_load_b128 v[17:20], v[17:18], off
	s_waitcnt vmcnt(1)
	v_cvt_f64_f32_e32 v[23:24], v21
	v_cvt_f64_f32_e32 v[21:22], v22
	s_waitcnt vmcnt(0)
	s_delay_alu instid0(VALU_DEP_2) | instskip(NEXT) | instid1(VALU_DEP_2)
	v_fma_f64 v[0:1], v[23:24], v[17:18], v[0:1]
	v_fma_f64 v[2:3], v[21:22], v[17:18], v[2:3]
	s_delay_alu instid0(VALU_DEP_2) | instskip(NEXT) | instid1(VALU_DEP_2)
	v_fma_f64 v[0:1], -v[21:22], v[19:20], v[0:1]
	v_fma_f64 v[2:3], v[23:24], v[19:20], v[2:3]
	s_branch .LBB555_11
.LBB555_14:
	s_set_inst_prefetch_distance 0x2
	v_lshlrev_b32_e32 v17, 4, v4
	s_and_b32 vcc_lo, exec_lo, s20
	ds_store_b128 v17, v[0:3]
	s_waitcnt vmcnt(0) lgkmcnt(0)
	s_barrier
	buffer_gl0_inv
	s_cbranch_vccz .LBB555_26
; %bb.15:
	s_mov_b32 s0, exec_lo
	v_cmpx_gt_u16_e32 12, v16
	s_cbranch_execz .LBB555_17
; %bb.16:
	ds_load_b128 v[18:21], v17 offset:256
	ds_load_b128 v[22:25], v17
	s_waitcnt lgkmcnt(0)
	v_add_f64 v[18:19], v[18:19], v[22:23]
	v_add_f64 v[20:21], v[20:21], v[24:25]
	ds_store_b128 v17, v[18:21]
.LBB555_17:
	s_or_b32 exec_lo, exec_lo, s0
	s_delay_alu instid0(SALU_CYCLE_1)
	s_mov_b32 s0, exec_lo
	s_waitcnt lgkmcnt(0)
	s_barrier
	buffer_gl0_inv
	v_cmpx_gt_u16_e32 8, v16
	s_cbranch_execz .LBB555_19
; %bb.18:
	ds_load_b128 v[18:21], v17 offset:128
	ds_load_b128 v[22:25], v17
	s_waitcnt lgkmcnt(0)
	v_add_f64 v[18:19], v[18:19], v[22:23]
	v_add_f64 v[20:21], v[20:21], v[24:25]
	ds_store_b128 v17, v[18:21]
.LBB555_19:
	s_or_b32 exec_lo, exec_lo, s0
	s_delay_alu instid0(SALU_CYCLE_1)
	s_mov_b32 s0, exec_lo
	s_waitcnt lgkmcnt(0)
	s_barrier
	buffer_gl0_inv
	;; [unrolled: 16-line block ×3, first 2 shown]
	v_cmpx_gt_u16_e32 2, v16
	s_cbranch_execz .LBB555_23
; %bb.22:
	ds_load_b128 v[13:16], v17
	ds_load_b128 v[18:21], v17 offset:32
	s_waitcnt lgkmcnt(0)
	v_add_f64 v[13:14], v[18:19], v[13:14]
	v_add_f64 v[15:16], v[20:21], v[15:16]
	ds_store_b128 v17, v[13:16]
.LBB555_23:
	s_or_b32 exec_lo, exec_lo, s0
	v_dual_mov_b32 v16, v3 :: v_dual_mov_b32 v15, v2
	v_dual_mov_b32 v14, v1 :: v_dual_mov_b32 v13, v0
	s_mov_b32 s0, exec_lo
	s_waitcnt lgkmcnt(0)
	s_barrier
	buffer_gl0_inv
	v_cmpx_gt_u32_e32 28, v4
	s_cbranch_execz .LBB555_25
; %bb.24:
	v_mul_u32_u24_e32 v13, 28, v4
	s_delay_alu instid0(VALU_DEP_1)
	v_lshlrev_b32_e32 v18, 4, v13
	ds_load_b128 v[13:16], v18
	ds_load_b128 v[18:21], v18 offset:16
	s_waitcnt lgkmcnt(0)
	v_add_f64 v[13:14], v[18:19], v[13:14]
	v_add_f64 v[15:16], v[20:21], v[15:16]
.LBB555_25:
	s_or_b32 exec_lo, exec_lo, s0
	s_branch .LBB555_38
.LBB555_26:
                                        ; implicit-def: $vgpr15_vgpr16
                                        ; implicit-def: $vgpr13_vgpr14
	s_cbranch_execz .LBB555_38
; %bb.27:
	s_mov_b32 s0, exec_lo
	v_cmpx_gt_u32_e32 0x150, v4
	s_cbranch_execz .LBB555_29
; %bb.28:
	ds_load_b128 v[13:16], v17 offset:7168
	ds_load_b128 v[18:21], v17
	s_waitcnt lgkmcnt(0)
	v_add_f64 v[13:14], v[13:14], v[18:19]
	v_add_f64 v[15:16], v[15:16], v[20:21]
	ds_store_b128 v17, v[13:16]
.LBB555_29:
	s_or_b32 exec_lo, exec_lo, s0
	s_delay_alu instid0(SALU_CYCLE_1)
	s_mov_b32 s0, exec_lo
	s_waitcnt lgkmcnt(0)
	s_barrier
	buffer_gl0_inv
	v_cmpx_gt_u32_e32 0xe0, v4
	s_cbranch_execz .LBB555_31
; %bb.30:
	ds_load_b128 v[13:16], v17 offset:3584
	ds_load_b128 v[18:21], v17
	s_waitcnt lgkmcnt(0)
	v_add_f64 v[13:14], v[13:14], v[18:19]
	v_add_f64 v[15:16], v[15:16], v[20:21]
	ds_store_b128 v17, v[13:16]
.LBB555_31:
	s_or_b32 exec_lo, exec_lo, s0
	s_delay_alu instid0(SALU_CYCLE_1)
	s_mov_b32 s0, exec_lo
	s_waitcnt lgkmcnt(0)
	s_barrier
	buffer_gl0_inv
	;; [unrolled: 16-line block ×3, first 2 shown]
	v_cmpx_gt_u32_e32 56, v4
	s_cbranch_execz .LBB555_35
; %bb.34:
	ds_load_b128 v[13:16], v17 offset:896
	ds_load_b128 v[18:21], v17
	s_waitcnt lgkmcnt(0)
	v_add_f64 v[13:14], v[13:14], v[18:19]
	v_add_f64 v[15:16], v[15:16], v[20:21]
	ds_store_b128 v17, v[13:16]
.LBB555_35:
	s_or_b32 exec_lo, exec_lo, s0
	s_delay_alu instid0(SALU_CYCLE_1)
	s_mov_b32 s0, exec_lo
	s_waitcnt lgkmcnt(0)
	buffer_gl0_inv
	v_cmpx_gt_u32_e32 28, v4
	s_cbranch_execz .LBB555_37
; %bb.36:
	ds_load_b128 v[0:3], v17 offset:448
	ds_load_b128 v[13:16], v17
	s_waitcnt lgkmcnt(0)
	v_add_f64 v[0:1], v[0:1], v[13:14]
	v_add_f64 v[2:3], v[2:3], v[15:16]
.LBB555_37:
	s_or_b32 exec_lo, exec_lo, s0
	s_delay_alu instid0(VALU_DEP_1) | instskip(NEXT) | instid1(VALU_DEP_3)
	v_dual_mov_b32 v16, v3 :: v_dual_mov_b32 v15, v2
	v_dual_mov_b32 v14, v1 :: v_dual_mov_b32 v13, v0
.LBB555_38:
	v_cmp_gt_u32_e32 vcc_lo, 28, v4
	s_and_b32 exec_lo, exec_lo, vcc_lo
	s_cbranch_execz .LBB555_43
; %bb.39:
	s_delay_alu instid0(VALU_DEP_2) | instskip(SKIP_3) | instid1(VALU_DEP_4)
	v_mul_f64 v[0:1], v[15:16], -v[11:12]
	v_mul_f64 v[2:3], v[9:10], v[15:16]
	v_cmp_eq_f64_e32 vcc_lo, 0, v[5:6]
	v_cmp_eq_f64_e64 s0, 0, v[7:8]
	v_fma_f64 v[0:1], v[9:10], v[13:14], v[0:1]
	s_delay_alu instid0(VALU_DEP_4) | instskip(NEXT) | instid1(VALU_DEP_3)
	v_fma_f64 v[2:3], v[11:12], v[13:14], v[2:3]
	s_and_b32 s0, vcc_lo, s0
	s_delay_alu instid0(SALU_CYCLE_1) | instskip(NEXT) | instid1(SALU_CYCLE_1)
	s_and_saveexec_b32 s1, s0
	s_xor_b32 s0, exec_lo, s1
	s_cbranch_execz .LBB555_41
; %bb.40:
	v_mad_u64_u32 v[5:6], null, s12, 28, v[4:5]
	v_mov_b32_e32 v6, 0
                                        ; implicit-def: $vgpr7_vgpr8
	s_delay_alu instid0(VALU_DEP_1) | instskip(NEXT) | instid1(VALU_DEP_1)
	v_lshlrev_b64 v[4:5], 4, v[5:6]
	v_add_co_u32 v4, vcc_lo, s8, v4
	s_delay_alu instid0(VALU_DEP_2)
	v_add_co_ci_u32_e32 v5, vcc_lo, s9, v5, vcc_lo
	global_store_b128 v[4:5], v[0:3], off
                                        ; implicit-def: $vgpr4
                                        ; implicit-def: $vgpr5_vgpr6
                                        ; implicit-def: $vgpr0_vgpr1
.LBB555_41:
	s_and_not1_saveexec_b32 s0, s0
	s_cbranch_execz .LBB555_43
; %bb.42:
	v_mad_u64_u32 v[9:10], null, s12, 28, v[4:5]
	v_mov_b32_e32 v10, 0
	s_delay_alu instid0(VALU_DEP_1) | instskip(NEXT) | instid1(VALU_DEP_1)
	v_lshlrev_b64 v[9:10], 4, v[9:10]
	v_add_co_u32 v13, vcc_lo, s8, v9
	s_delay_alu instid0(VALU_DEP_2) | instskip(SKIP_4) | instid1(VALU_DEP_2)
	v_add_co_ci_u32_e32 v14, vcc_lo, s9, v10, vcc_lo
	global_load_b128 v[9:12], v[13:14], off
	s_waitcnt vmcnt(0)
	v_fma_f64 v[0:1], v[5:6], v[9:10], v[0:1]
	v_fma_f64 v[2:3], v[7:8], v[9:10], v[2:3]
	v_fma_f64 v[0:1], -v[7:8], v[11:12], v[0:1]
	s_delay_alu instid0(VALU_DEP_2)
	v_fma_f64 v[2:3], v[5:6], v[11:12], v[2:3]
	global_store_b128 v[13:14], v[0:3], off
.LBB555_43:
	s_nop 0
	s_sendmsg sendmsg(MSG_DEALLOC_VGPRS)
	s_endpgm
	.section	.rodata,"a",@progbits
	.p2align	6, 0x0
	.amdhsa_kernel _ZN9rocsparseL20bsrxmvn_17_32_kernelILj28E21rocsparse_complex_numIdEliS1_IfES2_S2_EEvT2_20rocsparse_direction_NS_24const_host_device_scalarIT0_EES4_PKS4_PKT1_SD_SA_PKT3_PKT4_S8_PT5_21rocsparse_index_base_b
		.amdhsa_group_segment_fixed_size 25088
		.amdhsa_private_segment_fixed_size 0
		.amdhsa_kernarg_size 112
		.amdhsa_user_sgpr_count 15
		.amdhsa_user_sgpr_dispatch_ptr 1
		.amdhsa_user_sgpr_queue_ptr 0
		.amdhsa_user_sgpr_kernarg_segment_ptr 1
		.amdhsa_user_sgpr_dispatch_id 0
		.amdhsa_user_sgpr_private_segment_size 0
		.amdhsa_wavefront_size32 1
		.amdhsa_uses_dynamic_stack 0
		.amdhsa_enable_private_segment 0
		.amdhsa_system_sgpr_workgroup_id_x 1
		.amdhsa_system_sgpr_workgroup_id_y 0
		.amdhsa_system_sgpr_workgroup_id_z 0
		.amdhsa_system_sgpr_workgroup_info 0
		.amdhsa_system_vgpr_workitem_id 2
		.amdhsa_next_free_vgpr 26
		.amdhsa_next_free_sgpr 22
		.amdhsa_reserve_vcc 1
		.amdhsa_float_round_mode_32 0
		.amdhsa_float_round_mode_16_64 0
		.amdhsa_float_denorm_mode_32 3
		.amdhsa_float_denorm_mode_16_64 3
		.amdhsa_dx10_clamp 1
		.amdhsa_ieee_mode 1
		.amdhsa_fp16_overflow 0
		.amdhsa_workgroup_processor_mode 1
		.amdhsa_memory_ordered 1
		.amdhsa_forward_progress 0
		.amdhsa_shared_vgpr_count 0
		.amdhsa_exception_fp_ieee_invalid_op 0
		.amdhsa_exception_fp_denorm_src 0
		.amdhsa_exception_fp_ieee_div_zero 0
		.amdhsa_exception_fp_ieee_overflow 0
		.amdhsa_exception_fp_ieee_underflow 0
		.amdhsa_exception_fp_ieee_inexact 0
		.amdhsa_exception_int_div_zero 0
	.end_amdhsa_kernel
	.section	.text._ZN9rocsparseL20bsrxmvn_17_32_kernelILj28E21rocsparse_complex_numIdEliS1_IfES2_S2_EEvT2_20rocsparse_direction_NS_24const_host_device_scalarIT0_EES4_PKS4_PKT1_SD_SA_PKT3_PKT4_S8_PT5_21rocsparse_index_base_b,"axG",@progbits,_ZN9rocsparseL20bsrxmvn_17_32_kernelILj28E21rocsparse_complex_numIdEliS1_IfES2_S2_EEvT2_20rocsparse_direction_NS_24const_host_device_scalarIT0_EES4_PKS4_PKT1_SD_SA_PKT3_PKT4_S8_PT5_21rocsparse_index_base_b,comdat
.Lfunc_end555:
	.size	_ZN9rocsparseL20bsrxmvn_17_32_kernelILj28E21rocsparse_complex_numIdEliS1_IfES2_S2_EEvT2_20rocsparse_direction_NS_24const_host_device_scalarIT0_EES4_PKS4_PKT1_SD_SA_PKT3_PKT4_S8_PT5_21rocsparse_index_base_b, .Lfunc_end555-_ZN9rocsparseL20bsrxmvn_17_32_kernelILj28E21rocsparse_complex_numIdEliS1_IfES2_S2_EEvT2_20rocsparse_direction_NS_24const_host_device_scalarIT0_EES4_PKS4_PKT1_SD_SA_PKT3_PKT4_S8_PT5_21rocsparse_index_base_b
                                        ; -- End function
	.section	.AMDGPU.csdata,"",@progbits
; Kernel info:
; codeLenInByte = 2084
; NumSgprs: 24
; NumVgprs: 26
; ScratchSize: 0
; MemoryBound: 0
; FloatMode: 240
; IeeeMode: 1
; LDSByteSize: 25088 bytes/workgroup (compile time only)
; SGPRBlocks: 2
; VGPRBlocks: 3
; NumSGPRsForWavesPerEU: 24
; NumVGPRsForWavesPerEU: 26
; Occupancy: 13
; WaveLimiterHint : 1
; COMPUTE_PGM_RSRC2:SCRATCH_EN: 0
; COMPUTE_PGM_RSRC2:USER_SGPR: 15
; COMPUTE_PGM_RSRC2:TRAP_HANDLER: 0
; COMPUTE_PGM_RSRC2:TGID_X_EN: 1
; COMPUTE_PGM_RSRC2:TGID_Y_EN: 0
; COMPUTE_PGM_RSRC2:TGID_Z_EN: 0
; COMPUTE_PGM_RSRC2:TIDIG_COMP_CNT: 2
	.section	.text._ZN9rocsparseL20bsrxmvn_17_32_kernelILj29E21rocsparse_complex_numIdEliS1_IfES2_S2_EEvT2_20rocsparse_direction_NS_24const_host_device_scalarIT0_EES4_PKS4_PKT1_SD_SA_PKT3_PKT4_S8_PT5_21rocsparse_index_base_b,"axG",@progbits,_ZN9rocsparseL20bsrxmvn_17_32_kernelILj29E21rocsparse_complex_numIdEliS1_IfES2_S2_EEvT2_20rocsparse_direction_NS_24const_host_device_scalarIT0_EES4_PKS4_PKT1_SD_SA_PKT3_PKT4_S8_PT5_21rocsparse_index_base_b,comdat
	.globl	_ZN9rocsparseL20bsrxmvn_17_32_kernelILj29E21rocsparse_complex_numIdEliS1_IfES2_S2_EEvT2_20rocsparse_direction_NS_24const_host_device_scalarIT0_EES4_PKS4_PKT1_SD_SA_PKT3_PKT4_S8_PT5_21rocsparse_index_base_b ; -- Begin function _ZN9rocsparseL20bsrxmvn_17_32_kernelILj29E21rocsparse_complex_numIdEliS1_IfES2_S2_EEvT2_20rocsparse_direction_NS_24const_host_device_scalarIT0_EES4_PKS4_PKT1_SD_SA_PKT3_PKT4_S8_PT5_21rocsparse_index_base_b
	.p2align	8
	.type	_ZN9rocsparseL20bsrxmvn_17_32_kernelILj29E21rocsparse_complex_numIdEliS1_IfES2_S2_EEvT2_20rocsparse_direction_NS_24const_host_device_scalarIT0_EES4_PKS4_PKT1_SD_SA_PKT3_PKT4_S8_PT5_21rocsparse_index_base_b,@function
_ZN9rocsparseL20bsrxmvn_17_32_kernelILj29E21rocsparse_complex_numIdEliS1_IfES2_S2_EEvT2_20rocsparse_direction_NS_24const_host_device_scalarIT0_EES4_PKS4_PKT1_SD_SA_PKT3_PKT4_S8_PT5_21rocsparse_index_base_b: ; @_ZN9rocsparseL20bsrxmvn_17_32_kernelILj29E21rocsparse_complex_numIdEliS1_IfES2_S2_EEvT2_20rocsparse_direction_NS_24const_host_device_scalarIT0_EES4_PKS4_PKT1_SD_SA_PKT3_PKT4_S8_PT5_21rocsparse_index_base_b
; %bb.0:
	s_mov_b32 s12, s15
	s_clause 0x1
	s_load_b64 s[14:15], s[2:3], 0x68
	s_load_b128 s[4:7], s[2:3], 0x8
	s_load_b64 s[16:17], s[0:1], 0x4
	s_mov_b64 s[0:1], src_shared_base
	v_and_b32_e32 v4, 0x3ff, v0
	s_load_b128 s[8:11], s[2:3], 0x50
	v_bfe_u32 v2, v0, 10, 10
	v_bfe_u32 v0, v0, 20, 10
	s_waitcnt lgkmcnt(0)
	s_bitcmp1_b32 s15, 0
	v_mov_b32_e32 v12, s7
	s_cselect_b32 s0, -1, 0
	v_mov_b32_e32 v11, s6
	s_and_b32 vcc_lo, s0, exec_lo
	s_cselect_b32 s13, s1, s5
	s_lshr_b32 s15, s16, 16
	v_mov_b32_e32 v6, s13
	s_mul_i32 s15, s15, s17
	s_xor_b32 s6, s0, -1
	v_mul_lo_u32 v1, s15, v4
	s_delay_alu instid0(VALU_DEP_1) | instskip(SKIP_1) | instid1(VALU_DEP_2)
	v_mad_u32_u24 v1, v2, s17, v1
	v_dual_mov_b32 v2, s8 :: v_dual_mov_b32 v3, s9
	v_add_lshl_u32 v7, v1, v0, 3
	v_dual_mov_b32 v0, s4 :: v_dual_mov_b32 v1, s5
	ds_store_b64 v7, v[0:1] offset:20184
	ds_store_b64 v7, v[2:3] offset:13456
	v_add_nc_u32_e32 v5, 0x4ed8, v7
	v_add_nc_u32_e32 v0, 0x3490, v7
	s_delay_alu instid0(VALU_DEP_2)
	v_cndmask_b32_e64 v5, s4, v5, s0
	flat_load_b64 v[9:10], v[5:6]
	s_cbranch_vccnz .LBB556_2
; %bb.1:
	v_dual_mov_b32 v1, s4 :: v_dual_mov_b32 v2, s5
	flat_load_b64 v[11:12], v[1:2] offset:8
.LBB556_2:
	s_and_b32 s4, s0, exec_lo
	s_cselect_b32 s1, s1, s9
	v_cndmask_b32_e64 v0, s8, v0, s0
	v_mov_b32_e32 v1, s1
	v_dual_mov_b32 v7, s10 :: v_dual_mov_b32 v8, s11
	s_and_not1_b32 vcc_lo, exec_lo, s6
	flat_load_b64 v[5:6], v[0:1]
	s_cbranch_vccnz .LBB556_4
; %bb.3:
	v_dual_mov_b32 v0, s8 :: v_dual_mov_b32 v1, s9
	flat_load_b64 v[7:8], v[0:1] offset:8
.LBB556_4:
	s_waitcnt vmcnt(1) lgkmcnt(1)
	v_cmp_eq_f64_e32 vcc_lo, 0, v[9:10]
	v_cmp_eq_f64_e64 s0, 0, v[11:12]
	s_delay_alu instid0(VALU_DEP_1)
	s_and_b32 s4, vcc_lo, s0
	s_mov_b32 s0, -1
	s_and_saveexec_b32 s1, s4
	s_cbranch_execz .LBB556_6
; %bb.5:
	s_waitcnt vmcnt(0) lgkmcnt(0)
	v_cmp_neq_f64_e32 vcc_lo, 1.0, v[5:6]
	v_cmp_neq_f64_e64 s0, 0, v[7:8]
	s_delay_alu instid0(VALU_DEP_1) | instskip(NEXT) | instid1(SALU_CYCLE_1)
	s_or_b32 s0, vcc_lo, s0
	s_or_not1_b32 s0, s0, exec_lo
.LBB556_6:
	s_or_b32 exec_lo, exec_lo, s1
	s_and_saveexec_b32 s1, s0
	s_cbranch_execz .LBB556_43
; %bb.7:
	s_clause 0x1
	s_load_b128 s[4:7], s[2:3], 0x20
	s_load_b64 s[8:9], s[2:3], 0x30
	s_waitcnt lgkmcnt(0)
	s_cmp_eq_u64 s[4:5], 0
	s_cbranch_scc1 .LBB556_9
; %bb.8:
	s_ashr_i32 s13, s12, 31
	s_delay_alu instid0(SALU_CYCLE_1) | instskip(NEXT) | instid1(SALU_CYCLE_1)
	s_lshl_b64 s[0:1], s[12:13], 2
	s_add_u32 s0, s4, s0
	s_addc_u32 s1, s5, s1
	s_load_b32 s0, s[0:1], 0x0
	s_waitcnt lgkmcnt(0)
	s_sub_i32 s12, s0, s14
.LBB556_9:
	s_load_b32 s1, s[2:3], 0x4
	v_mul_u32_u24_e32 v0, 0x8d4, v4
	v_mov_b32_e32 v2, 0
	v_mov_b32_e32 v3, 0
	s_delay_alu instid0(VALU_DEP_3) | instskip(NEXT) | instid1(VALU_DEP_1)
	v_lshrrev_b32_e32 v13, 16, v0
	v_mul_lo_u16 v0, v13, 29
	s_delay_alu instid0(VALU_DEP_1) | instskip(NEXT) | instid1(VALU_DEP_4)
	v_sub_nc_u16 v16, v4, v0
	v_dual_mov_b32 v0, v2 :: v_dual_mov_b32 v1, v3
	s_waitcnt lgkmcnt(0)
	s_cmp_eq_u32 s1, 1
	s_cselect_b32 s0, -1, 0
	s_cmp_lg_u32 s1, 1
	s_cselect_b32 s20, -1, 0
	s_ashr_i32 s13, s12, 31
	s_delay_alu instid0(SALU_CYCLE_1) | instskip(NEXT) | instid1(SALU_CYCLE_1)
	s_lshl_b64 s[4:5], s[12:13], 3
	s_add_u32 s6, s6, s4
	s_addc_u32 s7, s7, s5
	s_add_u32 s1, s6, 8
	s_addc_u32 s10, s7, 0
	;; [unrolled: 2-line block ×3, first 2 shown]
	s_cmp_eq_u64 s[8:9], 0
	s_load_b64 s[8:9], s[2:3], 0x60
	s_cselect_b32 s5, s10, s5
	s_cselect_b32 s4, s1, s4
	s_load_b64 s[18:19], s[6:7], 0x0
	s_load_b64 s[10:11], s[4:5], 0x0
	s_waitcnt lgkmcnt(0)
	v_cmp_ge_i64_e64 s1, s[18:19], s[10:11]
	s_delay_alu instid0(VALU_DEP_1)
	s_and_b32 vcc_lo, exec_lo, s1
	s_cbranch_vccnz .LBB556_14
; %bb.10:
	s_clause 0x1
	s_load_b128 s[4:7], s[2:3], 0x38
	s_load_b64 s[2:3], s[2:3], 0x48
	s_sub_u32 s10, s10, s14
	s_subb_u32 s11, s11, 0
	s_sub_u32 s16, s18, s14
	s_subb_u32 s17, s19, 0
	v_and_b32_e32 v0, 0xffff, v16
	v_dual_mov_b32 v2, 0 :: v_dual_and_b32 v1, 0xffff, v13
	v_dual_mov_b32 v3, 0 :: v_dual_lshlrev_b32 v14, 3, v4
	s_mul_hi_u32 s1, s16, 0x1a48
	s_mul_i32 s21, s17, 0x1a48
	s_mul_i32 s13, s16, 0x1a48
	s_add_i32 s1, s1, s21
	s_mov_b32 s15, 0
	v_cndmask_b32_e64 v13, v0, v1, s0
	v_dual_mov_b32 v0, v2 :: v_dual_mov_b32 v1, v3
	s_waitcnt lgkmcnt(0)
	s_add_u32 s13, s6, s13
	s_addc_u32 s21, s7, s1
	s_lshl_b64 s[0:1], s[18:19], 2
	s_lshl_b64 s[6:7], s[14:15], 2
	v_add_co_u32 v14, s13, s13, v14
	s_delay_alu instid0(VALU_DEP_1)
	v_add_co_ci_u32_e64 v15, null, s21, 0, s13
	s_sub_u32 s0, s0, s6
	s_subb_u32 s1, s1, s7
	s_add_u32 s0, s4, s0
	s_addc_u32 s1, s5, s1
	s_set_inst_prefetch_distance 0x1
	s_branch .LBB556_12
	.p2align	6
.LBB556_11:                             ;   in Loop: Header=BB556_12 Depth=1
	s_add_u32 s16, s16, 1
	s_addc_u32 s17, s17, 0
	s_add_u32 s0, s0, 4
	v_cmp_lt_i64_e64 s4, s[16:17], s[10:11]
	s_addc_u32 s1, s1, 0
	s_delay_alu instid0(VALU_DEP_1)
	s_and_b32 vcc_lo, exec_lo, s4
	s_cbranch_vccz .LBB556_14
.LBB556_12:                             ; =>This Inner Loop Header: Depth=1
	v_cmp_ge_i64_e64 s4, s[16:17], s[10:11]
	s_delay_alu instid0(VALU_DEP_1)
	s_and_b32 vcc_lo, exec_lo, s4
	s_cbranch_vccnz .LBB556_11
; %bb.13:                               ;   in Loop: Header=BB556_12 Depth=1
	s_load_b32 s4, s[0:1], 0x0
	global_load_b64 v[21:22], v[14:15], off
	s_waitcnt lgkmcnt(0)
	s_sub_i32 s4, s4, s14
	s_delay_alu instid0(SALU_CYCLE_1) | instskip(NEXT) | instid1(VALU_DEP_1)
	v_mad_u64_u32 v[17:18], null, s4, 29, v[13:14]
	v_ashrrev_i32_e32 v18, 31, v17
	s_delay_alu instid0(VALU_DEP_1) | instskip(NEXT) | instid1(VALU_DEP_1)
	v_lshlrev_b64 v[17:18], 4, v[17:18]
	v_add_co_u32 v17, vcc_lo, s2, v17
	s_delay_alu instid0(VALU_DEP_2)
	v_add_co_ci_u32_e32 v18, vcc_lo, s3, v18, vcc_lo
	v_add_co_u32 v14, vcc_lo, 0x1a48, v14
	v_add_co_ci_u32_e32 v15, vcc_lo, 0, v15, vcc_lo
	global_load_b128 v[17:20], v[17:18], off
	s_waitcnt vmcnt(1)
	v_cvt_f64_f32_e32 v[23:24], v21
	v_cvt_f64_f32_e32 v[21:22], v22
	s_waitcnt vmcnt(0)
	s_delay_alu instid0(VALU_DEP_2) | instskip(NEXT) | instid1(VALU_DEP_2)
	v_fma_f64 v[0:1], v[23:24], v[17:18], v[0:1]
	v_fma_f64 v[2:3], v[21:22], v[17:18], v[2:3]
	s_delay_alu instid0(VALU_DEP_2) | instskip(NEXT) | instid1(VALU_DEP_2)
	v_fma_f64 v[0:1], -v[21:22], v[19:20], v[0:1]
	v_fma_f64 v[2:3], v[23:24], v[19:20], v[2:3]
	s_branch .LBB556_11
.LBB556_14:
	s_set_inst_prefetch_distance 0x2
	v_lshlrev_b32_e32 v17, 4, v4
	s_and_b32 vcc_lo, exec_lo, s20
	ds_store_b128 v17, v[0:3]
	s_waitcnt vmcnt(0) lgkmcnt(0)
	s_barrier
	buffer_gl0_inv
	s_cbranch_vccz .LBB556_26
; %bb.15:
	s_mov_b32 s0, exec_lo
	v_cmpx_gt_u16_e32 13, v16
	s_cbranch_execz .LBB556_17
; %bb.16:
	ds_load_b128 v[18:21], v17 offset:256
	ds_load_b128 v[22:25], v17
	s_waitcnt lgkmcnt(0)
	v_add_f64 v[18:19], v[18:19], v[22:23]
	v_add_f64 v[20:21], v[20:21], v[24:25]
	ds_store_b128 v17, v[18:21]
.LBB556_17:
	s_or_b32 exec_lo, exec_lo, s0
	s_delay_alu instid0(SALU_CYCLE_1)
	s_mov_b32 s0, exec_lo
	s_waitcnt lgkmcnt(0)
	s_barrier
	buffer_gl0_inv
	v_cmpx_gt_u16_e32 8, v16
	s_cbranch_execz .LBB556_19
; %bb.18:
	ds_load_b128 v[18:21], v17 offset:128
	ds_load_b128 v[22:25], v17
	s_waitcnt lgkmcnt(0)
	v_add_f64 v[18:19], v[18:19], v[22:23]
	v_add_f64 v[20:21], v[20:21], v[24:25]
	ds_store_b128 v17, v[18:21]
.LBB556_19:
	s_or_b32 exec_lo, exec_lo, s0
	s_delay_alu instid0(SALU_CYCLE_1)
	s_mov_b32 s0, exec_lo
	s_waitcnt lgkmcnt(0)
	s_barrier
	buffer_gl0_inv
	;; [unrolled: 16-line block ×3, first 2 shown]
	v_cmpx_gt_u16_e32 2, v16
	s_cbranch_execz .LBB556_23
; %bb.22:
	ds_load_b128 v[13:16], v17
	ds_load_b128 v[18:21], v17 offset:32
	s_waitcnt lgkmcnt(0)
	v_add_f64 v[13:14], v[18:19], v[13:14]
	v_add_f64 v[15:16], v[20:21], v[15:16]
	ds_store_b128 v17, v[13:16]
.LBB556_23:
	s_or_b32 exec_lo, exec_lo, s0
	v_dual_mov_b32 v16, v3 :: v_dual_mov_b32 v15, v2
	v_dual_mov_b32 v14, v1 :: v_dual_mov_b32 v13, v0
	s_mov_b32 s0, exec_lo
	s_waitcnt lgkmcnt(0)
	s_barrier
	buffer_gl0_inv
	v_cmpx_gt_u32_e32 29, v4
	s_cbranch_execz .LBB556_25
; %bb.24:
	v_mul_u32_u24_e32 v13, 29, v4
	s_delay_alu instid0(VALU_DEP_1)
	v_lshlrev_b32_e32 v18, 4, v13
	ds_load_b128 v[13:16], v18
	ds_load_b128 v[18:21], v18 offset:16
	s_waitcnt lgkmcnt(0)
	v_add_f64 v[13:14], v[18:19], v[13:14]
	v_add_f64 v[15:16], v[20:21], v[15:16]
.LBB556_25:
	s_or_b32 exec_lo, exec_lo, s0
	s_branch .LBB556_38
.LBB556_26:
                                        ; implicit-def: $vgpr15_vgpr16
                                        ; implicit-def: $vgpr13_vgpr14
	s_cbranch_execz .LBB556_38
; %bb.27:
	s_mov_b32 s0, exec_lo
	v_cmpx_gt_u32_e32 0x179, v4
	s_cbranch_execz .LBB556_29
; %bb.28:
	ds_load_b128 v[13:16], v17 offset:7424
	ds_load_b128 v[18:21], v17
	s_waitcnt lgkmcnt(0)
	v_add_f64 v[13:14], v[13:14], v[18:19]
	v_add_f64 v[15:16], v[15:16], v[20:21]
	ds_store_b128 v17, v[13:16]
.LBB556_29:
	s_or_b32 exec_lo, exec_lo, s0
	s_delay_alu instid0(SALU_CYCLE_1)
	s_mov_b32 s0, exec_lo
	s_waitcnt lgkmcnt(0)
	s_barrier
	buffer_gl0_inv
	v_cmpx_gt_u32_e32 0xe8, v4
	s_cbranch_execz .LBB556_31
; %bb.30:
	ds_load_b128 v[13:16], v17 offset:3712
	ds_load_b128 v[18:21], v17
	s_waitcnt lgkmcnt(0)
	v_add_f64 v[13:14], v[13:14], v[18:19]
	v_add_f64 v[15:16], v[15:16], v[20:21]
	ds_store_b128 v17, v[13:16]
.LBB556_31:
	s_or_b32 exec_lo, exec_lo, s0
	s_delay_alu instid0(SALU_CYCLE_1)
	s_mov_b32 s0, exec_lo
	s_waitcnt lgkmcnt(0)
	s_barrier
	buffer_gl0_inv
	v_cmpx_gt_u32_e32 0x74, v4
	s_cbranch_execz .LBB556_33
; %bb.32:
	ds_load_b128 v[13:16], v17 offset:1856
	ds_load_b128 v[18:21], v17
	s_waitcnt lgkmcnt(0)
	v_add_f64 v[13:14], v[13:14], v[18:19]
	v_add_f64 v[15:16], v[15:16], v[20:21]
	ds_store_b128 v17, v[13:16]
.LBB556_33:
	s_or_b32 exec_lo, exec_lo, s0
	s_delay_alu instid0(SALU_CYCLE_1)
	s_mov_b32 s0, exec_lo
	s_waitcnt lgkmcnt(0)
	s_barrier
	buffer_gl0_inv
	v_cmpx_gt_u32_e32 58, v4
	s_cbranch_execz .LBB556_35
; %bb.34:
	ds_load_b128 v[13:16], v17 offset:928
	ds_load_b128 v[18:21], v17
	s_waitcnt lgkmcnt(0)
	v_add_f64 v[13:14], v[13:14], v[18:19]
	v_add_f64 v[15:16], v[15:16], v[20:21]
	ds_store_b128 v17, v[13:16]
.LBB556_35:
	s_or_b32 exec_lo, exec_lo, s0
	s_delay_alu instid0(SALU_CYCLE_1)
	s_mov_b32 s0, exec_lo
	s_waitcnt lgkmcnt(0)
	buffer_gl0_inv
	v_cmpx_gt_u32_e32 29, v4
	s_cbranch_execz .LBB556_37
; %bb.36:
	ds_load_b128 v[0:3], v17 offset:464
	ds_load_b128 v[13:16], v17
	s_waitcnt lgkmcnt(0)
	v_add_f64 v[0:1], v[0:1], v[13:14]
	v_add_f64 v[2:3], v[2:3], v[15:16]
.LBB556_37:
	s_or_b32 exec_lo, exec_lo, s0
	s_delay_alu instid0(VALU_DEP_1) | instskip(NEXT) | instid1(VALU_DEP_3)
	v_dual_mov_b32 v16, v3 :: v_dual_mov_b32 v15, v2
	v_dual_mov_b32 v14, v1 :: v_dual_mov_b32 v13, v0
.LBB556_38:
	v_cmp_gt_u32_e32 vcc_lo, 29, v4
	s_and_b32 exec_lo, exec_lo, vcc_lo
	s_cbranch_execz .LBB556_43
; %bb.39:
	s_delay_alu instid0(VALU_DEP_2) | instskip(SKIP_3) | instid1(VALU_DEP_4)
	v_mul_f64 v[0:1], v[15:16], -v[11:12]
	v_mul_f64 v[2:3], v[9:10], v[15:16]
	v_cmp_eq_f64_e32 vcc_lo, 0, v[5:6]
	v_cmp_eq_f64_e64 s0, 0, v[7:8]
	v_fma_f64 v[0:1], v[9:10], v[13:14], v[0:1]
	s_delay_alu instid0(VALU_DEP_4) | instskip(NEXT) | instid1(VALU_DEP_3)
	v_fma_f64 v[2:3], v[11:12], v[13:14], v[2:3]
	s_and_b32 s0, vcc_lo, s0
	s_delay_alu instid0(SALU_CYCLE_1) | instskip(NEXT) | instid1(SALU_CYCLE_1)
	s_and_saveexec_b32 s1, s0
	s_xor_b32 s0, exec_lo, s1
	s_cbranch_execz .LBB556_41
; %bb.40:
	v_mad_u64_u32 v[5:6], null, s12, 29, v[4:5]
	v_mov_b32_e32 v6, 0
                                        ; implicit-def: $vgpr7_vgpr8
	s_delay_alu instid0(VALU_DEP_1) | instskip(NEXT) | instid1(VALU_DEP_1)
	v_lshlrev_b64 v[4:5], 4, v[5:6]
	v_add_co_u32 v4, vcc_lo, s8, v4
	s_delay_alu instid0(VALU_DEP_2)
	v_add_co_ci_u32_e32 v5, vcc_lo, s9, v5, vcc_lo
	global_store_b128 v[4:5], v[0:3], off
                                        ; implicit-def: $vgpr4
                                        ; implicit-def: $vgpr5_vgpr6
                                        ; implicit-def: $vgpr0_vgpr1
.LBB556_41:
	s_and_not1_saveexec_b32 s0, s0
	s_cbranch_execz .LBB556_43
; %bb.42:
	v_mad_u64_u32 v[9:10], null, s12, 29, v[4:5]
	v_mov_b32_e32 v10, 0
	s_delay_alu instid0(VALU_DEP_1) | instskip(NEXT) | instid1(VALU_DEP_1)
	v_lshlrev_b64 v[9:10], 4, v[9:10]
	v_add_co_u32 v13, vcc_lo, s8, v9
	s_delay_alu instid0(VALU_DEP_2) | instskip(SKIP_4) | instid1(VALU_DEP_2)
	v_add_co_ci_u32_e32 v14, vcc_lo, s9, v10, vcc_lo
	global_load_b128 v[9:12], v[13:14], off
	s_waitcnt vmcnt(0)
	v_fma_f64 v[0:1], v[5:6], v[9:10], v[0:1]
	v_fma_f64 v[2:3], v[7:8], v[9:10], v[2:3]
	v_fma_f64 v[0:1], -v[7:8], v[11:12], v[0:1]
	s_delay_alu instid0(VALU_DEP_2)
	v_fma_f64 v[2:3], v[5:6], v[11:12], v[2:3]
	global_store_b128 v[13:14], v[0:3], off
.LBB556_43:
	s_nop 0
	s_sendmsg sendmsg(MSG_DEALLOC_VGPRS)
	s_endpgm
	.section	.rodata,"a",@progbits
	.p2align	6, 0x0
	.amdhsa_kernel _ZN9rocsparseL20bsrxmvn_17_32_kernelILj29E21rocsparse_complex_numIdEliS1_IfES2_S2_EEvT2_20rocsparse_direction_NS_24const_host_device_scalarIT0_EES4_PKS4_PKT1_SD_SA_PKT3_PKT4_S8_PT5_21rocsparse_index_base_b
		.amdhsa_group_segment_fixed_size 26912
		.amdhsa_private_segment_fixed_size 0
		.amdhsa_kernarg_size 112
		.amdhsa_user_sgpr_count 15
		.amdhsa_user_sgpr_dispatch_ptr 1
		.amdhsa_user_sgpr_queue_ptr 0
		.amdhsa_user_sgpr_kernarg_segment_ptr 1
		.amdhsa_user_sgpr_dispatch_id 0
		.amdhsa_user_sgpr_private_segment_size 0
		.amdhsa_wavefront_size32 1
		.amdhsa_uses_dynamic_stack 0
		.amdhsa_enable_private_segment 0
		.amdhsa_system_sgpr_workgroup_id_x 1
		.amdhsa_system_sgpr_workgroup_id_y 0
		.amdhsa_system_sgpr_workgroup_id_z 0
		.amdhsa_system_sgpr_workgroup_info 0
		.amdhsa_system_vgpr_workitem_id 2
		.amdhsa_next_free_vgpr 26
		.amdhsa_next_free_sgpr 22
		.amdhsa_reserve_vcc 1
		.amdhsa_float_round_mode_32 0
		.amdhsa_float_round_mode_16_64 0
		.amdhsa_float_denorm_mode_32 3
		.amdhsa_float_denorm_mode_16_64 3
		.amdhsa_dx10_clamp 1
		.amdhsa_ieee_mode 1
		.amdhsa_fp16_overflow 0
		.amdhsa_workgroup_processor_mode 1
		.amdhsa_memory_ordered 1
		.amdhsa_forward_progress 0
		.amdhsa_shared_vgpr_count 0
		.amdhsa_exception_fp_ieee_invalid_op 0
		.amdhsa_exception_fp_denorm_src 0
		.amdhsa_exception_fp_ieee_div_zero 0
		.amdhsa_exception_fp_ieee_overflow 0
		.amdhsa_exception_fp_ieee_underflow 0
		.amdhsa_exception_fp_ieee_inexact 0
		.amdhsa_exception_int_div_zero 0
	.end_amdhsa_kernel
	.section	.text._ZN9rocsparseL20bsrxmvn_17_32_kernelILj29E21rocsparse_complex_numIdEliS1_IfES2_S2_EEvT2_20rocsparse_direction_NS_24const_host_device_scalarIT0_EES4_PKS4_PKT1_SD_SA_PKT3_PKT4_S8_PT5_21rocsparse_index_base_b,"axG",@progbits,_ZN9rocsparseL20bsrxmvn_17_32_kernelILj29E21rocsparse_complex_numIdEliS1_IfES2_S2_EEvT2_20rocsparse_direction_NS_24const_host_device_scalarIT0_EES4_PKS4_PKT1_SD_SA_PKT3_PKT4_S8_PT5_21rocsparse_index_base_b,comdat
.Lfunc_end556:
	.size	_ZN9rocsparseL20bsrxmvn_17_32_kernelILj29E21rocsparse_complex_numIdEliS1_IfES2_S2_EEvT2_20rocsparse_direction_NS_24const_host_device_scalarIT0_EES4_PKS4_PKT1_SD_SA_PKT3_PKT4_S8_PT5_21rocsparse_index_base_b, .Lfunc_end556-_ZN9rocsparseL20bsrxmvn_17_32_kernelILj29E21rocsparse_complex_numIdEliS1_IfES2_S2_EEvT2_20rocsparse_direction_NS_24const_host_device_scalarIT0_EES4_PKS4_PKT1_SD_SA_PKT3_PKT4_S8_PT5_21rocsparse_index_base_b
                                        ; -- End function
	.section	.AMDGPU.csdata,"",@progbits
; Kernel info:
; codeLenInByte = 2084
; NumSgprs: 24
; NumVgprs: 26
; ScratchSize: 0
; MemoryBound: 0
; FloatMode: 240
; IeeeMode: 1
; LDSByteSize: 26912 bytes/workgroup (compile time only)
; SGPRBlocks: 2
; VGPRBlocks: 3
; NumSGPRsForWavesPerEU: 24
; NumVGPRsForWavesPerEU: 26
; Occupancy: 14
; WaveLimiterHint : 1
; COMPUTE_PGM_RSRC2:SCRATCH_EN: 0
; COMPUTE_PGM_RSRC2:USER_SGPR: 15
; COMPUTE_PGM_RSRC2:TRAP_HANDLER: 0
; COMPUTE_PGM_RSRC2:TGID_X_EN: 1
; COMPUTE_PGM_RSRC2:TGID_Y_EN: 0
; COMPUTE_PGM_RSRC2:TGID_Z_EN: 0
; COMPUTE_PGM_RSRC2:TIDIG_COMP_CNT: 2
	.section	.text._ZN9rocsparseL20bsrxmvn_17_32_kernelILj30E21rocsparse_complex_numIdEliS1_IfES2_S2_EEvT2_20rocsparse_direction_NS_24const_host_device_scalarIT0_EES4_PKS4_PKT1_SD_SA_PKT3_PKT4_S8_PT5_21rocsparse_index_base_b,"axG",@progbits,_ZN9rocsparseL20bsrxmvn_17_32_kernelILj30E21rocsparse_complex_numIdEliS1_IfES2_S2_EEvT2_20rocsparse_direction_NS_24const_host_device_scalarIT0_EES4_PKS4_PKT1_SD_SA_PKT3_PKT4_S8_PT5_21rocsparse_index_base_b,comdat
	.globl	_ZN9rocsparseL20bsrxmvn_17_32_kernelILj30E21rocsparse_complex_numIdEliS1_IfES2_S2_EEvT2_20rocsparse_direction_NS_24const_host_device_scalarIT0_EES4_PKS4_PKT1_SD_SA_PKT3_PKT4_S8_PT5_21rocsparse_index_base_b ; -- Begin function _ZN9rocsparseL20bsrxmvn_17_32_kernelILj30E21rocsparse_complex_numIdEliS1_IfES2_S2_EEvT2_20rocsparse_direction_NS_24const_host_device_scalarIT0_EES4_PKS4_PKT1_SD_SA_PKT3_PKT4_S8_PT5_21rocsparse_index_base_b
	.p2align	8
	.type	_ZN9rocsparseL20bsrxmvn_17_32_kernelILj30E21rocsparse_complex_numIdEliS1_IfES2_S2_EEvT2_20rocsparse_direction_NS_24const_host_device_scalarIT0_EES4_PKS4_PKT1_SD_SA_PKT3_PKT4_S8_PT5_21rocsparse_index_base_b,@function
_ZN9rocsparseL20bsrxmvn_17_32_kernelILj30E21rocsparse_complex_numIdEliS1_IfES2_S2_EEvT2_20rocsparse_direction_NS_24const_host_device_scalarIT0_EES4_PKS4_PKT1_SD_SA_PKT3_PKT4_S8_PT5_21rocsparse_index_base_b: ; @_ZN9rocsparseL20bsrxmvn_17_32_kernelILj30E21rocsparse_complex_numIdEliS1_IfES2_S2_EEvT2_20rocsparse_direction_NS_24const_host_device_scalarIT0_EES4_PKS4_PKT1_SD_SA_PKT3_PKT4_S8_PT5_21rocsparse_index_base_b
; %bb.0:
	s_mov_b32 s12, s15
	s_clause 0x1
	s_load_b64 s[14:15], s[2:3], 0x68
	s_load_b128 s[4:7], s[2:3], 0x8
	s_load_b64 s[16:17], s[0:1], 0x4
	s_mov_b64 s[0:1], src_shared_base
	v_and_b32_e32 v4, 0x3ff, v0
	s_load_b128 s[8:11], s[2:3], 0x50
	v_bfe_u32 v2, v0, 10, 10
	v_bfe_u32 v0, v0, 20, 10
	s_waitcnt lgkmcnt(0)
	s_bitcmp1_b32 s15, 0
	v_mov_b32_e32 v12, s7
	s_cselect_b32 s0, -1, 0
	v_mov_b32_e32 v11, s6
	s_and_b32 vcc_lo, s0, exec_lo
	s_cselect_b32 s13, s1, s5
	s_lshr_b32 s15, s16, 16
	v_mov_b32_e32 v6, s13
	s_mul_i32 s15, s15, s17
	s_xor_b32 s6, s0, -1
	v_mul_lo_u32 v1, s15, v4
	s_delay_alu instid0(VALU_DEP_1) | instskip(SKIP_1) | instid1(VALU_DEP_2)
	v_mad_u32_u24 v1, v2, s17, v1
	v_dual_mov_b32 v2, s8 :: v_dual_mov_b32 v3, s9
	v_add_lshl_u32 v7, v1, v0, 3
	v_dual_mov_b32 v0, s4 :: v_dual_mov_b32 v1, s5
	ds_store_b64 v7, v[0:1] offset:21600
	ds_store_b64 v7, v[2:3] offset:14400
	v_add_nc_u32_e32 v5, 0x5460, v7
	v_add_nc_u32_e32 v0, 0x3840, v7
	s_delay_alu instid0(VALU_DEP_2)
	v_cndmask_b32_e64 v5, s4, v5, s0
	flat_load_b64 v[9:10], v[5:6]
	s_cbranch_vccnz .LBB557_2
; %bb.1:
	v_dual_mov_b32 v1, s4 :: v_dual_mov_b32 v2, s5
	flat_load_b64 v[11:12], v[1:2] offset:8
.LBB557_2:
	s_and_b32 s4, s0, exec_lo
	s_cselect_b32 s1, s1, s9
	v_cndmask_b32_e64 v0, s8, v0, s0
	v_mov_b32_e32 v1, s1
	v_dual_mov_b32 v7, s10 :: v_dual_mov_b32 v8, s11
	s_and_not1_b32 vcc_lo, exec_lo, s6
	flat_load_b64 v[5:6], v[0:1]
	s_cbranch_vccnz .LBB557_4
; %bb.3:
	v_dual_mov_b32 v0, s8 :: v_dual_mov_b32 v1, s9
	flat_load_b64 v[7:8], v[0:1] offset:8
.LBB557_4:
	s_waitcnt vmcnt(1) lgkmcnt(1)
	v_cmp_eq_f64_e32 vcc_lo, 0, v[9:10]
	v_cmp_eq_f64_e64 s0, 0, v[11:12]
	s_delay_alu instid0(VALU_DEP_1)
	s_and_b32 s4, vcc_lo, s0
	s_mov_b32 s0, -1
	s_and_saveexec_b32 s1, s4
	s_cbranch_execz .LBB557_6
; %bb.5:
	s_waitcnt vmcnt(0) lgkmcnt(0)
	v_cmp_neq_f64_e32 vcc_lo, 1.0, v[5:6]
	v_cmp_neq_f64_e64 s0, 0, v[7:8]
	s_delay_alu instid0(VALU_DEP_1) | instskip(NEXT) | instid1(SALU_CYCLE_1)
	s_or_b32 s0, vcc_lo, s0
	s_or_not1_b32 s0, s0, exec_lo
.LBB557_6:
	s_or_b32 exec_lo, exec_lo, s1
	s_and_saveexec_b32 s1, s0
	s_cbranch_execz .LBB557_43
; %bb.7:
	s_clause 0x1
	s_load_b128 s[4:7], s[2:3], 0x20
	s_load_b64 s[8:9], s[2:3], 0x30
	s_waitcnt lgkmcnt(0)
	s_cmp_eq_u64 s[4:5], 0
	s_cbranch_scc1 .LBB557_9
; %bb.8:
	s_ashr_i32 s13, s12, 31
	s_delay_alu instid0(SALU_CYCLE_1) | instskip(NEXT) | instid1(SALU_CYCLE_1)
	s_lshl_b64 s[0:1], s[12:13], 2
	s_add_u32 s0, s4, s0
	s_addc_u32 s1, s5, s1
	s_load_b32 s0, s[0:1], 0x0
	s_waitcnt lgkmcnt(0)
	s_sub_i32 s12, s0, s14
.LBB557_9:
	s_load_b32 s1, s[2:3], 0x4
	v_mul_u32_u24_e32 v0, 0x889, v4
	v_mov_b32_e32 v2, 0
	v_mov_b32_e32 v3, 0
	s_delay_alu instid0(VALU_DEP_3) | instskip(NEXT) | instid1(VALU_DEP_1)
	v_lshrrev_b32_e32 v13, 16, v0
	v_mul_lo_u16 v0, v13, 30
	s_delay_alu instid0(VALU_DEP_1) | instskip(NEXT) | instid1(VALU_DEP_4)
	v_sub_nc_u16 v16, v4, v0
	v_dual_mov_b32 v0, v2 :: v_dual_mov_b32 v1, v3
	s_waitcnt lgkmcnt(0)
	s_cmp_eq_u32 s1, 1
	s_cselect_b32 s0, -1, 0
	s_cmp_lg_u32 s1, 1
	s_cselect_b32 s20, -1, 0
	s_ashr_i32 s13, s12, 31
	s_delay_alu instid0(SALU_CYCLE_1) | instskip(NEXT) | instid1(SALU_CYCLE_1)
	s_lshl_b64 s[4:5], s[12:13], 3
	s_add_u32 s6, s6, s4
	s_addc_u32 s7, s7, s5
	s_add_u32 s1, s6, 8
	s_addc_u32 s10, s7, 0
	;; [unrolled: 2-line block ×3, first 2 shown]
	s_cmp_eq_u64 s[8:9], 0
	s_load_b64 s[8:9], s[2:3], 0x60
	s_cselect_b32 s5, s10, s5
	s_cselect_b32 s4, s1, s4
	s_load_b64 s[18:19], s[6:7], 0x0
	s_load_b64 s[10:11], s[4:5], 0x0
	s_waitcnt lgkmcnt(0)
	v_cmp_ge_i64_e64 s1, s[18:19], s[10:11]
	s_delay_alu instid0(VALU_DEP_1)
	s_and_b32 vcc_lo, exec_lo, s1
	s_cbranch_vccnz .LBB557_14
; %bb.10:
	s_clause 0x1
	s_load_b128 s[4:7], s[2:3], 0x38
	s_load_b64 s[2:3], s[2:3], 0x48
	s_sub_u32 s10, s10, s14
	s_subb_u32 s11, s11, 0
	s_sub_u32 s16, s18, s14
	s_subb_u32 s17, s19, 0
	v_and_b32_e32 v0, 0xffff, v16
	v_dual_mov_b32 v2, 0 :: v_dual_and_b32 v1, 0xffff, v13
	v_dual_mov_b32 v3, 0 :: v_dual_lshlrev_b32 v14, 3, v4
	s_mul_hi_u32 s1, s16, 0x1c20
	s_mul_i32 s21, s17, 0x1c20
	s_mul_i32 s13, s16, 0x1c20
	s_add_i32 s1, s1, s21
	s_mov_b32 s15, 0
	v_cndmask_b32_e64 v13, v0, v1, s0
	v_dual_mov_b32 v0, v2 :: v_dual_mov_b32 v1, v3
	s_waitcnt lgkmcnt(0)
	s_add_u32 s13, s6, s13
	s_addc_u32 s21, s7, s1
	s_lshl_b64 s[0:1], s[18:19], 2
	s_lshl_b64 s[6:7], s[14:15], 2
	v_add_co_u32 v14, s13, s13, v14
	s_delay_alu instid0(VALU_DEP_1)
	v_add_co_ci_u32_e64 v15, null, s21, 0, s13
	s_sub_u32 s0, s0, s6
	s_subb_u32 s1, s1, s7
	s_add_u32 s0, s4, s0
	s_addc_u32 s1, s5, s1
	s_set_inst_prefetch_distance 0x1
	s_branch .LBB557_12
	.p2align	6
.LBB557_11:                             ;   in Loop: Header=BB557_12 Depth=1
	s_add_u32 s16, s16, 1
	s_addc_u32 s17, s17, 0
	s_add_u32 s0, s0, 4
	v_cmp_lt_i64_e64 s4, s[16:17], s[10:11]
	s_addc_u32 s1, s1, 0
	s_delay_alu instid0(VALU_DEP_1)
	s_and_b32 vcc_lo, exec_lo, s4
	s_cbranch_vccz .LBB557_14
.LBB557_12:                             ; =>This Inner Loop Header: Depth=1
	v_cmp_ge_i64_e64 s4, s[16:17], s[10:11]
	s_delay_alu instid0(VALU_DEP_1)
	s_and_b32 vcc_lo, exec_lo, s4
	s_cbranch_vccnz .LBB557_11
; %bb.13:                               ;   in Loop: Header=BB557_12 Depth=1
	s_load_b32 s4, s[0:1], 0x0
	global_load_b64 v[21:22], v[14:15], off
	s_waitcnt lgkmcnt(0)
	s_sub_i32 s4, s4, s14
	s_delay_alu instid0(SALU_CYCLE_1) | instskip(NEXT) | instid1(VALU_DEP_1)
	v_mad_u64_u32 v[17:18], null, s4, 30, v[13:14]
	v_ashrrev_i32_e32 v18, 31, v17
	s_delay_alu instid0(VALU_DEP_1) | instskip(NEXT) | instid1(VALU_DEP_1)
	v_lshlrev_b64 v[17:18], 4, v[17:18]
	v_add_co_u32 v17, vcc_lo, s2, v17
	s_delay_alu instid0(VALU_DEP_2)
	v_add_co_ci_u32_e32 v18, vcc_lo, s3, v18, vcc_lo
	v_add_co_u32 v14, vcc_lo, 0x1c20, v14
	v_add_co_ci_u32_e32 v15, vcc_lo, 0, v15, vcc_lo
	global_load_b128 v[17:20], v[17:18], off
	s_waitcnt vmcnt(1)
	v_cvt_f64_f32_e32 v[23:24], v21
	v_cvt_f64_f32_e32 v[21:22], v22
	s_waitcnt vmcnt(0)
	s_delay_alu instid0(VALU_DEP_2) | instskip(NEXT) | instid1(VALU_DEP_2)
	v_fma_f64 v[0:1], v[23:24], v[17:18], v[0:1]
	v_fma_f64 v[2:3], v[21:22], v[17:18], v[2:3]
	s_delay_alu instid0(VALU_DEP_2) | instskip(NEXT) | instid1(VALU_DEP_2)
	v_fma_f64 v[0:1], -v[21:22], v[19:20], v[0:1]
	v_fma_f64 v[2:3], v[23:24], v[19:20], v[2:3]
	s_branch .LBB557_11
.LBB557_14:
	s_set_inst_prefetch_distance 0x2
	v_lshlrev_b32_e32 v17, 4, v4
	s_and_b32 vcc_lo, exec_lo, s20
	ds_store_b128 v17, v[0:3]
	s_waitcnt vmcnt(0) lgkmcnt(0)
	s_barrier
	buffer_gl0_inv
	s_cbranch_vccz .LBB557_26
; %bb.15:
	s_mov_b32 s0, exec_lo
	v_cmpx_gt_u16_e32 14, v16
	s_cbranch_execz .LBB557_17
; %bb.16:
	ds_load_b128 v[18:21], v17 offset:256
	ds_load_b128 v[22:25], v17
	s_waitcnt lgkmcnt(0)
	v_add_f64 v[18:19], v[18:19], v[22:23]
	v_add_f64 v[20:21], v[20:21], v[24:25]
	ds_store_b128 v17, v[18:21]
.LBB557_17:
	s_or_b32 exec_lo, exec_lo, s0
	s_delay_alu instid0(SALU_CYCLE_1)
	s_mov_b32 s0, exec_lo
	s_waitcnt lgkmcnt(0)
	s_barrier
	buffer_gl0_inv
	v_cmpx_gt_u16_e32 8, v16
	s_cbranch_execz .LBB557_19
; %bb.18:
	ds_load_b128 v[18:21], v17 offset:128
	ds_load_b128 v[22:25], v17
	s_waitcnt lgkmcnt(0)
	v_add_f64 v[18:19], v[18:19], v[22:23]
	v_add_f64 v[20:21], v[20:21], v[24:25]
	ds_store_b128 v17, v[18:21]
.LBB557_19:
	s_or_b32 exec_lo, exec_lo, s0
	s_delay_alu instid0(SALU_CYCLE_1)
	s_mov_b32 s0, exec_lo
	s_waitcnt lgkmcnt(0)
	s_barrier
	buffer_gl0_inv
	;; [unrolled: 16-line block ×3, first 2 shown]
	v_cmpx_gt_u16_e32 2, v16
	s_cbranch_execz .LBB557_23
; %bb.22:
	ds_load_b128 v[13:16], v17
	ds_load_b128 v[18:21], v17 offset:32
	s_waitcnt lgkmcnt(0)
	v_add_f64 v[13:14], v[18:19], v[13:14]
	v_add_f64 v[15:16], v[20:21], v[15:16]
	ds_store_b128 v17, v[13:16]
.LBB557_23:
	s_or_b32 exec_lo, exec_lo, s0
	v_dual_mov_b32 v16, v3 :: v_dual_mov_b32 v15, v2
	v_dual_mov_b32 v14, v1 :: v_dual_mov_b32 v13, v0
	s_mov_b32 s0, exec_lo
	s_waitcnt lgkmcnt(0)
	s_barrier
	buffer_gl0_inv
	v_cmpx_gt_u32_e32 30, v4
	s_cbranch_execz .LBB557_25
; %bb.24:
	v_mul_u32_u24_e32 v13, 30, v4
	s_delay_alu instid0(VALU_DEP_1)
	v_lshlrev_b32_e32 v18, 4, v13
	ds_load_b128 v[13:16], v18
	ds_load_b128 v[18:21], v18 offset:16
	s_waitcnt lgkmcnt(0)
	v_add_f64 v[13:14], v[18:19], v[13:14]
	v_add_f64 v[15:16], v[20:21], v[15:16]
.LBB557_25:
	s_or_b32 exec_lo, exec_lo, s0
	s_branch .LBB557_38
.LBB557_26:
                                        ; implicit-def: $vgpr15_vgpr16
                                        ; implicit-def: $vgpr13_vgpr14
	s_cbranch_execz .LBB557_38
; %bb.27:
	s_mov_b32 s0, exec_lo
	v_cmpx_gt_u32_e32 0x1a4, v4
	s_cbranch_execz .LBB557_29
; %bb.28:
	ds_load_b128 v[13:16], v17 offset:7680
	ds_load_b128 v[18:21], v17
	s_waitcnt lgkmcnt(0)
	v_add_f64 v[13:14], v[13:14], v[18:19]
	v_add_f64 v[15:16], v[15:16], v[20:21]
	ds_store_b128 v17, v[13:16]
.LBB557_29:
	s_or_b32 exec_lo, exec_lo, s0
	s_delay_alu instid0(SALU_CYCLE_1)
	s_mov_b32 s0, exec_lo
	s_waitcnt lgkmcnt(0)
	s_barrier
	buffer_gl0_inv
	v_cmpx_gt_u32_e32 0xf0, v4
	s_cbranch_execz .LBB557_31
; %bb.30:
	ds_load_b128 v[13:16], v17 offset:3840
	ds_load_b128 v[18:21], v17
	s_waitcnt lgkmcnt(0)
	v_add_f64 v[13:14], v[13:14], v[18:19]
	v_add_f64 v[15:16], v[15:16], v[20:21]
	ds_store_b128 v17, v[13:16]
.LBB557_31:
	s_or_b32 exec_lo, exec_lo, s0
	s_delay_alu instid0(SALU_CYCLE_1)
	s_mov_b32 s0, exec_lo
	s_waitcnt lgkmcnt(0)
	s_barrier
	buffer_gl0_inv
	;; [unrolled: 16-line block ×3, first 2 shown]
	v_cmpx_gt_u32_e32 60, v4
	s_cbranch_execz .LBB557_35
; %bb.34:
	ds_load_b128 v[13:16], v17 offset:960
	ds_load_b128 v[18:21], v17
	s_waitcnt lgkmcnt(0)
	v_add_f64 v[13:14], v[13:14], v[18:19]
	v_add_f64 v[15:16], v[15:16], v[20:21]
	ds_store_b128 v17, v[13:16]
.LBB557_35:
	s_or_b32 exec_lo, exec_lo, s0
	s_delay_alu instid0(SALU_CYCLE_1)
	s_mov_b32 s0, exec_lo
	s_waitcnt lgkmcnt(0)
	buffer_gl0_inv
	v_cmpx_gt_u32_e32 30, v4
	s_cbranch_execz .LBB557_37
; %bb.36:
	ds_load_b128 v[0:3], v17 offset:480
	ds_load_b128 v[13:16], v17
	s_waitcnt lgkmcnt(0)
	v_add_f64 v[0:1], v[0:1], v[13:14]
	v_add_f64 v[2:3], v[2:3], v[15:16]
.LBB557_37:
	s_or_b32 exec_lo, exec_lo, s0
	s_delay_alu instid0(VALU_DEP_1) | instskip(NEXT) | instid1(VALU_DEP_3)
	v_dual_mov_b32 v16, v3 :: v_dual_mov_b32 v15, v2
	v_dual_mov_b32 v14, v1 :: v_dual_mov_b32 v13, v0
.LBB557_38:
	v_cmp_gt_u32_e32 vcc_lo, 30, v4
	s_and_b32 exec_lo, exec_lo, vcc_lo
	s_cbranch_execz .LBB557_43
; %bb.39:
	s_delay_alu instid0(VALU_DEP_2) | instskip(SKIP_3) | instid1(VALU_DEP_4)
	v_mul_f64 v[0:1], v[15:16], -v[11:12]
	v_mul_f64 v[2:3], v[9:10], v[15:16]
	v_cmp_eq_f64_e32 vcc_lo, 0, v[5:6]
	v_cmp_eq_f64_e64 s0, 0, v[7:8]
	v_fma_f64 v[0:1], v[9:10], v[13:14], v[0:1]
	s_delay_alu instid0(VALU_DEP_4) | instskip(NEXT) | instid1(VALU_DEP_3)
	v_fma_f64 v[2:3], v[11:12], v[13:14], v[2:3]
	s_and_b32 s0, vcc_lo, s0
	s_delay_alu instid0(SALU_CYCLE_1) | instskip(NEXT) | instid1(SALU_CYCLE_1)
	s_and_saveexec_b32 s1, s0
	s_xor_b32 s0, exec_lo, s1
	s_cbranch_execz .LBB557_41
; %bb.40:
	v_mad_u64_u32 v[5:6], null, s12, 30, v[4:5]
	v_mov_b32_e32 v6, 0
                                        ; implicit-def: $vgpr7_vgpr8
	s_delay_alu instid0(VALU_DEP_1) | instskip(NEXT) | instid1(VALU_DEP_1)
	v_lshlrev_b64 v[4:5], 4, v[5:6]
	v_add_co_u32 v4, vcc_lo, s8, v4
	s_delay_alu instid0(VALU_DEP_2)
	v_add_co_ci_u32_e32 v5, vcc_lo, s9, v5, vcc_lo
	global_store_b128 v[4:5], v[0:3], off
                                        ; implicit-def: $vgpr4
                                        ; implicit-def: $vgpr5_vgpr6
                                        ; implicit-def: $vgpr0_vgpr1
.LBB557_41:
	s_and_not1_saveexec_b32 s0, s0
	s_cbranch_execz .LBB557_43
; %bb.42:
	v_mad_u64_u32 v[9:10], null, s12, 30, v[4:5]
	v_mov_b32_e32 v10, 0
	s_delay_alu instid0(VALU_DEP_1) | instskip(NEXT) | instid1(VALU_DEP_1)
	v_lshlrev_b64 v[9:10], 4, v[9:10]
	v_add_co_u32 v13, vcc_lo, s8, v9
	s_delay_alu instid0(VALU_DEP_2) | instskip(SKIP_4) | instid1(VALU_DEP_2)
	v_add_co_ci_u32_e32 v14, vcc_lo, s9, v10, vcc_lo
	global_load_b128 v[9:12], v[13:14], off
	s_waitcnt vmcnt(0)
	v_fma_f64 v[0:1], v[5:6], v[9:10], v[0:1]
	v_fma_f64 v[2:3], v[7:8], v[9:10], v[2:3]
	v_fma_f64 v[0:1], -v[7:8], v[11:12], v[0:1]
	s_delay_alu instid0(VALU_DEP_2)
	v_fma_f64 v[2:3], v[5:6], v[11:12], v[2:3]
	global_store_b128 v[13:14], v[0:3], off
.LBB557_43:
	s_nop 0
	s_sendmsg sendmsg(MSG_DEALLOC_VGPRS)
	s_endpgm
	.section	.rodata,"a",@progbits
	.p2align	6, 0x0
	.amdhsa_kernel _ZN9rocsparseL20bsrxmvn_17_32_kernelILj30E21rocsparse_complex_numIdEliS1_IfES2_S2_EEvT2_20rocsparse_direction_NS_24const_host_device_scalarIT0_EES4_PKS4_PKT1_SD_SA_PKT3_PKT4_S8_PT5_21rocsparse_index_base_b
		.amdhsa_group_segment_fixed_size 28800
		.amdhsa_private_segment_fixed_size 0
		.amdhsa_kernarg_size 112
		.amdhsa_user_sgpr_count 15
		.amdhsa_user_sgpr_dispatch_ptr 1
		.amdhsa_user_sgpr_queue_ptr 0
		.amdhsa_user_sgpr_kernarg_segment_ptr 1
		.amdhsa_user_sgpr_dispatch_id 0
		.amdhsa_user_sgpr_private_segment_size 0
		.amdhsa_wavefront_size32 1
		.amdhsa_uses_dynamic_stack 0
		.amdhsa_enable_private_segment 0
		.amdhsa_system_sgpr_workgroup_id_x 1
		.amdhsa_system_sgpr_workgroup_id_y 0
		.amdhsa_system_sgpr_workgroup_id_z 0
		.amdhsa_system_sgpr_workgroup_info 0
		.amdhsa_system_vgpr_workitem_id 2
		.amdhsa_next_free_vgpr 26
		.amdhsa_next_free_sgpr 22
		.amdhsa_reserve_vcc 1
		.amdhsa_float_round_mode_32 0
		.amdhsa_float_round_mode_16_64 0
		.amdhsa_float_denorm_mode_32 3
		.amdhsa_float_denorm_mode_16_64 3
		.amdhsa_dx10_clamp 1
		.amdhsa_ieee_mode 1
		.amdhsa_fp16_overflow 0
		.amdhsa_workgroup_processor_mode 1
		.amdhsa_memory_ordered 1
		.amdhsa_forward_progress 0
		.amdhsa_shared_vgpr_count 0
		.amdhsa_exception_fp_ieee_invalid_op 0
		.amdhsa_exception_fp_denorm_src 0
		.amdhsa_exception_fp_ieee_div_zero 0
		.amdhsa_exception_fp_ieee_overflow 0
		.amdhsa_exception_fp_ieee_underflow 0
		.amdhsa_exception_fp_ieee_inexact 0
		.amdhsa_exception_int_div_zero 0
	.end_amdhsa_kernel
	.section	.text._ZN9rocsparseL20bsrxmvn_17_32_kernelILj30E21rocsparse_complex_numIdEliS1_IfES2_S2_EEvT2_20rocsparse_direction_NS_24const_host_device_scalarIT0_EES4_PKS4_PKT1_SD_SA_PKT3_PKT4_S8_PT5_21rocsparse_index_base_b,"axG",@progbits,_ZN9rocsparseL20bsrxmvn_17_32_kernelILj30E21rocsparse_complex_numIdEliS1_IfES2_S2_EEvT2_20rocsparse_direction_NS_24const_host_device_scalarIT0_EES4_PKS4_PKT1_SD_SA_PKT3_PKT4_S8_PT5_21rocsparse_index_base_b,comdat
.Lfunc_end557:
	.size	_ZN9rocsparseL20bsrxmvn_17_32_kernelILj30E21rocsparse_complex_numIdEliS1_IfES2_S2_EEvT2_20rocsparse_direction_NS_24const_host_device_scalarIT0_EES4_PKS4_PKT1_SD_SA_PKT3_PKT4_S8_PT5_21rocsparse_index_base_b, .Lfunc_end557-_ZN9rocsparseL20bsrxmvn_17_32_kernelILj30E21rocsparse_complex_numIdEliS1_IfES2_S2_EEvT2_20rocsparse_direction_NS_24const_host_device_scalarIT0_EES4_PKS4_PKT1_SD_SA_PKT3_PKT4_S8_PT5_21rocsparse_index_base_b
                                        ; -- End function
	.section	.AMDGPU.csdata,"",@progbits
; Kernel info:
; codeLenInByte = 2084
; NumSgprs: 24
; NumVgprs: 26
; ScratchSize: 0
; MemoryBound: 0
; FloatMode: 240
; IeeeMode: 1
; LDSByteSize: 28800 bytes/workgroup (compile time only)
; SGPRBlocks: 2
; VGPRBlocks: 3
; NumSGPRsForWavesPerEU: 24
; NumVGPRsForWavesPerEU: 26
; Occupancy: 15
; WaveLimiterHint : 1
; COMPUTE_PGM_RSRC2:SCRATCH_EN: 0
; COMPUTE_PGM_RSRC2:USER_SGPR: 15
; COMPUTE_PGM_RSRC2:TRAP_HANDLER: 0
; COMPUTE_PGM_RSRC2:TGID_X_EN: 1
; COMPUTE_PGM_RSRC2:TGID_Y_EN: 0
; COMPUTE_PGM_RSRC2:TGID_Z_EN: 0
; COMPUTE_PGM_RSRC2:TIDIG_COMP_CNT: 2
	.section	.text._ZN9rocsparseL20bsrxmvn_17_32_kernelILj31E21rocsparse_complex_numIdEliS1_IfES2_S2_EEvT2_20rocsparse_direction_NS_24const_host_device_scalarIT0_EES4_PKS4_PKT1_SD_SA_PKT3_PKT4_S8_PT5_21rocsparse_index_base_b,"axG",@progbits,_ZN9rocsparseL20bsrxmvn_17_32_kernelILj31E21rocsparse_complex_numIdEliS1_IfES2_S2_EEvT2_20rocsparse_direction_NS_24const_host_device_scalarIT0_EES4_PKS4_PKT1_SD_SA_PKT3_PKT4_S8_PT5_21rocsparse_index_base_b,comdat
	.globl	_ZN9rocsparseL20bsrxmvn_17_32_kernelILj31E21rocsparse_complex_numIdEliS1_IfES2_S2_EEvT2_20rocsparse_direction_NS_24const_host_device_scalarIT0_EES4_PKS4_PKT1_SD_SA_PKT3_PKT4_S8_PT5_21rocsparse_index_base_b ; -- Begin function _ZN9rocsparseL20bsrxmvn_17_32_kernelILj31E21rocsparse_complex_numIdEliS1_IfES2_S2_EEvT2_20rocsparse_direction_NS_24const_host_device_scalarIT0_EES4_PKS4_PKT1_SD_SA_PKT3_PKT4_S8_PT5_21rocsparse_index_base_b
	.p2align	8
	.type	_ZN9rocsparseL20bsrxmvn_17_32_kernelILj31E21rocsparse_complex_numIdEliS1_IfES2_S2_EEvT2_20rocsparse_direction_NS_24const_host_device_scalarIT0_EES4_PKS4_PKT1_SD_SA_PKT3_PKT4_S8_PT5_21rocsparse_index_base_b,@function
_ZN9rocsparseL20bsrxmvn_17_32_kernelILj31E21rocsparse_complex_numIdEliS1_IfES2_S2_EEvT2_20rocsparse_direction_NS_24const_host_device_scalarIT0_EES4_PKS4_PKT1_SD_SA_PKT3_PKT4_S8_PT5_21rocsparse_index_base_b: ; @_ZN9rocsparseL20bsrxmvn_17_32_kernelILj31E21rocsparse_complex_numIdEliS1_IfES2_S2_EEvT2_20rocsparse_direction_NS_24const_host_device_scalarIT0_EES4_PKS4_PKT1_SD_SA_PKT3_PKT4_S8_PT5_21rocsparse_index_base_b
; %bb.0:
	s_mov_b32 s12, s15
	s_clause 0x1
	s_load_b64 s[14:15], s[2:3], 0x68
	s_load_b128 s[4:7], s[2:3], 0x8
	s_load_b64 s[16:17], s[0:1], 0x4
	s_mov_b64 s[0:1], src_shared_base
	v_and_b32_e32 v4, 0x3ff, v0
	s_load_b128 s[8:11], s[2:3], 0x50
	v_bfe_u32 v2, v0, 10, 10
	v_bfe_u32 v0, v0, 20, 10
	s_waitcnt lgkmcnt(0)
	s_bitcmp1_b32 s15, 0
	v_mov_b32_e32 v12, s7
	s_cselect_b32 s0, -1, 0
	v_mov_b32_e32 v11, s6
	s_and_b32 vcc_lo, s0, exec_lo
	s_cselect_b32 s13, s1, s5
	s_lshr_b32 s15, s16, 16
	v_mov_b32_e32 v6, s13
	s_mul_i32 s15, s15, s17
	s_xor_b32 s6, s0, -1
	v_mul_lo_u32 v1, s15, v4
	s_delay_alu instid0(VALU_DEP_1) | instskip(SKIP_1) | instid1(VALU_DEP_2)
	v_mad_u32_u24 v1, v2, s17, v1
	v_dual_mov_b32 v2, s8 :: v_dual_mov_b32 v3, s9
	v_add_lshl_u32 v7, v1, v0, 3
	v_dual_mov_b32 v0, s4 :: v_dual_mov_b32 v1, s5
	ds_store_b64 v7, v[0:1] offset:23064
	ds_store_b64 v7, v[2:3] offset:15376
	v_add_nc_u32_e32 v5, 0x5a18, v7
	v_add_nc_u32_e32 v0, 0x3c10, v7
	s_delay_alu instid0(VALU_DEP_2)
	v_cndmask_b32_e64 v5, s4, v5, s0
	flat_load_b64 v[9:10], v[5:6]
	s_cbranch_vccnz .LBB558_2
; %bb.1:
	v_dual_mov_b32 v1, s4 :: v_dual_mov_b32 v2, s5
	flat_load_b64 v[11:12], v[1:2] offset:8
.LBB558_2:
	s_and_b32 s4, s0, exec_lo
	s_cselect_b32 s1, s1, s9
	v_cndmask_b32_e64 v0, s8, v0, s0
	v_mov_b32_e32 v1, s1
	v_dual_mov_b32 v7, s10 :: v_dual_mov_b32 v8, s11
	s_and_not1_b32 vcc_lo, exec_lo, s6
	flat_load_b64 v[5:6], v[0:1]
	s_cbranch_vccnz .LBB558_4
; %bb.3:
	v_dual_mov_b32 v0, s8 :: v_dual_mov_b32 v1, s9
	flat_load_b64 v[7:8], v[0:1] offset:8
.LBB558_4:
	s_waitcnt vmcnt(1) lgkmcnt(1)
	v_cmp_eq_f64_e32 vcc_lo, 0, v[9:10]
	v_cmp_eq_f64_e64 s0, 0, v[11:12]
	s_delay_alu instid0(VALU_DEP_1)
	s_and_b32 s4, vcc_lo, s0
	s_mov_b32 s0, -1
	s_and_saveexec_b32 s1, s4
	s_cbranch_execz .LBB558_6
; %bb.5:
	s_waitcnt vmcnt(0) lgkmcnt(0)
	v_cmp_neq_f64_e32 vcc_lo, 1.0, v[5:6]
	v_cmp_neq_f64_e64 s0, 0, v[7:8]
	s_delay_alu instid0(VALU_DEP_1) | instskip(NEXT) | instid1(SALU_CYCLE_1)
	s_or_b32 s0, vcc_lo, s0
	s_or_not1_b32 s0, s0, exec_lo
.LBB558_6:
	s_or_b32 exec_lo, exec_lo, s1
	s_and_saveexec_b32 s1, s0
	s_cbranch_execz .LBB558_43
; %bb.7:
	s_clause 0x1
	s_load_b128 s[4:7], s[2:3], 0x20
	s_load_b64 s[8:9], s[2:3], 0x30
	s_waitcnt lgkmcnt(0)
	s_cmp_eq_u64 s[4:5], 0
	s_cbranch_scc1 .LBB558_9
; %bb.8:
	s_ashr_i32 s13, s12, 31
	s_delay_alu instid0(SALU_CYCLE_1) | instskip(NEXT) | instid1(SALU_CYCLE_1)
	s_lshl_b64 s[0:1], s[12:13], 2
	s_add_u32 s0, s4, s0
	s_addc_u32 s1, s5, s1
	s_load_b32 s0, s[0:1], 0x0
	s_waitcnt lgkmcnt(0)
	s_sub_i32 s12, s0, s14
.LBB558_9:
	s_load_b32 s1, s[2:3], 0x4
	v_mul_u32_u24_e32 v0, 0x843, v4
	v_mov_b32_e32 v2, 0
	v_mov_b32_e32 v3, 0
	s_delay_alu instid0(VALU_DEP_3) | instskip(NEXT) | instid1(VALU_DEP_1)
	v_lshrrev_b32_e32 v13, 16, v0
	v_mul_lo_u16 v0, v13, 31
	s_delay_alu instid0(VALU_DEP_1) | instskip(NEXT) | instid1(VALU_DEP_4)
	v_sub_nc_u16 v16, v4, v0
	v_dual_mov_b32 v0, v2 :: v_dual_mov_b32 v1, v3
	s_waitcnt lgkmcnt(0)
	s_cmp_eq_u32 s1, 1
	s_cselect_b32 s0, -1, 0
	s_cmp_lg_u32 s1, 1
	s_cselect_b32 s20, -1, 0
	s_ashr_i32 s13, s12, 31
	s_delay_alu instid0(SALU_CYCLE_1) | instskip(NEXT) | instid1(SALU_CYCLE_1)
	s_lshl_b64 s[4:5], s[12:13], 3
	s_add_u32 s6, s6, s4
	s_addc_u32 s7, s7, s5
	s_add_u32 s1, s6, 8
	s_addc_u32 s10, s7, 0
	;; [unrolled: 2-line block ×3, first 2 shown]
	s_cmp_eq_u64 s[8:9], 0
	s_load_b64 s[8:9], s[2:3], 0x60
	s_cselect_b32 s5, s10, s5
	s_cselect_b32 s4, s1, s4
	s_load_b64 s[18:19], s[6:7], 0x0
	s_load_b64 s[10:11], s[4:5], 0x0
	s_waitcnt lgkmcnt(0)
	v_cmp_ge_i64_e64 s1, s[18:19], s[10:11]
	s_delay_alu instid0(VALU_DEP_1)
	s_and_b32 vcc_lo, exec_lo, s1
	s_cbranch_vccnz .LBB558_14
; %bb.10:
	s_clause 0x1
	s_load_b128 s[4:7], s[2:3], 0x38
	s_load_b64 s[2:3], s[2:3], 0x48
	s_sub_u32 s10, s10, s14
	s_subb_u32 s11, s11, 0
	s_sub_u32 s16, s18, s14
	s_subb_u32 s17, s19, 0
	v_and_b32_e32 v0, 0xffff, v16
	v_dual_mov_b32 v2, 0 :: v_dual_and_b32 v1, 0xffff, v13
	v_dual_mov_b32 v3, 0 :: v_dual_lshlrev_b32 v14, 3, v4
	s_mul_hi_u32 s1, s16, 0x1e08
	s_mul_i32 s21, s17, 0x1e08
	s_mul_i32 s13, s16, 0x1e08
	s_add_i32 s1, s1, s21
	s_mov_b32 s15, 0
	v_cndmask_b32_e64 v13, v0, v1, s0
	v_dual_mov_b32 v0, v2 :: v_dual_mov_b32 v1, v3
	s_waitcnt lgkmcnt(0)
	s_add_u32 s13, s6, s13
	s_addc_u32 s21, s7, s1
	s_lshl_b64 s[0:1], s[18:19], 2
	s_lshl_b64 s[6:7], s[14:15], 2
	v_add_co_u32 v14, s13, s13, v14
	s_delay_alu instid0(VALU_DEP_1)
	v_add_co_ci_u32_e64 v15, null, s21, 0, s13
	s_sub_u32 s0, s0, s6
	s_subb_u32 s1, s1, s7
	s_add_u32 s0, s4, s0
	s_addc_u32 s1, s5, s1
	s_set_inst_prefetch_distance 0x1
	s_branch .LBB558_12
	.p2align	6
.LBB558_11:                             ;   in Loop: Header=BB558_12 Depth=1
	s_add_u32 s16, s16, 1
	s_addc_u32 s17, s17, 0
	s_add_u32 s0, s0, 4
	v_cmp_lt_i64_e64 s4, s[16:17], s[10:11]
	s_addc_u32 s1, s1, 0
	s_delay_alu instid0(VALU_DEP_1)
	s_and_b32 vcc_lo, exec_lo, s4
	s_cbranch_vccz .LBB558_14
.LBB558_12:                             ; =>This Inner Loop Header: Depth=1
	v_cmp_ge_i64_e64 s4, s[16:17], s[10:11]
	s_delay_alu instid0(VALU_DEP_1)
	s_and_b32 vcc_lo, exec_lo, s4
	s_cbranch_vccnz .LBB558_11
; %bb.13:                               ;   in Loop: Header=BB558_12 Depth=1
	s_load_b32 s4, s[0:1], 0x0
	global_load_b64 v[21:22], v[14:15], off
	s_waitcnt lgkmcnt(0)
	s_sub_i32 s4, s4, s14
	s_delay_alu instid0(SALU_CYCLE_1) | instskip(NEXT) | instid1(VALU_DEP_1)
	v_mad_u64_u32 v[17:18], null, s4, 31, v[13:14]
	v_ashrrev_i32_e32 v18, 31, v17
	s_delay_alu instid0(VALU_DEP_1) | instskip(NEXT) | instid1(VALU_DEP_1)
	v_lshlrev_b64 v[17:18], 4, v[17:18]
	v_add_co_u32 v17, vcc_lo, s2, v17
	s_delay_alu instid0(VALU_DEP_2)
	v_add_co_ci_u32_e32 v18, vcc_lo, s3, v18, vcc_lo
	v_add_co_u32 v14, vcc_lo, 0x1e08, v14
	v_add_co_ci_u32_e32 v15, vcc_lo, 0, v15, vcc_lo
	global_load_b128 v[17:20], v[17:18], off
	s_waitcnt vmcnt(1)
	v_cvt_f64_f32_e32 v[23:24], v21
	v_cvt_f64_f32_e32 v[21:22], v22
	s_waitcnt vmcnt(0)
	s_delay_alu instid0(VALU_DEP_2) | instskip(NEXT) | instid1(VALU_DEP_2)
	v_fma_f64 v[0:1], v[23:24], v[17:18], v[0:1]
	v_fma_f64 v[2:3], v[21:22], v[17:18], v[2:3]
	s_delay_alu instid0(VALU_DEP_2) | instskip(NEXT) | instid1(VALU_DEP_2)
	v_fma_f64 v[0:1], -v[21:22], v[19:20], v[0:1]
	v_fma_f64 v[2:3], v[23:24], v[19:20], v[2:3]
	s_branch .LBB558_11
.LBB558_14:
	s_set_inst_prefetch_distance 0x2
	v_lshlrev_b32_e32 v17, 4, v4
	s_and_b32 vcc_lo, exec_lo, s20
	ds_store_b128 v17, v[0:3]
	s_waitcnt vmcnt(0) lgkmcnt(0)
	s_barrier
	buffer_gl0_inv
	s_cbranch_vccz .LBB558_26
; %bb.15:
	s_mov_b32 s0, exec_lo
	v_cmpx_gt_u16_e32 15, v16
	s_cbranch_execz .LBB558_17
; %bb.16:
	ds_load_b128 v[18:21], v17 offset:256
	ds_load_b128 v[22:25], v17
	s_waitcnt lgkmcnt(0)
	v_add_f64 v[18:19], v[18:19], v[22:23]
	v_add_f64 v[20:21], v[20:21], v[24:25]
	ds_store_b128 v17, v[18:21]
.LBB558_17:
	s_or_b32 exec_lo, exec_lo, s0
	s_delay_alu instid0(SALU_CYCLE_1)
	s_mov_b32 s0, exec_lo
	s_waitcnt lgkmcnt(0)
	s_barrier
	buffer_gl0_inv
	v_cmpx_gt_u16_e32 8, v16
	s_cbranch_execz .LBB558_19
; %bb.18:
	ds_load_b128 v[18:21], v17 offset:128
	ds_load_b128 v[22:25], v17
	s_waitcnt lgkmcnt(0)
	v_add_f64 v[18:19], v[18:19], v[22:23]
	v_add_f64 v[20:21], v[20:21], v[24:25]
	ds_store_b128 v17, v[18:21]
.LBB558_19:
	s_or_b32 exec_lo, exec_lo, s0
	s_delay_alu instid0(SALU_CYCLE_1)
	s_mov_b32 s0, exec_lo
	s_waitcnt lgkmcnt(0)
	s_barrier
	buffer_gl0_inv
	;; [unrolled: 16-line block ×3, first 2 shown]
	v_cmpx_gt_u16_e32 2, v16
	s_cbranch_execz .LBB558_23
; %bb.22:
	ds_load_b128 v[13:16], v17
	ds_load_b128 v[18:21], v17 offset:32
	s_waitcnt lgkmcnt(0)
	v_add_f64 v[13:14], v[18:19], v[13:14]
	v_add_f64 v[15:16], v[20:21], v[15:16]
	ds_store_b128 v17, v[13:16]
.LBB558_23:
	s_or_b32 exec_lo, exec_lo, s0
	v_dual_mov_b32 v16, v3 :: v_dual_mov_b32 v15, v2
	v_dual_mov_b32 v14, v1 :: v_dual_mov_b32 v13, v0
	s_mov_b32 s0, exec_lo
	s_waitcnt lgkmcnt(0)
	s_barrier
	buffer_gl0_inv
	v_cmpx_gt_u32_e32 31, v4
	s_cbranch_execz .LBB558_25
; %bb.24:
	v_mul_u32_u24_e32 v13, 31, v4
	s_delay_alu instid0(VALU_DEP_1)
	v_lshlrev_b32_e32 v18, 4, v13
	ds_load_b128 v[13:16], v18
	ds_load_b128 v[18:21], v18 offset:16
	s_waitcnt lgkmcnt(0)
	v_add_f64 v[13:14], v[18:19], v[13:14]
	v_add_f64 v[15:16], v[20:21], v[15:16]
.LBB558_25:
	s_or_b32 exec_lo, exec_lo, s0
	s_branch .LBB558_38
.LBB558_26:
                                        ; implicit-def: $vgpr15_vgpr16
                                        ; implicit-def: $vgpr13_vgpr14
	s_cbranch_execz .LBB558_38
; %bb.27:
	s_mov_b32 s0, exec_lo
	v_cmpx_gt_u32_e32 0x1d1, v4
	s_cbranch_execz .LBB558_29
; %bb.28:
	ds_load_b128 v[13:16], v17 offset:7936
	ds_load_b128 v[18:21], v17
	s_waitcnt lgkmcnt(0)
	v_add_f64 v[13:14], v[13:14], v[18:19]
	v_add_f64 v[15:16], v[15:16], v[20:21]
	ds_store_b128 v17, v[13:16]
.LBB558_29:
	s_or_b32 exec_lo, exec_lo, s0
	s_delay_alu instid0(SALU_CYCLE_1)
	s_mov_b32 s0, exec_lo
	s_waitcnt lgkmcnt(0)
	s_barrier
	buffer_gl0_inv
	v_cmpx_gt_u32_e32 0xf8, v4
	s_cbranch_execz .LBB558_31
; %bb.30:
	ds_load_b128 v[13:16], v17 offset:3968
	ds_load_b128 v[18:21], v17
	s_waitcnt lgkmcnt(0)
	v_add_f64 v[13:14], v[13:14], v[18:19]
	v_add_f64 v[15:16], v[15:16], v[20:21]
	ds_store_b128 v17, v[13:16]
.LBB558_31:
	s_or_b32 exec_lo, exec_lo, s0
	s_delay_alu instid0(SALU_CYCLE_1)
	s_mov_b32 s0, exec_lo
	s_waitcnt lgkmcnt(0)
	s_barrier
	buffer_gl0_inv
	;; [unrolled: 16-line block ×3, first 2 shown]
	v_cmpx_gt_u32_e32 62, v4
	s_cbranch_execz .LBB558_35
; %bb.34:
	ds_load_b128 v[13:16], v17 offset:992
	ds_load_b128 v[18:21], v17
	s_waitcnt lgkmcnt(0)
	v_add_f64 v[13:14], v[13:14], v[18:19]
	v_add_f64 v[15:16], v[15:16], v[20:21]
	ds_store_b128 v17, v[13:16]
.LBB558_35:
	s_or_b32 exec_lo, exec_lo, s0
	s_delay_alu instid0(SALU_CYCLE_1)
	s_mov_b32 s0, exec_lo
	s_waitcnt lgkmcnt(0)
	buffer_gl0_inv
	v_cmpx_gt_u32_e32 31, v4
	s_cbranch_execz .LBB558_37
; %bb.36:
	ds_load_b128 v[0:3], v17 offset:496
	ds_load_b128 v[13:16], v17
	s_waitcnt lgkmcnt(0)
	v_add_f64 v[0:1], v[0:1], v[13:14]
	v_add_f64 v[2:3], v[2:3], v[15:16]
.LBB558_37:
	s_or_b32 exec_lo, exec_lo, s0
	s_delay_alu instid0(VALU_DEP_1) | instskip(NEXT) | instid1(VALU_DEP_3)
	v_dual_mov_b32 v16, v3 :: v_dual_mov_b32 v15, v2
	v_dual_mov_b32 v14, v1 :: v_dual_mov_b32 v13, v0
.LBB558_38:
	v_cmp_gt_u32_e32 vcc_lo, 31, v4
	s_and_b32 exec_lo, exec_lo, vcc_lo
	s_cbranch_execz .LBB558_43
; %bb.39:
	s_delay_alu instid0(VALU_DEP_2) | instskip(SKIP_3) | instid1(VALU_DEP_4)
	v_mul_f64 v[0:1], v[15:16], -v[11:12]
	v_mul_f64 v[2:3], v[9:10], v[15:16]
	v_cmp_eq_f64_e32 vcc_lo, 0, v[5:6]
	v_cmp_eq_f64_e64 s0, 0, v[7:8]
	v_fma_f64 v[0:1], v[9:10], v[13:14], v[0:1]
	s_delay_alu instid0(VALU_DEP_4) | instskip(NEXT) | instid1(VALU_DEP_3)
	v_fma_f64 v[2:3], v[11:12], v[13:14], v[2:3]
	s_and_b32 s0, vcc_lo, s0
	s_delay_alu instid0(SALU_CYCLE_1) | instskip(NEXT) | instid1(SALU_CYCLE_1)
	s_and_saveexec_b32 s1, s0
	s_xor_b32 s0, exec_lo, s1
	s_cbranch_execz .LBB558_41
; %bb.40:
	v_mad_u64_u32 v[5:6], null, s12, 31, v[4:5]
	v_mov_b32_e32 v6, 0
                                        ; implicit-def: $vgpr7_vgpr8
	s_delay_alu instid0(VALU_DEP_1) | instskip(NEXT) | instid1(VALU_DEP_1)
	v_lshlrev_b64 v[4:5], 4, v[5:6]
	v_add_co_u32 v4, vcc_lo, s8, v4
	s_delay_alu instid0(VALU_DEP_2)
	v_add_co_ci_u32_e32 v5, vcc_lo, s9, v5, vcc_lo
	global_store_b128 v[4:5], v[0:3], off
                                        ; implicit-def: $vgpr4
                                        ; implicit-def: $vgpr5_vgpr6
                                        ; implicit-def: $vgpr0_vgpr1
.LBB558_41:
	s_and_not1_saveexec_b32 s0, s0
	s_cbranch_execz .LBB558_43
; %bb.42:
	v_mad_u64_u32 v[9:10], null, s12, 31, v[4:5]
	v_mov_b32_e32 v10, 0
	s_delay_alu instid0(VALU_DEP_1) | instskip(NEXT) | instid1(VALU_DEP_1)
	v_lshlrev_b64 v[9:10], 4, v[9:10]
	v_add_co_u32 v13, vcc_lo, s8, v9
	s_delay_alu instid0(VALU_DEP_2) | instskip(SKIP_4) | instid1(VALU_DEP_2)
	v_add_co_ci_u32_e32 v14, vcc_lo, s9, v10, vcc_lo
	global_load_b128 v[9:12], v[13:14], off
	s_waitcnt vmcnt(0)
	v_fma_f64 v[0:1], v[5:6], v[9:10], v[0:1]
	v_fma_f64 v[2:3], v[7:8], v[9:10], v[2:3]
	v_fma_f64 v[0:1], -v[7:8], v[11:12], v[0:1]
	s_delay_alu instid0(VALU_DEP_2)
	v_fma_f64 v[2:3], v[5:6], v[11:12], v[2:3]
	global_store_b128 v[13:14], v[0:3], off
.LBB558_43:
	s_nop 0
	s_sendmsg sendmsg(MSG_DEALLOC_VGPRS)
	s_endpgm
	.section	.rodata,"a",@progbits
	.p2align	6, 0x0
	.amdhsa_kernel _ZN9rocsparseL20bsrxmvn_17_32_kernelILj31E21rocsparse_complex_numIdEliS1_IfES2_S2_EEvT2_20rocsparse_direction_NS_24const_host_device_scalarIT0_EES4_PKS4_PKT1_SD_SA_PKT3_PKT4_S8_PT5_21rocsparse_index_base_b
		.amdhsa_group_segment_fixed_size 30752
		.amdhsa_private_segment_fixed_size 0
		.amdhsa_kernarg_size 112
		.amdhsa_user_sgpr_count 15
		.amdhsa_user_sgpr_dispatch_ptr 1
		.amdhsa_user_sgpr_queue_ptr 0
		.amdhsa_user_sgpr_kernarg_segment_ptr 1
		.amdhsa_user_sgpr_dispatch_id 0
		.amdhsa_user_sgpr_private_segment_size 0
		.amdhsa_wavefront_size32 1
		.amdhsa_uses_dynamic_stack 0
		.amdhsa_enable_private_segment 0
		.amdhsa_system_sgpr_workgroup_id_x 1
		.amdhsa_system_sgpr_workgroup_id_y 0
		.amdhsa_system_sgpr_workgroup_id_z 0
		.amdhsa_system_sgpr_workgroup_info 0
		.amdhsa_system_vgpr_workitem_id 2
		.amdhsa_next_free_vgpr 26
		.amdhsa_next_free_sgpr 22
		.amdhsa_reserve_vcc 1
		.amdhsa_float_round_mode_32 0
		.amdhsa_float_round_mode_16_64 0
		.amdhsa_float_denorm_mode_32 3
		.amdhsa_float_denorm_mode_16_64 3
		.amdhsa_dx10_clamp 1
		.amdhsa_ieee_mode 1
		.amdhsa_fp16_overflow 0
		.amdhsa_workgroup_processor_mode 1
		.amdhsa_memory_ordered 1
		.amdhsa_forward_progress 0
		.amdhsa_shared_vgpr_count 0
		.amdhsa_exception_fp_ieee_invalid_op 0
		.amdhsa_exception_fp_denorm_src 0
		.amdhsa_exception_fp_ieee_div_zero 0
		.amdhsa_exception_fp_ieee_overflow 0
		.amdhsa_exception_fp_ieee_underflow 0
		.amdhsa_exception_fp_ieee_inexact 0
		.amdhsa_exception_int_div_zero 0
	.end_amdhsa_kernel
	.section	.text._ZN9rocsparseL20bsrxmvn_17_32_kernelILj31E21rocsparse_complex_numIdEliS1_IfES2_S2_EEvT2_20rocsparse_direction_NS_24const_host_device_scalarIT0_EES4_PKS4_PKT1_SD_SA_PKT3_PKT4_S8_PT5_21rocsparse_index_base_b,"axG",@progbits,_ZN9rocsparseL20bsrxmvn_17_32_kernelILj31E21rocsparse_complex_numIdEliS1_IfES2_S2_EEvT2_20rocsparse_direction_NS_24const_host_device_scalarIT0_EES4_PKS4_PKT1_SD_SA_PKT3_PKT4_S8_PT5_21rocsparse_index_base_b,comdat
.Lfunc_end558:
	.size	_ZN9rocsparseL20bsrxmvn_17_32_kernelILj31E21rocsparse_complex_numIdEliS1_IfES2_S2_EEvT2_20rocsparse_direction_NS_24const_host_device_scalarIT0_EES4_PKS4_PKT1_SD_SA_PKT3_PKT4_S8_PT5_21rocsparse_index_base_b, .Lfunc_end558-_ZN9rocsparseL20bsrxmvn_17_32_kernelILj31E21rocsparse_complex_numIdEliS1_IfES2_S2_EEvT2_20rocsparse_direction_NS_24const_host_device_scalarIT0_EES4_PKS4_PKT1_SD_SA_PKT3_PKT4_S8_PT5_21rocsparse_index_base_b
                                        ; -- End function
	.section	.AMDGPU.csdata,"",@progbits
; Kernel info:
; codeLenInByte = 2084
; NumSgprs: 24
; NumVgprs: 26
; ScratchSize: 0
; MemoryBound: 0
; FloatMode: 240
; IeeeMode: 1
; LDSByteSize: 30752 bytes/workgroup (compile time only)
; SGPRBlocks: 2
; VGPRBlocks: 3
; NumSGPRsForWavesPerEU: 24
; NumVGPRsForWavesPerEU: 26
; Occupancy: 16
; WaveLimiterHint : 1
; COMPUTE_PGM_RSRC2:SCRATCH_EN: 0
; COMPUTE_PGM_RSRC2:USER_SGPR: 15
; COMPUTE_PGM_RSRC2:TRAP_HANDLER: 0
; COMPUTE_PGM_RSRC2:TGID_X_EN: 1
; COMPUTE_PGM_RSRC2:TGID_Y_EN: 0
; COMPUTE_PGM_RSRC2:TGID_Z_EN: 0
; COMPUTE_PGM_RSRC2:TIDIG_COMP_CNT: 2
	.section	.text._ZN9rocsparseL20bsrxmvn_17_32_kernelILj32E21rocsparse_complex_numIdEliS1_IfES2_S2_EEvT2_20rocsparse_direction_NS_24const_host_device_scalarIT0_EES4_PKS4_PKT1_SD_SA_PKT3_PKT4_S8_PT5_21rocsparse_index_base_b,"axG",@progbits,_ZN9rocsparseL20bsrxmvn_17_32_kernelILj32E21rocsparse_complex_numIdEliS1_IfES2_S2_EEvT2_20rocsparse_direction_NS_24const_host_device_scalarIT0_EES4_PKS4_PKT1_SD_SA_PKT3_PKT4_S8_PT5_21rocsparse_index_base_b,comdat
	.globl	_ZN9rocsparseL20bsrxmvn_17_32_kernelILj32E21rocsparse_complex_numIdEliS1_IfES2_S2_EEvT2_20rocsparse_direction_NS_24const_host_device_scalarIT0_EES4_PKS4_PKT1_SD_SA_PKT3_PKT4_S8_PT5_21rocsparse_index_base_b ; -- Begin function _ZN9rocsparseL20bsrxmvn_17_32_kernelILj32E21rocsparse_complex_numIdEliS1_IfES2_S2_EEvT2_20rocsparse_direction_NS_24const_host_device_scalarIT0_EES4_PKS4_PKT1_SD_SA_PKT3_PKT4_S8_PT5_21rocsparse_index_base_b
	.p2align	8
	.type	_ZN9rocsparseL20bsrxmvn_17_32_kernelILj32E21rocsparse_complex_numIdEliS1_IfES2_S2_EEvT2_20rocsparse_direction_NS_24const_host_device_scalarIT0_EES4_PKS4_PKT1_SD_SA_PKT3_PKT4_S8_PT5_21rocsparse_index_base_b,@function
_ZN9rocsparseL20bsrxmvn_17_32_kernelILj32E21rocsparse_complex_numIdEliS1_IfES2_S2_EEvT2_20rocsparse_direction_NS_24const_host_device_scalarIT0_EES4_PKS4_PKT1_SD_SA_PKT3_PKT4_S8_PT5_21rocsparse_index_base_b: ; @_ZN9rocsparseL20bsrxmvn_17_32_kernelILj32E21rocsparse_complex_numIdEliS1_IfES2_S2_EEvT2_20rocsparse_direction_NS_24const_host_device_scalarIT0_EES4_PKS4_PKT1_SD_SA_PKT3_PKT4_S8_PT5_21rocsparse_index_base_b
; %bb.0:
	s_mov_b32 s12, s15
	s_clause 0x1
	s_load_b64 s[14:15], s[2:3], 0x68
	s_load_b128 s[4:7], s[2:3], 0x8
	s_load_b64 s[16:17], s[0:1], 0x4
	s_mov_b64 s[0:1], src_shared_base
	v_and_b32_e32 v16, 0x3ff, v0
	s_load_b128 s[8:11], s[2:3], 0x50
	v_bfe_u32 v2, v0, 10, 10
	v_bfe_u32 v0, v0, 20, 10
	s_waitcnt lgkmcnt(0)
	s_bitcmp1_b32 s15, 0
	v_mov_b32_e32 v11, s7
	s_cselect_b32 s0, -1, 0
	v_mov_b32_e32 v10, s6
	s_and_b32 vcc_lo, s0, exec_lo
	s_cselect_b32 s13, s1, s5
	s_lshr_b32 s15, s16, 16
	s_xor_b32 s6, s0, -1
	s_mul_i32 s15, s15, s17
	v_mov_b32_e32 v5, s13
	v_mul_lo_u32 v1, s15, v16
	s_delay_alu instid0(VALU_DEP_1) | instskip(SKIP_1) | instid1(VALU_DEP_2)
	v_mad_u32_u24 v1, v2, s17, v1
	v_dual_mov_b32 v2, s8 :: v_dual_mov_b32 v3, s9
	v_add_lshl_u32 v6, v1, v0, 3
	v_dual_mov_b32 v0, s4 :: v_dual_mov_b32 v1, s5
	s_delay_alu instid0(VALU_DEP_2)
	v_add_nc_u32_e32 v4, 0x6000, v6
	ds_store_2addr_stride64_b64 v6, v[2:3], v[0:1] offset0:32 offset1:48
	v_add_nc_u32_e32 v0, 0x4000, v6
	v_cndmask_b32_e64 v4, s4, v4, s0
	flat_load_b64 v[8:9], v[4:5]
	s_cbranch_vccnz .LBB559_2
; %bb.1:
	v_dual_mov_b32 v1, s4 :: v_dual_mov_b32 v2, s5
	flat_load_b64 v[10:11], v[1:2] offset:8
.LBB559_2:
	s_and_b32 s4, s0, exec_lo
	s_cselect_b32 s1, s1, s9
	v_cndmask_b32_e64 v0, s8, v0, s0
	v_dual_mov_b32 v1, s1 :: v_dual_mov_b32 v6, s10
	v_mov_b32_e32 v7, s11
	s_and_not1_b32 vcc_lo, exec_lo, s6
	flat_load_b64 v[4:5], v[0:1]
	s_cbranch_vccnz .LBB559_4
; %bb.3:
	v_dual_mov_b32 v0, s8 :: v_dual_mov_b32 v1, s9
	flat_load_b64 v[6:7], v[0:1] offset:8
.LBB559_4:
	s_waitcnt vmcnt(1) lgkmcnt(1)
	v_cmp_eq_f64_e32 vcc_lo, 0, v[8:9]
	v_cmp_eq_f64_e64 s0, 0, v[10:11]
	s_delay_alu instid0(VALU_DEP_1)
	s_and_b32 s4, vcc_lo, s0
	s_mov_b32 s0, -1
	s_and_saveexec_b32 s1, s4
	s_cbranch_execz .LBB559_6
; %bb.5:
	s_waitcnt vmcnt(0) lgkmcnt(0)
	v_cmp_neq_f64_e32 vcc_lo, 1.0, v[4:5]
	v_cmp_neq_f64_e64 s0, 0, v[6:7]
	s_delay_alu instid0(VALU_DEP_1) | instskip(NEXT) | instid1(SALU_CYCLE_1)
	s_or_b32 s0, vcc_lo, s0
	s_or_not1_b32 s0, s0, exec_lo
.LBB559_6:
	s_or_b32 exec_lo, exec_lo, s1
	s_and_saveexec_b32 s1, s0
	s_cbranch_execz .LBB559_41
; %bb.7:
	s_clause 0x1
	s_load_b128 s[4:7], s[2:3], 0x20
	s_load_b64 s[8:9], s[2:3], 0x30
	s_waitcnt lgkmcnt(0)
	s_cmp_eq_u64 s[4:5], 0
	s_cbranch_scc1 .LBB559_9
; %bb.8:
	s_ashr_i32 s13, s12, 31
	s_delay_alu instid0(SALU_CYCLE_1) | instskip(NEXT) | instid1(SALU_CYCLE_1)
	s_lshl_b64 s[0:1], s[12:13], 2
	s_add_u32 s0, s4, s0
	s_addc_u32 s1, s5, s1
	s_load_b32 s0, s[0:1], 0x0
	s_waitcnt lgkmcnt(0)
	s_sub_i32 s12, s0, s14
.LBB559_9:
	s_load_b32 s1, s[2:3], 0x4
	v_mov_b32_e32 v2, 0
	v_dual_mov_b32 v3, 0 :: v_dual_and_b32 v14, 31, v16
	s_delay_alu instid0(VALU_DEP_1)
	v_dual_mov_b32 v0, v2 :: v_dual_mov_b32 v1, v3
	s_waitcnt lgkmcnt(0)
	s_cmp_eq_u32 s1, 1
	s_cselect_b32 s0, -1, 0
	s_cmp_lg_u32 s1, 1
	s_cselect_b32 s20, -1, 0
	s_ashr_i32 s13, s12, 31
	s_delay_alu instid0(SALU_CYCLE_1) | instskip(NEXT) | instid1(SALU_CYCLE_1)
	s_lshl_b64 s[4:5], s[12:13], 3
	s_add_u32 s6, s6, s4
	s_addc_u32 s7, s7, s5
	s_add_u32 s1, s6, 8
	s_addc_u32 s10, s7, 0
	;; [unrolled: 2-line block ×3, first 2 shown]
	s_cmp_eq_u64 s[8:9], 0
	s_cselect_b32 s5, s10, s5
	s_cselect_b32 s4, s1, s4
	s_load_b64 s[18:19], s[6:7], 0x0
	s_load_b64 s[10:11], s[4:5], 0x0
	;; [unrolled: 1-line block ×3, first 2 shown]
	s_waitcnt lgkmcnt(0)
	v_cmp_ge_i64_e64 s1, s[18:19], s[10:11]
	s_delay_alu instid0(VALU_DEP_1)
	s_and_b32 vcc_lo, exec_lo, s1
	s_cbranch_vccnz .LBB559_12
; %bb.10:
	s_clause 0x1
	s_load_b128 s[4:7], s[2:3], 0x38
	s_load_b64 s[2:3], s[2:3], 0x48
	s_sub_u32 s10, s10, s14
	s_subb_u32 s11, s11, 0
	s_sub_u32 s16, s18, s14
	s_subb_u32 s17, s19, 0
	v_lshrrev_b32_e32 v0, 5, v16
	s_lshl_b64 s[22:23], s[16:17], 13
	v_mov_b32_e32 v2, 0
	v_lshl_or_b32 v1, v16, 3, s22
	v_mov_b32_e32 v3, 0
	v_cndmask_b32_e64 v15, v14, v0, s0
	v_mov_b32_e32 v0, s23
	s_mov_b32 s15, 0
	s_lshl_b64 s[18:19], s[18:19], 2
	s_lshl_b64 s[24:25], s[14:15], 2
	s_delay_alu instid0(SALU_CYCLE_1)
	s_sub_u32 s0, s18, s24
	s_subb_u32 s1, s19, s25
	s_waitcnt lgkmcnt(0)
	v_add_co_u32 v12, vcc_lo, s6, v1
	v_add_co_ci_u32_e32 v13, vcc_lo, s7, v0, vcc_lo
	v_dual_mov_b32 v0, v2 :: v_dual_mov_b32 v1, v3
	s_add_u32 s0, s4, s0
	s_addc_u32 s1, s5, s1
	s_set_inst_prefetch_distance 0x1
	.p2align	6
.LBB559_11:                             ; =>This Inner Loop Header: Depth=1
	s_load_b32 s4, s[0:1], 0x0
	global_load_b64 v[21:22], v[12:13], off
	s_waitcnt lgkmcnt(0)
	s_sub_i32 s4, s4, s14
	s_add_u32 s16, s16, 1
	v_lshl_or_b32 v17, s4, 5, v15
	s_addc_u32 s17, s17, 0
	s_add_u32 s0, s0, 4
	v_cmp_lt_i64_e64 s4, s[16:17], s[10:11]
	s_addc_u32 s1, s1, 0
	v_ashrrev_i32_e32 v18, 31, v17
	s_delay_alu instid0(VALU_DEP_1) | instskip(NEXT) | instid1(VALU_DEP_1)
	v_lshlrev_b64 v[17:18], 4, v[17:18]
	v_add_co_u32 v17, vcc_lo, s2, v17
	s_delay_alu instid0(VALU_DEP_2)
	v_add_co_ci_u32_e32 v18, vcc_lo, s3, v18, vcc_lo
	v_add_co_u32 v12, vcc_lo, 0x2000, v12
	v_add_co_ci_u32_e32 v13, vcc_lo, 0, v13, vcc_lo
	global_load_b128 v[17:20], v[17:18], off
	s_and_b32 vcc_lo, exec_lo, s4
	s_waitcnt vmcnt(1)
	v_cvt_f64_f32_e32 v[23:24], v21
	v_cvt_f64_f32_e32 v[21:22], v22
	s_waitcnt vmcnt(0)
	s_delay_alu instid0(VALU_DEP_2) | instskip(NEXT) | instid1(VALU_DEP_2)
	v_fma_f64 v[0:1], v[23:24], v[17:18], v[0:1]
	v_fma_f64 v[2:3], v[21:22], v[17:18], v[2:3]
	s_delay_alu instid0(VALU_DEP_2) | instskip(NEXT) | instid1(VALU_DEP_2)
	v_fma_f64 v[0:1], -v[21:22], v[19:20], v[0:1]
	v_fma_f64 v[2:3], v[23:24], v[19:20], v[2:3]
	s_cbranch_vccnz .LBB559_11
.LBB559_12:
	s_set_inst_prefetch_distance 0x2
	v_lshlrev_b32_e32 v17, 4, v16
	s_and_b32 vcc_lo, exec_lo, s20
	ds_store_b128 v17, v[0:3]
	s_waitcnt vmcnt(0) lgkmcnt(0)
	s_barrier
	buffer_gl0_inv
	s_cbranch_vccz .LBB559_24
; %bb.13:
	s_mov_b32 s0, exec_lo
	v_cmpx_gt_u32_e32 16, v14
	s_cbranch_execz .LBB559_15
; %bb.14:
	ds_load_b128 v[18:21], v17 offset:256
	ds_load_b128 v[22:25], v17
	s_waitcnt lgkmcnt(0)
	v_add_f64 v[18:19], v[18:19], v[22:23]
	v_add_f64 v[20:21], v[20:21], v[24:25]
	ds_store_b128 v17, v[18:21]
.LBB559_15:
	s_or_b32 exec_lo, exec_lo, s0
	s_delay_alu instid0(SALU_CYCLE_1)
	s_mov_b32 s0, exec_lo
	s_waitcnt lgkmcnt(0)
	s_barrier
	buffer_gl0_inv
	v_cmpx_gt_u32_e32 8, v14
	s_cbranch_execz .LBB559_17
; %bb.16:
	ds_load_b128 v[18:21], v17 offset:128
	ds_load_b128 v[22:25], v17
	s_waitcnt lgkmcnt(0)
	v_add_f64 v[18:19], v[18:19], v[22:23]
	v_add_f64 v[20:21], v[20:21], v[24:25]
	ds_store_b128 v17, v[18:21]
.LBB559_17:
	s_or_b32 exec_lo, exec_lo, s0
	s_delay_alu instid0(SALU_CYCLE_1)
	s_mov_b32 s0, exec_lo
	s_waitcnt lgkmcnt(0)
	s_barrier
	buffer_gl0_inv
	;; [unrolled: 16-line block ×3, first 2 shown]
	v_cmpx_gt_u32_e32 2, v14
	s_cbranch_execz .LBB559_21
; %bb.20:
	ds_load_b128 v[12:15], v17
	ds_load_b128 v[18:21], v17 offset:32
	s_waitcnt lgkmcnt(0)
	v_add_f64 v[12:13], v[18:19], v[12:13]
	v_add_f64 v[14:15], v[20:21], v[14:15]
	ds_store_b128 v17, v[12:15]
.LBB559_21:
	s_or_b32 exec_lo, exec_lo, s0
	v_dual_mov_b32 v15, v3 :: v_dual_mov_b32 v14, v2
	v_dual_mov_b32 v13, v1 :: v_dual_mov_b32 v12, v0
	s_mov_b32 s0, exec_lo
	s_waitcnt lgkmcnt(0)
	s_barrier
	buffer_gl0_inv
	v_cmpx_gt_u32_e32 32, v16
	s_cbranch_execz .LBB559_23
; %bb.22:
	v_mad_u32_u24 v18, 0x1f0, v16, v17
	ds_load_b128 v[12:15], v18
	ds_load_b128 v[18:21], v18 offset:16
	s_waitcnt lgkmcnt(0)
	v_add_f64 v[12:13], v[18:19], v[12:13]
	v_add_f64 v[14:15], v[20:21], v[14:15]
.LBB559_23:
	s_or_b32 exec_lo, exec_lo, s0
	s_branch .LBB559_36
.LBB559_24:
                                        ; implicit-def: $vgpr14_vgpr15
                                        ; implicit-def: $vgpr12_vgpr13
	s_cbranch_execz .LBB559_36
; %bb.25:
	s_mov_b32 s0, exec_lo
	v_cmpx_gt_u32_e32 0x200, v16
	s_cbranch_execz .LBB559_27
; %bb.26:
	ds_load_b128 v[12:15], v17 offset:8192
	ds_load_b128 v[18:21], v17
	s_waitcnt lgkmcnt(0)
	v_add_f64 v[12:13], v[12:13], v[18:19]
	v_add_f64 v[14:15], v[14:15], v[20:21]
	ds_store_b128 v17, v[12:15]
.LBB559_27:
	s_or_b32 exec_lo, exec_lo, s0
	s_delay_alu instid0(SALU_CYCLE_1)
	s_mov_b32 s0, exec_lo
	s_waitcnt lgkmcnt(0)
	s_barrier
	buffer_gl0_inv
	v_cmpx_gt_u32_e32 0x100, v16
	s_cbranch_execz .LBB559_29
; %bb.28:
	ds_load_b128 v[12:15], v17 offset:4096
	ds_load_b128 v[18:21], v17
	s_waitcnt lgkmcnt(0)
	v_add_f64 v[12:13], v[12:13], v[18:19]
	v_add_f64 v[14:15], v[14:15], v[20:21]
	ds_store_b128 v17, v[12:15]
.LBB559_29:
	s_or_b32 exec_lo, exec_lo, s0
	s_delay_alu instid0(SALU_CYCLE_1)
	s_mov_b32 s0, exec_lo
	s_waitcnt lgkmcnt(0)
	s_barrier
	buffer_gl0_inv
	;; [unrolled: 16-line block ×3, first 2 shown]
	v_cmpx_gt_u32_e32 64, v16
	s_cbranch_execz .LBB559_33
; %bb.32:
	ds_load_b128 v[12:15], v17 offset:1024
	ds_load_b128 v[18:21], v17
	s_waitcnt lgkmcnt(0)
	v_add_f64 v[12:13], v[12:13], v[18:19]
	v_add_f64 v[14:15], v[14:15], v[20:21]
	ds_store_b128 v17, v[12:15]
.LBB559_33:
	s_or_b32 exec_lo, exec_lo, s0
	s_delay_alu instid0(SALU_CYCLE_1)
	s_mov_b32 s0, exec_lo
	s_waitcnt lgkmcnt(0)
	buffer_gl0_inv
	v_cmpx_gt_u32_e32 32, v16
	s_cbranch_execz .LBB559_35
; %bb.34:
	ds_load_b128 v[0:3], v17 offset:512
	ds_load_b128 v[12:15], v17
	s_waitcnt lgkmcnt(0)
	v_add_f64 v[0:1], v[0:1], v[12:13]
	v_add_f64 v[2:3], v[2:3], v[14:15]
.LBB559_35:
	s_or_b32 exec_lo, exec_lo, s0
	s_delay_alu instid0(VALU_DEP_1) | instskip(NEXT) | instid1(VALU_DEP_3)
	v_dual_mov_b32 v15, v3 :: v_dual_mov_b32 v14, v2
	v_dual_mov_b32 v13, v1 :: v_dual_mov_b32 v12, v0
.LBB559_36:
	v_cmp_gt_u32_e32 vcc_lo, 32, v16
	s_and_b32 exec_lo, exec_lo, vcc_lo
	s_cbranch_execz .LBB559_41
; %bb.37:
	s_delay_alu instid0(VALU_DEP_2) | instskip(SKIP_3) | instid1(VALU_DEP_4)
	v_mul_f64 v[0:1], v[14:15], -v[10:11]
	v_mul_f64 v[2:3], v[8:9], v[14:15]
	v_cmp_eq_f64_e32 vcc_lo, 0, v[4:5]
	v_cmp_eq_f64_e64 s0, 0, v[6:7]
	v_fma_f64 v[0:1], v[8:9], v[12:13], v[0:1]
	s_delay_alu instid0(VALU_DEP_4) | instskip(SKIP_1) | instid1(VALU_DEP_4)
	v_fma_f64 v[2:3], v[10:11], v[12:13], v[2:3]
	v_lshl_or_b32 v8, s12, 5, v16
	s_and_b32 s0, vcc_lo, s0
	s_delay_alu instid0(SALU_CYCLE_1) | instskip(NEXT) | instid1(SALU_CYCLE_1)
	s_and_saveexec_b32 s1, s0
	s_xor_b32 s0, exec_lo, s1
	s_cbranch_execz .LBB559_39
; %bb.38:
	v_mov_b32_e32 v9, 0
                                        ; implicit-def: $vgpr6_vgpr7
	s_delay_alu instid0(VALU_DEP_1) | instskip(NEXT) | instid1(VALU_DEP_1)
	v_lshlrev_b64 v[4:5], 4, v[8:9]
                                        ; implicit-def: $vgpr8
	v_add_co_u32 v4, vcc_lo, s8, v4
	s_delay_alu instid0(VALU_DEP_2)
	v_add_co_ci_u32_e32 v5, vcc_lo, s9, v5, vcc_lo
	global_store_b128 v[4:5], v[0:3], off
                                        ; implicit-def: $vgpr4_vgpr5
                                        ; implicit-def: $vgpr0_vgpr1
.LBB559_39:
	s_and_not1_saveexec_b32 s0, s0
	s_cbranch_execz .LBB559_41
; %bb.40:
	v_mov_b32_e32 v9, 0
	s_delay_alu instid0(VALU_DEP_1) | instskip(NEXT) | instid1(VALU_DEP_1)
	v_lshlrev_b64 v[8:9], 4, v[8:9]
	v_add_co_u32 v12, vcc_lo, s8, v8
	s_delay_alu instid0(VALU_DEP_2) | instskip(SKIP_4) | instid1(VALU_DEP_2)
	v_add_co_ci_u32_e32 v13, vcc_lo, s9, v9, vcc_lo
	global_load_b128 v[8:11], v[12:13], off
	s_waitcnt vmcnt(0)
	v_fma_f64 v[0:1], v[4:5], v[8:9], v[0:1]
	v_fma_f64 v[2:3], v[6:7], v[8:9], v[2:3]
	v_fma_f64 v[0:1], -v[6:7], v[10:11], v[0:1]
	s_delay_alu instid0(VALU_DEP_2)
	v_fma_f64 v[2:3], v[4:5], v[10:11], v[2:3]
	global_store_b128 v[12:13], v[0:3], off
.LBB559_41:
	s_nop 0
	s_sendmsg sendmsg(MSG_DEALLOC_VGPRS)
	s_endpgm
	.section	.rodata,"a",@progbits
	.p2align	6, 0x0
	.amdhsa_kernel _ZN9rocsparseL20bsrxmvn_17_32_kernelILj32E21rocsparse_complex_numIdEliS1_IfES2_S2_EEvT2_20rocsparse_direction_NS_24const_host_device_scalarIT0_EES4_PKS4_PKT1_SD_SA_PKT3_PKT4_S8_PT5_21rocsparse_index_base_b
		.amdhsa_group_segment_fixed_size 32768
		.amdhsa_private_segment_fixed_size 0
		.amdhsa_kernarg_size 112
		.amdhsa_user_sgpr_count 15
		.amdhsa_user_sgpr_dispatch_ptr 1
		.amdhsa_user_sgpr_queue_ptr 0
		.amdhsa_user_sgpr_kernarg_segment_ptr 1
		.amdhsa_user_sgpr_dispatch_id 0
		.amdhsa_user_sgpr_private_segment_size 0
		.amdhsa_wavefront_size32 1
		.amdhsa_uses_dynamic_stack 0
		.amdhsa_enable_private_segment 0
		.amdhsa_system_sgpr_workgroup_id_x 1
		.amdhsa_system_sgpr_workgroup_id_y 0
		.amdhsa_system_sgpr_workgroup_id_z 0
		.amdhsa_system_sgpr_workgroup_info 0
		.amdhsa_system_vgpr_workitem_id 2
		.amdhsa_next_free_vgpr 26
		.amdhsa_next_free_sgpr 26
		.amdhsa_reserve_vcc 1
		.amdhsa_float_round_mode_32 0
		.amdhsa_float_round_mode_16_64 0
		.amdhsa_float_denorm_mode_32 3
		.amdhsa_float_denorm_mode_16_64 3
		.amdhsa_dx10_clamp 1
		.amdhsa_ieee_mode 1
		.amdhsa_fp16_overflow 0
		.amdhsa_workgroup_processor_mode 1
		.amdhsa_memory_ordered 1
		.amdhsa_forward_progress 0
		.amdhsa_shared_vgpr_count 0
		.amdhsa_exception_fp_ieee_invalid_op 0
		.amdhsa_exception_fp_denorm_src 0
		.amdhsa_exception_fp_ieee_div_zero 0
		.amdhsa_exception_fp_ieee_overflow 0
		.amdhsa_exception_fp_ieee_underflow 0
		.amdhsa_exception_fp_ieee_inexact 0
		.amdhsa_exception_int_div_zero 0
	.end_amdhsa_kernel
	.section	.text._ZN9rocsparseL20bsrxmvn_17_32_kernelILj32E21rocsparse_complex_numIdEliS1_IfES2_S2_EEvT2_20rocsparse_direction_NS_24const_host_device_scalarIT0_EES4_PKS4_PKT1_SD_SA_PKT3_PKT4_S8_PT5_21rocsparse_index_base_b,"axG",@progbits,_ZN9rocsparseL20bsrxmvn_17_32_kernelILj32E21rocsparse_complex_numIdEliS1_IfES2_S2_EEvT2_20rocsparse_direction_NS_24const_host_device_scalarIT0_EES4_PKS4_PKT1_SD_SA_PKT3_PKT4_S8_PT5_21rocsparse_index_base_b,comdat
.Lfunc_end559:
	.size	_ZN9rocsparseL20bsrxmvn_17_32_kernelILj32E21rocsparse_complex_numIdEliS1_IfES2_S2_EEvT2_20rocsparse_direction_NS_24const_host_device_scalarIT0_EES4_PKS4_PKT1_SD_SA_PKT3_PKT4_S8_PT5_21rocsparse_index_base_b, .Lfunc_end559-_ZN9rocsparseL20bsrxmvn_17_32_kernelILj32E21rocsparse_complex_numIdEliS1_IfES2_S2_EEvT2_20rocsparse_direction_NS_24const_host_device_scalarIT0_EES4_PKS4_PKT1_SD_SA_PKT3_PKT4_S8_PT5_21rocsparse_index_base_b
                                        ; -- End function
	.section	.AMDGPU.csdata,"",@progbits
; Kernel info:
; codeLenInByte = 1964
; NumSgprs: 28
; NumVgprs: 26
; ScratchSize: 0
; MemoryBound: 0
; FloatMode: 240
; IeeeMode: 1
; LDSByteSize: 32768 bytes/workgroup (compile time only)
; SGPRBlocks: 3
; VGPRBlocks: 3
; NumSGPRsForWavesPerEU: 28
; NumVGPRsForWavesPerEU: 26
; Occupancy: 16
; WaveLimiterHint : 1
; COMPUTE_PGM_RSRC2:SCRATCH_EN: 0
; COMPUTE_PGM_RSRC2:USER_SGPR: 15
; COMPUTE_PGM_RSRC2:TRAP_HANDLER: 0
; COMPUTE_PGM_RSRC2:TGID_X_EN: 1
; COMPUTE_PGM_RSRC2:TGID_Y_EN: 0
; COMPUTE_PGM_RSRC2:TGID_Z_EN: 0
; COMPUTE_PGM_RSRC2:TIDIG_COMP_CNT: 2
	.section	.text._ZN9rocsparseL20bsrxmvn_17_32_kernelILj17E21rocsparse_complex_numIdEllS1_IfES2_S2_EEvT2_20rocsparse_direction_NS_24const_host_device_scalarIT0_EES4_PKS4_PKT1_SD_SA_PKT3_PKT4_S8_PT5_21rocsparse_index_base_b,"axG",@progbits,_ZN9rocsparseL20bsrxmvn_17_32_kernelILj17E21rocsparse_complex_numIdEllS1_IfES2_S2_EEvT2_20rocsparse_direction_NS_24const_host_device_scalarIT0_EES4_PKS4_PKT1_SD_SA_PKT3_PKT4_S8_PT5_21rocsparse_index_base_b,comdat
	.globl	_ZN9rocsparseL20bsrxmvn_17_32_kernelILj17E21rocsparse_complex_numIdEllS1_IfES2_S2_EEvT2_20rocsparse_direction_NS_24const_host_device_scalarIT0_EES4_PKS4_PKT1_SD_SA_PKT3_PKT4_S8_PT5_21rocsparse_index_base_b ; -- Begin function _ZN9rocsparseL20bsrxmvn_17_32_kernelILj17E21rocsparse_complex_numIdEllS1_IfES2_S2_EEvT2_20rocsparse_direction_NS_24const_host_device_scalarIT0_EES4_PKS4_PKT1_SD_SA_PKT3_PKT4_S8_PT5_21rocsparse_index_base_b
	.p2align	8
	.type	_ZN9rocsparseL20bsrxmvn_17_32_kernelILj17E21rocsparse_complex_numIdEllS1_IfES2_S2_EEvT2_20rocsparse_direction_NS_24const_host_device_scalarIT0_EES4_PKS4_PKT1_SD_SA_PKT3_PKT4_S8_PT5_21rocsparse_index_base_b,@function
_ZN9rocsparseL20bsrxmvn_17_32_kernelILj17E21rocsparse_complex_numIdEllS1_IfES2_S2_EEvT2_20rocsparse_direction_NS_24const_host_device_scalarIT0_EES4_PKS4_PKT1_SD_SA_PKT3_PKT4_S8_PT5_21rocsparse_index_base_b: ; @_ZN9rocsparseL20bsrxmvn_17_32_kernelILj17E21rocsparse_complex_numIdEllS1_IfES2_S2_EEvT2_20rocsparse_direction_NS_24const_host_device_scalarIT0_EES4_PKS4_PKT1_SD_SA_PKT3_PKT4_S8_PT5_21rocsparse_index_base_b
; %bb.0:
	s_mov_b32 s12, s15
	s_clause 0x1
	s_load_b64 s[14:15], s[2:3], 0x70
	s_load_b128 s[4:7], s[2:3], 0x10
	s_load_b64 s[16:17], s[0:1], 0x4
	s_mov_b64 s[0:1], src_shared_base
	v_and_b32_e32 v18, 0x3ff, v0
	s_load_b128 s[8:11], s[2:3], 0x58
	v_bfe_u32 v2, v0, 10, 10
	v_bfe_u32 v0, v0, 20, 10
	s_waitcnt lgkmcnt(0)
	s_bitcmp1_b32 s15, 0
	v_mov_b32_e32 v11, s7
	s_cselect_b32 s0, -1, 0
	v_mov_b32_e32 v10, s6
	s_and_b32 vcc_lo, s0, exec_lo
	s_cselect_b32 s13, s1, s5
	s_lshr_b32 s15, s16, 16
	s_xor_b32 s6, s0, -1
	s_mul_i32 s15, s15, s17
	v_mov_b32_e32 v5, s13
	v_mul_lo_u32 v1, s15, v18
	s_delay_alu instid0(VALU_DEP_1) | instskip(SKIP_1) | instid1(VALU_DEP_2)
	v_mad_u32_u24 v1, v2, s17, v1
	v_dual_mov_b32 v2, s8 :: v_dual_mov_b32 v3, s9
	v_add_lshl_u32 v6, v1, v0, 3
	v_dual_mov_b32 v0, s4 :: v_dual_mov_b32 v1, s5
	ds_store_b64 v6, v[0:1] offset:6936
	ds_store_b64 v6, v[2:3] offset:4624
	v_add_nc_u32_e32 v4, 0x1b18, v6
	v_add_nc_u32_e32 v0, 0x1210, v6
	s_delay_alu instid0(VALU_DEP_2)
	v_cndmask_b32_e64 v4, s4, v4, s0
	flat_load_b64 v[8:9], v[4:5]
	s_cbranch_vccnz .LBB560_2
; %bb.1:
	v_dual_mov_b32 v1, s4 :: v_dual_mov_b32 v2, s5
	flat_load_b64 v[10:11], v[1:2] offset:8
.LBB560_2:
	s_and_b32 s4, s0, exec_lo
	s_cselect_b32 s1, s1, s9
	v_cndmask_b32_e64 v0, s8, v0, s0
	v_dual_mov_b32 v1, s1 :: v_dual_mov_b32 v6, s10
	v_mov_b32_e32 v7, s11
	s_and_not1_b32 vcc_lo, exec_lo, s6
	flat_load_b64 v[4:5], v[0:1]
	s_cbranch_vccnz .LBB560_4
; %bb.3:
	v_dual_mov_b32 v0, s8 :: v_dual_mov_b32 v1, s9
	flat_load_b64 v[6:7], v[0:1] offset:8
.LBB560_4:
	s_waitcnt vmcnt(1) lgkmcnt(1)
	v_cmp_eq_f64_e32 vcc_lo, 0, v[8:9]
	v_cmp_eq_f64_e64 s0, 0, v[10:11]
	s_delay_alu instid0(VALU_DEP_1)
	s_and_b32 s4, vcc_lo, s0
	s_mov_b32 s0, -1
	s_and_saveexec_b32 s1, s4
	s_cbranch_execz .LBB560_6
; %bb.5:
	s_waitcnt vmcnt(0) lgkmcnt(0)
	v_cmp_neq_f64_e32 vcc_lo, 1.0, v[4:5]
	v_cmp_neq_f64_e64 s0, 0, v[6:7]
	s_delay_alu instid0(VALU_DEP_1) | instskip(NEXT) | instid1(SALU_CYCLE_1)
	s_or_b32 s0, vcc_lo, s0
	s_or_not1_b32 s0, s0, exec_lo
.LBB560_6:
	s_or_b32 exec_lo, exec_lo, s1
	s_and_saveexec_b32 s1, s0
	s_cbranch_execz .LBB560_43
; %bb.7:
	s_clause 0x1
	s_load_b128 s[4:7], s[2:3], 0x28
	s_load_b64 s[8:9], s[2:3], 0x38
	s_mov_b32 s13, 0
	s_waitcnt lgkmcnt(0)
	s_cmp_eq_u64 s[4:5], 0
	s_cbranch_scc1 .LBB560_9
; %bb.8:
	s_lshl_b64 s[0:1], s[12:13], 3
	s_delay_alu instid0(SALU_CYCLE_1)
	s_add_u32 s0, s4, s0
	s_addc_u32 s1, s5, s1
	s_load_b64 s[0:1], s[0:1], 0x0
	s_waitcnt lgkmcnt(0)
	s_sub_u32 s12, s0, s14
	s_subb_u32 s13, s1, 0
.LBB560_9:
	s_load_b32 s1, s[2:3], 0x8
	v_mul_u32_u24_e32 v0, 0xf10, v18
	v_mov_b32_e32 v2, 0
	v_mov_b32_e32 v3, 0
	s_delay_alu instid0(VALU_DEP_3) | instskip(NEXT) | instid1(VALU_DEP_1)
	v_lshrrev_b32_e32 v12, 16, v0
	v_mul_lo_u16 v0, v12, 17
	s_delay_alu instid0(VALU_DEP_1) | instskip(NEXT) | instid1(VALU_DEP_4)
	v_sub_nc_u16 v19, v18, v0
	v_dual_mov_b32 v0, v2 :: v_dual_mov_b32 v1, v3
	s_waitcnt lgkmcnt(0)
	s_cmp_eq_u32 s1, 1
	s_cselect_b32 s0, -1, 0
	s_cmp_lg_u32 s1, 1
	s_cselect_b32 s1, -1, 0
	s_lshl_b64 s[4:5], s[12:13], 3
	s_delay_alu instid0(SALU_CYCLE_1)
	s_add_u32 s6, s6, s4
	s_addc_u32 s7, s7, s5
	s_add_u32 s10, s6, 8
	s_addc_u32 s11, s7, 0
	;; [unrolled: 2-line block ×3, first 2 shown]
	s_cmp_eq_u64 s[8:9], 0
	s_load_b64 s[8:9], s[2:3], 0x68
	s_cselect_b32 s5, s11, s5
	s_cselect_b32 s4, s10, s4
	s_load_b64 s[16:17], s[6:7], 0x0
	s_load_b64 s[10:11], s[4:5], 0x0
	s_waitcnt lgkmcnt(0)
	v_cmp_ge_i64_e64 s4, s[16:17], s[10:11]
	s_delay_alu instid0(VALU_DEP_1)
	s_and_b32 vcc_lo, exec_lo, s4
	s_cbranch_vccnz .LBB560_14
; %bb.10:
	v_mul_lo_u16 v0, v12, 31
	v_and_b32_e32 v2, 0xffff, v18
	s_clause 0x1
	s_load_b64 s[18:19], s[2:3], 0x50
	s_load_b128 s[4:7], s[2:3], 0x40
	v_and_b32_e32 v1, 0xffff, v19
	s_sub_u32 s2, s10, s14
	v_lshrrev_b16 v0, 9, v0
	v_mul_u32_u24_e32 v2, 0xe3, v2
	s_subb_u32 s3, s11, 0
	s_sub_u32 s10, s16, s14
	s_subb_u32 s11, s17, 0
	v_mul_lo_u16 v0, v0, 17
	v_lshrrev_b32_e32 v20, 16, v2
	s_mul_hi_u32 s15, s10, 0x908
	s_mul_i32 s20, s11, 0x908
	s_mul_i32 s21, s10, 0x908
	v_sub_nc_u16 v0, v12, v0
	s_add_i32 s15, s15, s20
	v_lshlrev_b32_e32 v14, 3, v18
	s_delay_alu instid0(VALU_DEP_2) | instskip(NEXT) | instid1(VALU_DEP_1)
	v_and_b32_e32 v0, 0xff, v0
	v_cndmask_b32_e64 v0, v1, v0, s0
	v_add_co_u32 v1, s0, s16, v20
	s_delay_alu instid0(VALU_DEP_1) | instskip(NEXT) | instid1(VALU_DEP_3)
	v_add_co_ci_u32_e64 v2, null, s17, 0, s0
	v_lshlrev_b32_e32 v3, 4, v0
	s_delay_alu instid0(VALU_DEP_3) | instskip(NEXT) | instid1(VALU_DEP_3)
	v_sub_co_u32 v0, vcc_lo, v1, s14
	v_subrev_co_ci_u32_e32 v1, vcc_lo, 0, v2, vcc_lo
	s_waitcnt lgkmcnt(0)
	s_add_u32 s0, s6, s21
	s_addc_u32 s6, s7, s15
	v_add_co_u32 v12, s7, s18, v3
	v_lshlrev_b64 v[0:1], 3, v[0:1]
	v_mov_b32_e32 v2, 0
	v_mov_b32_e32 v3, 0
	v_add_co_u32 v14, s0, s0, v14
	v_add_co_ci_u32_e64 v13, null, s19, 0, s7
	v_add_co_u32 v16, vcc_lo, s4, v0
	v_add_co_ci_u32_e32 v17, vcc_lo, s5, v1, vcc_lo
	v_dual_mov_b32 v0, v2 :: v_dual_mov_b32 v1, v3
	v_add_co_ci_u32_e64 v15, null, s6, 0, s0
	s_branch .LBB560_12
.LBB560_11:                             ;   in Loop: Header=BB560_12 Depth=1
	s_or_b32 exec_lo, exec_lo, s0
	s_add_u32 s10, s10, 1
	s_addc_u32 s11, s11, 0
	v_add_co_u32 v16, vcc_lo, v16, 8
	v_cmp_lt_i64_e64 s0, s[10:11], s[2:3]
	v_add_co_ci_u32_e32 v17, vcc_lo, 0, v17, vcc_lo
	s_delay_alu instid0(VALU_DEP_2)
	s_and_b32 vcc_lo, exec_lo, s0
	s_cbranch_vccz .LBB560_14
.LBB560_12:                             ; =>This Inner Loop Header: Depth=1
	v_add_co_u32 v21, s0, v20, s10
	s_delay_alu instid0(VALU_DEP_1) | instskip(SKIP_1) | instid1(VALU_DEP_1)
	v_add_co_ci_u32_e64 v22, null, 0, s11, s0
	s_mov_b32 s0, exec_lo
	v_cmpx_gt_i64_e64 s[2:3], v[21:22]
	s_cbranch_execz .LBB560_11
; %bb.13:                               ;   in Loop: Header=BB560_12 Depth=1
	global_load_b64 v[21:22], v[16:17], off
	global_load_b64 v[25:26], v[14:15], off
	s_waitcnt vmcnt(1)
	v_sub_co_u32 v23, vcc_lo, v21, s14
	v_subrev_co_ci_u32_e32 v27, vcc_lo, 0, v22, vcc_lo
	v_add_co_u32 v14, vcc_lo, 0x908, v14
	s_delay_alu instid0(VALU_DEP_3) | instskip(SKIP_1) | instid1(VALU_DEP_2)
	v_mad_u64_u32 v[21:22], null, 0x110, v23, v[12:13]
	v_add_co_ci_u32_e32 v15, vcc_lo, 0, v15, vcc_lo
	v_mad_u64_u32 v[23:24], null, 0x110, v27, v[22:23]
	s_waitcnt vmcnt(0)
	v_cvt_f64_f32_e32 v[27:28], v25
	v_cvt_f64_f32_e32 v[25:26], v26
	s_delay_alu instid0(VALU_DEP_3) | instskip(SKIP_4) | instid1(VALU_DEP_2)
	v_mov_b32_e32 v22, v23
	global_load_b128 v[21:24], v[21:22], off
	s_waitcnt vmcnt(0)
	v_fma_f64 v[0:1], v[27:28], v[21:22], v[0:1]
	v_fma_f64 v[2:3], v[25:26], v[21:22], v[2:3]
	v_fma_f64 v[0:1], -v[25:26], v[23:24], v[0:1]
	s_delay_alu instid0(VALU_DEP_2)
	v_fma_f64 v[2:3], v[27:28], v[23:24], v[2:3]
	s_branch .LBB560_11
.LBB560_14:
	v_lshlrev_b32_e32 v16, 4, v18
	s_and_b32 vcc_lo, exec_lo, s1
	ds_store_b128 v16, v[0:3]
	s_waitcnt vmcnt(0) lgkmcnt(0)
	s_barrier
	buffer_gl0_inv
	s_cbranch_vccz .LBB560_26
; %bb.15:
	s_mov_b32 s0, exec_lo
	v_cmpx_eq_u16_e32 0, v19
	s_cbranch_execz .LBB560_17
; %bb.16:
	ds_load_b128 v[12:15], v16 offset:256
	ds_load_b128 v[20:23], v16
	s_waitcnt lgkmcnt(0)
	v_add_f64 v[12:13], v[12:13], v[20:21]
	v_add_f64 v[14:15], v[14:15], v[22:23]
	ds_store_b128 v16, v[12:15]
.LBB560_17:
	s_or_b32 exec_lo, exec_lo, s0
	s_delay_alu instid0(SALU_CYCLE_1)
	s_mov_b32 s0, exec_lo
	s_waitcnt lgkmcnt(0)
	s_barrier
	buffer_gl0_inv
	v_cmpx_gt_u16_e32 8, v19
	s_cbranch_execz .LBB560_19
; %bb.18:
	ds_load_b128 v[12:15], v16 offset:128
	ds_load_b128 v[20:23], v16
	s_waitcnt lgkmcnt(0)
	v_add_f64 v[12:13], v[12:13], v[20:21]
	v_add_f64 v[14:15], v[14:15], v[22:23]
	ds_store_b128 v16, v[12:15]
.LBB560_19:
	s_or_b32 exec_lo, exec_lo, s0
	s_delay_alu instid0(SALU_CYCLE_1)
	s_mov_b32 s0, exec_lo
	s_waitcnt lgkmcnt(0)
	s_barrier
	buffer_gl0_inv
	v_cmpx_gt_u16_e32 4, v19
	;; [unrolled: 16-line block ×3, first 2 shown]
	s_cbranch_execz .LBB560_23
; %bb.22:
	ds_load_b128 v[12:15], v16
	ds_load_b128 v[19:22], v16 offset:32
	s_waitcnt lgkmcnt(0)
	v_add_f64 v[12:13], v[19:20], v[12:13]
	v_add_f64 v[14:15], v[21:22], v[14:15]
	ds_store_b128 v16, v[12:15]
.LBB560_23:
	s_or_b32 exec_lo, exec_lo, s0
	v_dual_mov_b32 v15, v3 :: v_dual_mov_b32 v14, v2
	v_dual_mov_b32 v13, v1 :: v_dual_mov_b32 v12, v0
	s_mov_b32 s0, exec_lo
	s_waitcnt lgkmcnt(0)
	s_barrier
	buffer_gl0_inv
	v_cmpx_gt_u32_e32 17, v18
	s_cbranch_execz .LBB560_25
; %bb.24:
	v_mul_u32_u24_e32 v12, 17, v18
	s_delay_alu instid0(VALU_DEP_1)
	v_lshlrev_b32_e32 v17, 4, v12
	ds_load_b128 v[12:15], v17
	ds_load_b128 v[19:22], v17 offset:16
	s_waitcnt lgkmcnt(0)
	v_add_f64 v[12:13], v[19:20], v[12:13]
	v_add_f64 v[14:15], v[21:22], v[14:15]
.LBB560_25:
	s_or_b32 exec_lo, exec_lo, s0
	v_cmp_gt_u32_e64 s0, 17, v18
	s_branch .LBB560_38
.LBB560_26:
                                        ; implicit-def: $vgpr14_vgpr15
                                        ; implicit-def: $vgpr12_vgpr13
	v_cmp_gt_u32_e64 s0, 17, v18
	s_cbranch_execz .LBB560_38
; %bb.27:
	s_delay_alu instid0(VALU_DEP_1)
	s_and_saveexec_b32 s1, s0
	s_cbranch_execz .LBB560_29
; %bb.28:
	ds_load_b128 v[12:15], v16 offset:4352
	ds_load_b128 v[19:22], v16
	s_waitcnt lgkmcnt(0)
	v_add_f64 v[12:13], v[12:13], v[19:20]
	v_add_f64 v[14:15], v[14:15], v[21:22]
	ds_store_b128 v16, v[12:15]
.LBB560_29:
	s_or_b32 exec_lo, exec_lo, s1
	s_delay_alu instid0(SALU_CYCLE_1)
	s_mov_b32 s1, exec_lo
	s_waitcnt lgkmcnt(0)
	s_barrier
	buffer_gl0_inv
	v_cmpx_gt_u32_e32 0x88, v18
	s_cbranch_execz .LBB560_31
; %bb.30:
	ds_load_b128 v[12:15], v16 offset:2176
	ds_load_b128 v[19:22], v16
	s_waitcnt lgkmcnt(0)
	v_add_f64 v[12:13], v[12:13], v[19:20]
	v_add_f64 v[14:15], v[14:15], v[21:22]
	ds_store_b128 v16, v[12:15]
.LBB560_31:
	s_or_b32 exec_lo, exec_lo, s1
	s_delay_alu instid0(SALU_CYCLE_1)
	s_mov_b32 s1, exec_lo
	s_waitcnt lgkmcnt(0)
	s_barrier
	buffer_gl0_inv
	v_cmpx_gt_u32_e32 0x44, v18
	;; [unrolled: 16-line block ×3, first 2 shown]
	s_cbranch_execz .LBB560_35
; %bb.34:
	ds_load_b128 v[12:15], v16 offset:544
	ds_load_b128 v[19:22], v16
	s_waitcnt lgkmcnt(0)
	v_add_f64 v[12:13], v[12:13], v[19:20]
	v_add_f64 v[14:15], v[14:15], v[21:22]
	ds_store_b128 v16, v[12:15]
.LBB560_35:
	s_or_b32 exec_lo, exec_lo, s1
	s_waitcnt lgkmcnt(0)
	buffer_gl0_inv
	s_and_saveexec_b32 s1, s0
	s_cbranch_execz .LBB560_37
; %bb.36:
	ds_load_b128 v[0:3], v16 offset:272
	ds_load_b128 v[12:15], v16
	s_waitcnt lgkmcnt(0)
	v_add_f64 v[0:1], v[0:1], v[12:13]
	v_add_f64 v[2:3], v[2:3], v[14:15]
.LBB560_37:
	s_or_b32 exec_lo, exec_lo, s1
	s_delay_alu instid0(VALU_DEP_1) | instskip(NEXT) | instid1(VALU_DEP_3)
	v_dual_mov_b32 v15, v3 :: v_dual_mov_b32 v14, v2
	v_dual_mov_b32 v13, v1 :: v_dual_mov_b32 v12, v0
.LBB560_38:
	v_cmp_gt_u32_e32 vcc_lo, 17, v18
	s_and_b32 exec_lo, exec_lo, vcc_lo
	s_cbranch_execz .LBB560_43
; %bb.39:
	s_delay_alu instid0(VALU_DEP_3)
	v_mul_f64 v[0:1], v[14:15], -v[10:11]
	v_mul_f64 v[2:3], v[8:9], v[14:15]
	v_cmp_eq_f64_e32 vcc_lo, 0, v[4:5]
	v_cmp_eq_f64_e64 s0, 0, v[6:7]
	s_mul_hi_u32 s1, s12, 0x110
	s_mul_i32 s2, s12, 0x110
	s_delay_alu instid0(VALU_DEP_4) | instskip(NEXT) | instid1(VALU_DEP_4)
	v_fma_f64 v[0:1], v[8:9], v[12:13], v[0:1]
	v_fma_f64 v[2:3], v[10:11], v[12:13], v[2:3]
	s_delay_alu instid0(VALU_DEP_3) | instskip(SKIP_2) | instid1(SALU_CYCLE_1)
	s_and_b32 s3, vcc_lo, s0
	s_mul_i32 s0, s13, 0x110
	s_and_saveexec_b32 s4, s3
	s_xor_b32 s3, exec_lo, s4
	s_cbranch_execz .LBB560_41
; %bb.40:
	s_add_i32 s5, s1, s0
	s_add_u32 s4, s8, s2
	s_addc_u32 s5, s9, s5
                                        ; implicit-def: $vgpr4_vgpr5
                                        ; implicit-def: $vgpr6_vgpr7
	global_store_b128 v16, v[0:3], s[4:5]
                                        ; implicit-def: $vgpr16
                                        ; implicit-def: $vgpr0_vgpr1
.LBB560_41:
	s_and_not1_saveexec_b32 s3, s3
	s_cbranch_execz .LBB560_43
; %bb.42:
	s_add_i32 s1, s1, s0
	s_add_u32 s0, s8, s2
	s_addc_u32 s1, s9, s1
	global_load_b128 v[8:11], v16, s[0:1]
	s_waitcnt vmcnt(0)
	v_fma_f64 v[0:1], v[4:5], v[8:9], v[0:1]
	v_fma_f64 v[2:3], v[6:7], v[8:9], v[2:3]
	s_delay_alu instid0(VALU_DEP_2) | instskip(NEXT) | instid1(VALU_DEP_2)
	v_fma_f64 v[0:1], -v[6:7], v[10:11], v[0:1]
	v_fma_f64 v[2:3], v[4:5], v[10:11], v[2:3]
	global_store_b128 v16, v[0:3], s[0:1]
.LBB560_43:
	s_nop 0
	s_sendmsg sendmsg(MSG_DEALLOC_VGPRS)
	s_endpgm
	.section	.rodata,"a",@progbits
	.p2align	6, 0x0
	.amdhsa_kernel _ZN9rocsparseL20bsrxmvn_17_32_kernelILj17E21rocsparse_complex_numIdEllS1_IfES2_S2_EEvT2_20rocsparse_direction_NS_24const_host_device_scalarIT0_EES4_PKS4_PKT1_SD_SA_PKT3_PKT4_S8_PT5_21rocsparse_index_base_b
		.amdhsa_group_segment_fixed_size 9248
		.amdhsa_private_segment_fixed_size 0
		.amdhsa_kernarg_size 120
		.amdhsa_user_sgpr_count 15
		.amdhsa_user_sgpr_dispatch_ptr 1
		.amdhsa_user_sgpr_queue_ptr 0
		.amdhsa_user_sgpr_kernarg_segment_ptr 1
		.amdhsa_user_sgpr_dispatch_id 0
		.amdhsa_user_sgpr_private_segment_size 0
		.amdhsa_wavefront_size32 1
		.amdhsa_uses_dynamic_stack 0
		.amdhsa_enable_private_segment 0
		.amdhsa_system_sgpr_workgroup_id_x 1
		.amdhsa_system_sgpr_workgroup_id_y 0
		.amdhsa_system_sgpr_workgroup_id_z 0
		.amdhsa_system_sgpr_workgroup_info 0
		.amdhsa_system_vgpr_workitem_id 2
		.amdhsa_next_free_vgpr 29
		.amdhsa_next_free_sgpr 22
		.amdhsa_reserve_vcc 1
		.amdhsa_float_round_mode_32 0
		.amdhsa_float_round_mode_16_64 0
		.amdhsa_float_denorm_mode_32 3
		.amdhsa_float_denorm_mode_16_64 3
		.amdhsa_dx10_clamp 1
		.amdhsa_ieee_mode 1
		.amdhsa_fp16_overflow 0
		.amdhsa_workgroup_processor_mode 1
		.amdhsa_memory_ordered 1
		.amdhsa_forward_progress 0
		.amdhsa_shared_vgpr_count 0
		.amdhsa_exception_fp_ieee_invalid_op 0
		.amdhsa_exception_fp_denorm_src 0
		.amdhsa_exception_fp_ieee_div_zero 0
		.amdhsa_exception_fp_ieee_overflow 0
		.amdhsa_exception_fp_ieee_underflow 0
		.amdhsa_exception_fp_ieee_inexact 0
		.amdhsa_exception_int_div_zero 0
	.end_amdhsa_kernel
	.section	.text._ZN9rocsparseL20bsrxmvn_17_32_kernelILj17E21rocsparse_complex_numIdEllS1_IfES2_S2_EEvT2_20rocsparse_direction_NS_24const_host_device_scalarIT0_EES4_PKS4_PKT1_SD_SA_PKT3_PKT4_S8_PT5_21rocsparse_index_base_b,"axG",@progbits,_ZN9rocsparseL20bsrxmvn_17_32_kernelILj17E21rocsparse_complex_numIdEllS1_IfES2_S2_EEvT2_20rocsparse_direction_NS_24const_host_device_scalarIT0_EES4_PKS4_PKT1_SD_SA_PKT3_PKT4_S8_PT5_21rocsparse_index_base_b,comdat
.Lfunc_end560:
	.size	_ZN9rocsparseL20bsrxmvn_17_32_kernelILj17E21rocsparse_complex_numIdEllS1_IfES2_S2_EEvT2_20rocsparse_direction_NS_24const_host_device_scalarIT0_EES4_PKS4_PKT1_SD_SA_PKT3_PKT4_S8_PT5_21rocsparse_index_base_b, .Lfunc_end560-_ZN9rocsparseL20bsrxmvn_17_32_kernelILj17E21rocsparse_complex_numIdEllS1_IfES2_S2_EEvT2_20rocsparse_direction_NS_24const_host_device_scalarIT0_EES4_PKS4_PKT1_SD_SA_PKT3_PKT4_S8_PT5_21rocsparse_index_base_b
                                        ; -- End function
	.section	.AMDGPU.csdata,"",@progbits
; Kernel info:
; codeLenInByte = 2168
; NumSgprs: 24
; NumVgprs: 29
; ScratchSize: 0
; MemoryBound: 0
; FloatMode: 240
; IeeeMode: 1
; LDSByteSize: 9248 bytes/workgroup (compile time only)
; SGPRBlocks: 2
; VGPRBlocks: 3
; NumSGPRsForWavesPerEU: 24
; NumVGPRsForWavesPerEU: 29
; Occupancy: 15
; WaveLimiterHint : 1
; COMPUTE_PGM_RSRC2:SCRATCH_EN: 0
; COMPUTE_PGM_RSRC2:USER_SGPR: 15
; COMPUTE_PGM_RSRC2:TRAP_HANDLER: 0
; COMPUTE_PGM_RSRC2:TGID_X_EN: 1
; COMPUTE_PGM_RSRC2:TGID_Y_EN: 0
; COMPUTE_PGM_RSRC2:TGID_Z_EN: 0
; COMPUTE_PGM_RSRC2:TIDIG_COMP_CNT: 2
	.section	.text._ZN9rocsparseL20bsrxmvn_17_32_kernelILj18E21rocsparse_complex_numIdEllS1_IfES2_S2_EEvT2_20rocsparse_direction_NS_24const_host_device_scalarIT0_EES4_PKS4_PKT1_SD_SA_PKT3_PKT4_S8_PT5_21rocsparse_index_base_b,"axG",@progbits,_ZN9rocsparseL20bsrxmvn_17_32_kernelILj18E21rocsparse_complex_numIdEllS1_IfES2_S2_EEvT2_20rocsparse_direction_NS_24const_host_device_scalarIT0_EES4_PKS4_PKT1_SD_SA_PKT3_PKT4_S8_PT5_21rocsparse_index_base_b,comdat
	.globl	_ZN9rocsparseL20bsrxmvn_17_32_kernelILj18E21rocsparse_complex_numIdEllS1_IfES2_S2_EEvT2_20rocsparse_direction_NS_24const_host_device_scalarIT0_EES4_PKS4_PKT1_SD_SA_PKT3_PKT4_S8_PT5_21rocsparse_index_base_b ; -- Begin function _ZN9rocsparseL20bsrxmvn_17_32_kernelILj18E21rocsparse_complex_numIdEllS1_IfES2_S2_EEvT2_20rocsparse_direction_NS_24const_host_device_scalarIT0_EES4_PKS4_PKT1_SD_SA_PKT3_PKT4_S8_PT5_21rocsparse_index_base_b
	.p2align	8
	.type	_ZN9rocsparseL20bsrxmvn_17_32_kernelILj18E21rocsparse_complex_numIdEllS1_IfES2_S2_EEvT2_20rocsparse_direction_NS_24const_host_device_scalarIT0_EES4_PKS4_PKT1_SD_SA_PKT3_PKT4_S8_PT5_21rocsparse_index_base_b,@function
_ZN9rocsparseL20bsrxmvn_17_32_kernelILj18E21rocsparse_complex_numIdEllS1_IfES2_S2_EEvT2_20rocsparse_direction_NS_24const_host_device_scalarIT0_EES4_PKS4_PKT1_SD_SA_PKT3_PKT4_S8_PT5_21rocsparse_index_base_b: ; @_ZN9rocsparseL20bsrxmvn_17_32_kernelILj18E21rocsparse_complex_numIdEllS1_IfES2_S2_EEvT2_20rocsparse_direction_NS_24const_host_device_scalarIT0_EES4_PKS4_PKT1_SD_SA_PKT3_PKT4_S8_PT5_21rocsparse_index_base_b
; %bb.0:
	s_mov_b32 s12, s15
	s_clause 0x1
	s_load_b64 s[14:15], s[2:3], 0x70
	s_load_b128 s[4:7], s[2:3], 0x10
	s_load_b64 s[16:17], s[0:1], 0x4
	s_mov_b64 s[0:1], src_shared_base
	v_and_b32_e32 v18, 0x3ff, v0
	s_load_b128 s[8:11], s[2:3], 0x58
	v_bfe_u32 v2, v0, 10, 10
	v_bfe_u32 v0, v0, 20, 10
	s_waitcnt lgkmcnt(0)
	s_bitcmp1_b32 s15, 0
	v_mov_b32_e32 v11, s7
	s_cselect_b32 s0, -1, 0
	v_mov_b32_e32 v10, s6
	s_and_b32 vcc_lo, s0, exec_lo
	s_cselect_b32 s13, s1, s5
	s_lshr_b32 s15, s16, 16
	s_xor_b32 s6, s0, -1
	s_mul_i32 s15, s15, s17
	v_mov_b32_e32 v5, s13
	v_mul_lo_u32 v1, s15, v18
	s_delay_alu instid0(VALU_DEP_1) | instskip(SKIP_1) | instid1(VALU_DEP_2)
	v_mad_u32_u24 v1, v2, s17, v1
	v_dual_mov_b32 v2, s8 :: v_dual_mov_b32 v3, s9
	v_add_lshl_u32 v6, v1, v0, 3
	v_dual_mov_b32 v0, s4 :: v_dual_mov_b32 v1, s5
	ds_store_b64 v6, v[0:1] offset:7776
	ds_store_b64 v6, v[2:3] offset:5184
	v_add_nc_u32_e32 v4, 0x1e60, v6
	v_add_nc_u32_e32 v0, 0x1440, v6
	s_delay_alu instid0(VALU_DEP_2)
	v_cndmask_b32_e64 v4, s4, v4, s0
	flat_load_b64 v[8:9], v[4:5]
	s_cbranch_vccnz .LBB561_2
; %bb.1:
	v_dual_mov_b32 v1, s4 :: v_dual_mov_b32 v2, s5
	flat_load_b64 v[10:11], v[1:2] offset:8
.LBB561_2:
	s_and_b32 s4, s0, exec_lo
	s_cselect_b32 s1, s1, s9
	v_cndmask_b32_e64 v0, s8, v0, s0
	v_dual_mov_b32 v1, s1 :: v_dual_mov_b32 v6, s10
	v_mov_b32_e32 v7, s11
	s_and_not1_b32 vcc_lo, exec_lo, s6
	flat_load_b64 v[4:5], v[0:1]
	s_cbranch_vccnz .LBB561_4
; %bb.3:
	v_dual_mov_b32 v0, s8 :: v_dual_mov_b32 v1, s9
	flat_load_b64 v[6:7], v[0:1] offset:8
.LBB561_4:
	s_waitcnt vmcnt(1) lgkmcnt(1)
	v_cmp_eq_f64_e32 vcc_lo, 0, v[8:9]
	v_cmp_eq_f64_e64 s0, 0, v[10:11]
	s_delay_alu instid0(VALU_DEP_1)
	s_and_b32 s4, vcc_lo, s0
	s_mov_b32 s0, -1
	s_and_saveexec_b32 s1, s4
	s_cbranch_execz .LBB561_6
; %bb.5:
	s_waitcnt vmcnt(0) lgkmcnt(0)
	v_cmp_neq_f64_e32 vcc_lo, 1.0, v[4:5]
	v_cmp_neq_f64_e64 s0, 0, v[6:7]
	s_delay_alu instid0(VALU_DEP_1) | instskip(NEXT) | instid1(SALU_CYCLE_1)
	s_or_b32 s0, vcc_lo, s0
	s_or_not1_b32 s0, s0, exec_lo
.LBB561_6:
	s_or_b32 exec_lo, exec_lo, s1
	s_and_saveexec_b32 s1, s0
	s_cbranch_execz .LBB561_43
; %bb.7:
	s_clause 0x1
	s_load_b128 s[4:7], s[2:3], 0x28
	s_load_b64 s[8:9], s[2:3], 0x38
	s_mov_b32 s13, 0
	s_waitcnt lgkmcnt(0)
	s_cmp_eq_u64 s[4:5], 0
	s_cbranch_scc1 .LBB561_9
; %bb.8:
	s_lshl_b64 s[0:1], s[12:13], 3
	s_delay_alu instid0(SALU_CYCLE_1)
	s_add_u32 s0, s4, s0
	s_addc_u32 s1, s5, s1
	s_load_b64 s[0:1], s[0:1], 0x0
	s_waitcnt lgkmcnt(0)
	s_sub_u32 s12, s0, s14
	s_subb_u32 s13, s1, 0
.LBB561_9:
	s_load_b32 s1, s[2:3], 0x8
	v_mul_u32_u24_e32 v0, 0xe39, v18
	v_mov_b32_e32 v2, 0
	v_mov_b32_e32 v3, 0
	s_delay_alu instid0(VALU_DEP_3) | instskip(NEXT) | instid1(VALU_DEP_1)
	v_lshrrev_b32_e32 v12, 16, v0
	v_mul_lo_u16 v0, v12, 18
	s_delay_alu instid0(VALU_DEP_1) | instskip(NEXT) | instid1(VALU_DEP_4)
	v_sub_nc_u16 v19, v18, v0
	v_dual_mov_b32 v0, v2 :: v_dual_mov_b32 v1, v3
	s_waitcnt lgkmcnt(0)
	s_cmp_eq_u32 s1, 1
	s_cselect_b32 s0, -1, 0
	s_cmp_lg_u32 s1, 1
	s_cselect_b32 s1, -1, 0
	s_lshl_b64 s[4:5], s[12:13], 3
	s_delay_alu instid0(SALU_CYCLE_1)
	s_add_u32 s6, s6, s4
	s_addc_u32 s7, s7, s5
	s_add_u32 s10, s6, 8
	s_addc_u32 s11, s7, 0
	;; [unrolled: 2-line block ×3, first 2 shown]
	s_cmp_eq_u64 s[8:9], 0
	s_load_b64 s[8:9], s[2:3], 0x68
	s_cselect_b32 s5, s11, s5
	s_cselect_b32 s4, s10, s4
	s_load_b64 s[16:17], s[6:7], 0x0
	s_load_b64 s[10:11], s[4:5], 0x0
	s_waitcnt lgkmcnt(0)
	v_cmp_ge_i64_e64 s4, s[16:17], s[10:11]
	s_delay_alu instid0(VALU_DEP_1)
	s_and_b32 vcc_lo, exec_lo, s4
	s_cbranch_vccnz .LBB561_14
; %bb.10:
	v_mul_lo_u16 v0, v12, 15
	v_and_b32_e32 v2, 0xffff, v18
	s_clause 0x1
	s_load_b64 s[18:19], s[2:3], 0x50
	s_load_b128 s[4:7], s[2:3], 0x40
	v_and_b32_e32 v1, 0xffff, v19
	s_sub_u32 s2, s10, s14
	v_lshrrev_b16 v0, 8, v0
	v_mul_u32_u24_e32 v2, 0x195, v2
	s_subb_u32 s3, s11, 0
	s_sub_u32 s10, s16, s14
	s_subb_u32 s11, s17, 0
	v_mul_lo_u16 v0, v0, 18
	v_lshrrev_b32_e32 v20, 17, v2
	s_mul_hi_u32 s15, s10, 0xa20
	s_mul_i32 s20, s11, 0xa20
	s_mul_i32 s21, s10, 0xa20
	v_sub_nc_u16 v0, v12, v0
	s_add_i32 s15, s15, s20
	v_lshlrev_b32_e32 v14, 3, v18
	s_delay_alu instid0(VALU_DEP_2) | instskip(NEXT) | instid1(VALU_DEP_1)
	v_and_b32_e32 v0, 0xff, v0
	v_cndmask_b32_e64 v0, v1, v0, s0
	v_add_co_u32 v1, s0, s16, v20
	s_delay_alu instid0(VALU_DEP_1) | instskip(NEXT) | instid1(VALU_DEP_3)
	v_add_co_ci_u32_e64 v2, null, s17, 0, s0
	v_lshlrev_b32_e32 v3, 4, v0
	s_delay_alu instid0(VALU_DEP_3) | instskip(NEXT) | instid1(VALU_DEP_3)
	v_sub_co_u32 v0, vcc_lo, v1, s14
	v_subrev_co_ci_u32_e32 v1, vcc_lo, 0, v2, vcc_lo
	s_waitcnt lgkmcnt(0)
	s_add_u32 s0, s6, s21
	s_addc_u32 s6, s7, s15
	v_add_co_u32 v12, s7, s18, v3
	v_lshlrev_b64 v[0:1], 3, v[0:1]
	v_mov_b32_e32 v2, 0
	v_mov_b32_e32 v3, 0
	v_add_co_u32 v14, s0, s0, v14
	v_add_co_ci_u32_e64 v13, null, s19, 0, s7
	v_add_co_u32 v16, vcc_lo, s4, v0
	v_add_co_ci_u32_e32 v17, vcc_lo, s5, v1, vcc_lo
	v_dual_mov_b32 v0, v2 :: v_dual_mov_b32 v1, v3
	v_add_co_ci_u32_e64 v15, null, s6, 0, s0
	s_branch .LBB561_12
.LBB561_11:                             ;   in Loop: Header=BB561_12 Depth=1
	s_or_b32 exec_lo, exec_lo, s0
	s_add_u32 s10, s10, 1
	s_addc_u32 s11, s11, 0
	v_add_co_u32 v16, vcc_lo, v16, 8
	v_cmp_lt_i64_e64 s0, s[10:11], s[2:3]
	v_add_co_ci_u32_e32 v17, vcc_lo, 0, v17, vcc_lo
	s_delay_alu instid0(VALU_DEP_2)
	s_and_b32 vcc_lo, exec_lo, s0
	s_cbranch_vccz .LBB561_14
.LBB561_12:                             ; =>This Inner Loop Header: Depth=1
	v_add_co_u32 v21, s0, v20, s10
	s_delay_alu instid0(VALU_DEP_1) | instskip(SKIP_1) | instid1(VALU_DEP_1)
	v_add_co_ci_u32_e64 v22, null, 0, s11, s0
	s_mov_b32 s0, exec_lo
	v_cmpx_gt_i64_e64 s[2:3], v[21:22]
	s_cbranch_execz .LBB561_11
; %bb.13:                               ;   in Loop: Header=BB561_12 Depth=1
	global_load_b64 v[21:22], v[16:17], off
	global_load_b64 v[25:26], v[14:15], off
	s_waitcnt vmcnt(1)
	v_sub_co_u32 v23, vcc_lo, v21, s14
	v_subrev_co_ci_u32_e32 v27, vcc_lo, 0, v22, vcc_lo
	v_add_co_u32 v14, vcc_lo, 0xa20, v14
	s_delay_alu instid0(VALU_DEP_3) | instskip(SKIP_1) | instid1(VALU_DEP_2)
	v_mad_u64_u32 v[21:22], null, 0x120, v23, v[12:13]
	v_add_co_ci_u32_e32 v15, vcc_lo, 0, v15, vcc_lo
	v_mad_u64_u32 v[23:24], null, 0x120, v27, v[22:23]
	s_waitcnt vmcnt(0)
	v_cvt_f64_f32_e32 v[27:28], v25
	v_cvt_f64_f32_e32 v[25:26], v26
	s_delay_alu instid0(VALU_DEP_3) | instskip(SKIP_4) | instid1(VALU_DEP_2)
	v_mov_b32_e32 v22, v23
	global_load_b128 v[21:24], v[21:22], off
	s_waitcnt vmcnt(0)
	v_fma_f64 v[0:1], v[27:28], v[21:22], v[0:1]
	v_fma_f64 v[2:3], v[25:26], v[21:22], v[2:3]
	v_fma_f64 v[0:1], -v[25:26], v[23:24], v[0:1]
	s_delay_alu instid0(VALU_DEP_2)
	v_fma_f64 v[2:3], v[27:28], v[23:24], v[2:3]
	s_branch .LBB561_11
.LBB561_14:
	v_lshlrev_b32_e32 v16, 4, v18
	s_and_b32 vcc_lo, exec_lo, s1
	ds_store_b128 v16, v[0:3]
	s_waitcnt vmcnt(0) lgkmcnt(0)
	s_barrier
	buffer_gl0_inv
	s_cbranch_vccz .LBB561_26
; %bb.15:
	v_cmp_gt_u16_e32 vcc_lo, 2, v19
	s_and_saveexec_b32 s0, vcc_lo
	s_cbranch_execz .LBB561_17
; %bb.16:
	ds_load_b128 v[12:15], v16 offset:256
	ds_load_b128 v[20:23], v16
	s_waitcnt lgkmcnt(0)
	v_add_f64 v[12:13], v[12:13], v[20:21]
	v_add_f64 v[14:15], v[14:15], v[22:23]
	ds_store_b128 v16, v[12:15]
.LBB561_17:
	s_or_b32 exec_lo, exec_lo, s0
	s_delay_alu instid0(SALU_CYCLE_1)
	s_mov_b32 s1, exec_lo
	s_waitcnt lgkmcnt(0)
	s_barrier
	buffer_gl0_inv
	v_cmpx_gt_u16_e32 8, v19
	s_cbranch_execz .LBB561_19
; %bb.18:
	ds_load_b128 v[12:15], v16 offset:128
	ds_load_b128 v[20:23], v16
	s_waitcnt lgkmcnt(0)
	v_add_f64 v[12:13], v[12:13], v[20:21]
	v_add_f64 v[14:15], v[14:15], v[22:23]
	ds_store_b128 v16, v[12:15]
.LBB561_19:
	s_or_b32 exec_lo, exec_lo, s1
	s_delay_alu instid0(SALU_CYCLE_1)
	s_mov_b32 s1, exec_lo
	s_waitcnt lgkmcnt(0)
	s_barrier
	buffer_gl0_inv
	v_cmpx_gt_u16_e32 4, v19
	s_cbranch_execz .LBB561_21
; %bb.20:
	ds_load_b128 v[12:15], v16 offset:64
	ds_load_b128 v[19:22], v16
	s_waitcnt lgkmcnt(0)
	v_add_f64 v[12:13], v[12:13], v[19:20]
	v_add_f64 v[14:15], v[14:15], v[21:22]
	ds_store_b128 v16, v[12:15]
.LBB561_21:
	s_or_b32 exec_lo, exec_lo, s1
	s_waitcnt lgkmcnt(0)
	s_barrier
	buffer_gl0_inv
	s_and_saveexec_b32 s0, vcc_lo
	s_cbranch_execz .LBB561_23
; %bb.22:
	ds_load_b128 v[12:15], v16
	ds_load_b128 v[19:22], v16 offset:32
	s_waitcnt lgkmcnt(0)
	v_add_f64 v[12:13], v[19:20], v[12:13]
	v_add_f64 v[14:15], v[21:22], v[14:15]
	ds_store_b128 v16, v[12:15]
.LBB561_23:
	s_or_b32 exec_lo, exec_lo, s0
	v_dual_mov_b32 v15, v3 :: v_dual_mov_b32 v14, v2
	v_dual_mov_b32 v13, v1 :: v_dual_mov_b32 v12, v0
	s_mov_b32 s0, exec_lo
	s_waitcnt lgkmcnt(0)
	s_barrier
	buffer_gl0_inv
	v_cmpx_gt_u32_e32 18, v18
	s_cbranch_execz .LBB561_25
; %bb.24:
	v_mul_u32_u24_e32 v12, 18, v18
	s_delay_alu instid0(VALU_DEP_1)
	v_lshlrev_b32_e32 v17, 4, v12
	ds_load_b128 v[12:15], v17
	ds_load_b128 v[19:22], v17 offset:16
	s_waitcnt lgkmcnt(0)
	v_add_f64 v[12:13], v[19:20], v[12:13]
	v_add_f64 v[14:15], v[21:22], v[14:15]
.LBB561_25:
	s_or_b32 exec_lo, exec_lo, s0
	s_branch .LBB561_38
.LBB561_26:
                                        ; implicit-def: $vgpr14_vgpr15
                                        ; implicit-def: $vgpr12_vgpr13
	s_cbranch_execz .LBB561_38
; %bb.27:
	v_cmp_gt_u32_e32 vcc_lo, 36, v18
	s_and_saveexec_b32 s0, vcc_lo
	s_cbranch_execz .LBB561_29
; %bb.28:
	ds_load_b128 v[12:15], v16 offset:4608
	ds_load_b128 v[19:22], v16
	s_waitcnt lgkmcnt(0)
	v_add_f64 v[12:13], v[12:13], v[19:20]
	v_add_f64 v[14:15], v[14:15], v[21:22]
	ds_store_b128 v16, v[12:15]
.LBB561_29:
	s_or_b32 exec_lo, exec_lo, s0
	s_delay_alu instid0(SALU_CYCLE_1)
	s_mov_b32 s1, exec_lo
	s_waitcnt lgkmcnt(0)
	s_barrier
	buffer_gl0_inv
	v_cmpx_gt_u32_e32 0x90, v18
	s_cbranch_execz .LBB561_31
; %bb.30:
	ds_load_b128 v[12:15], v16 offset:2304
	ds_load_b128 v[19:22], v16
	s_waitcnt lgkmcnt(0)
	v_add_f64 v[12:13], v[12:13], v[19:20]
	v_add_f64 v[14:15], v[14:15], v[21:22]
	ds_store_b128 v16, v[12:15]
.LBB561_31:
	s_or_b32 exec_lo, exec_lo, s1
	s_delay_alu instid0(SALU_CYCLE_1)
	s_mov_b32 s1, exec_lo
	s_waitcnt lgkmcnt(0)
	s_barrier
	buffer_gl0_inv
	v_cmpx_gt_u32_e32 0x48, v18
	s_cbranch_execz .LBB561_33
; %bb.32:
	ds_load_b128 v[12:15], v16 offset:1152
	ds_load_b128 v[19:22], v16
	s_waitcnt lgkmcnt(0)
	v_add_f64 v[12:13], v[12:13], v[19:20]
	v_add_f64 v[14:15], v[14:15], v[21:22]
	ds_store_b128 v16, v[12:15]
.LBB561_33:
	s_or_b32 exec_lo, exec_lo, s1
	s_waitcnt lgkmcnt(0)
	s_barrier
	buffer_gl0_inv
	s_and_saveexec_b32 s0, vcc_lo
	s_cbranch_execz .LBB561_35
; %bb.34:
	ds_load_b128 v[12:15], v16 offset:576
	ds_load_b128 v[19:22], v16
	s_waitcnt lgkmcnt(0)
	v_add_f64 v[12:13], v[12:13], v[19:20]
	v_add_f64 v[14:15], v[14:15], v[21:22]
	ds_store_b128 v16, v[12:15]
.LBB561_35:
	s_or_b32 exec_lo, exec_lo, s0
	s_delay_alu instid0(SALU_CYCLE_1)
	s_mov_b32 s0, exec_lo
	s_waitcnt lgkmcnt(0)
	buffer_gl0_inv
	v_cmpx_gt_u32_e32 18, v18
	s_cbranch_execz .LBB561_37
; %bb.36:
	ds_load_b128 v[0:3], v16 offset:288
	ds_load_b128 v[12:15], v16
	s_waitcnt lgkmcnt(0)
	v_add_f64 v[0:1], v[0:1], v[12:13]
	v_add_f64 v[2:3], v[2:3], v[14:15]
.LBB561_37:
	s_or_b32 exec_lo, exec_lo, s0
	s_delay_alu instid0(VALU_DEP_1) | instskip(NEXT) | instid1(VALU_DEP_3)
	v_dual_mov_b32 v15, v3 :: v_dual_mov_b32 v14, v2
	v_dual_mov_b32 v13, v1 :: v_dual_mov_b32 v12, v0
.LBB561_38:
	v_cmp_gt_u32_e32 vcc_lo, 18, v18
	s_and_b32 exec_lo, exec_lo, vcc_lo
	s_cbranch_execz .LBB561_43
; %bb.39:
	s_delay_alu instid0(VALU_DEP_2)
	v_mul_f64 v[0:1], v[14:15], -v[10:11]
	v_mul_f64 v[2:3], v[8:9], v[14:15]
	v_cmp_eq_f64_e32 vcc_lo, 0, v[4:5]
	v_cmp_eq_f64_e64 s0, 0, v[6:7]
	s_mul_hi_u32 s1, s12, 0x120
	s_mul_i32 s2, s12, 0x120
	s_delay_alu instid0(VALU_DEP_4) | instskip(NEXT) | instid1(VALU_DEP_4)
	v_fma_f64 v[0:1], v[8:9], v[12:13], v[0:1]
	v_fma_f64 v[2:3], v[10:11], v[12:13], v[2:3]
	s_delay_alu instid0(VALU_DEP_3) | instskip(SKIP_2) | instid1(SALU_CYCLE_1)
	s_and_b32 s3, vcc_lo, s0
	s_mul_i32 s0, s13, 0x120
	s_and_saveexec_b32 s4, s3
	s_xor_b32 s3, exec_lo, s4
	s_cbranch_execz .LBB561_41
; %bb.40:
	s_add_i32 s5, s1, s0
	s_add_u32 s4, s8, s2
	s_addc_u32 s5, s9, s5
                                        ; implicit-def: $vgpr4_vgpr5
                                        ; implicit-def: $vgpr6_vgpr7
	global_store_b128 v16, v[0:3], s[4:5]
                                        ; implicit-def: $vgpr16
                                        ; implicit-def: $vgpr0_vgpr1
.LBB561_41:
	s_and_not1_saveexec_b32 s3, s3
	s_cbranch_execz .LBB561_43
; %bb.42:
	s_add_i32 s1, s1, s0
	s_add_u32 s0, s8, s2
	s_addc_u32 s1, s9, s1
	global_load_b128 v[8:11], v16, s[0:1]
	s_waitcnt vmcnt(0)
	v_fma_f64 v[0:1], v[4:5], v[8:9], v[0:1]
	v_fma_f64 v[2:3], v[6:7], v[8:9], v[2:3]
	s_delay_alu instid0(VALU_DEP_2) | instskip(NEXT) | instid1(VALU_DEP_2)
	v_fma_f64 v[0:1], -v[6:7], v[10:11], v[0:1]
	v_fma_f64 v[2:3], v[4:5], v[10:11], v[2:3]
	global_store_b128 v16, v[0:3], s[0:1]
.LBB561_43:
	s_nop 0
	s_sendmsg sendmsg(MSG_DEALLOC_VGPRS)
	s_endpgm
	.section	.rodata,"a",@progbits
	.p2align	6, 0x0
	.amdhsa_kernel _ZN9rocsparseL20bsrxmvn_17_32_kernelILj18E21rocsparse_complex_numIdEllS1_IfES2_S2_EEvT2_20rocsparse_direction_NS_24const_host_device_scalarIT0_EES4_PKS4_PKT1_SD_SA_PKT3_PKT4_S8_PT5_21rocsparse_index_base_b
		.amdhsa_group_segment_fixed_size 10368
		.amdhsa_private_segment_fixed_size 0
		.amdhsa_kernarg_size 120
		.amdhsa_user_sgpr_count 15
		.amdhsa_user_sgpr_dispatch_ptr 1
		.amdhsa_user_sgpr_queue_ptr 0
		.amdhsa_user_sgpr_kernarg_segment_ptr 1
		.amdhsa_user_sgpr_dispatch_id 0
		.amdhsa_user_sgpr_private_segment_size 0
		.amdhsa_wavefront_size32 1
		.amdhsa_uses_dynamic_stack 0
		.amdhsa_enable_private_segment 0
		.amdhsa_system_sgpr_workgroup_id_x 1
		.amdhsa_system_sgpr_workgroup_id_y 0
		.amdhsa_system_sgpr_workgroup_id_z 0
		.amdhsa_system_sgpr_workgroup_info 0
		.amdhsa_system_vgpr_workitem_id 2
		.amdhsa_next_free_vgpr 29
		.amdhsa_next_free_sgpr 22
		.amdhsa_reserve_vcc 1
		.amdhsa_float_round_mode_32 0
		.amdhsa_float_round_mode_16_64 0
		.amdhsa_float_denorm_mode_32 3
		.amdhsa_float_denorm_mode_16_64 3
		.amdhsa_dx10_clamp 1
		.amdhsa_ieee_mode 1
		.amdhsa_fp16_overflow 0
		.amdhsa_workgroup_processor_mode 1
		.amdhsa_memory_ordered 1
		.amdhsa_forward_progress 0
		.amdhsa_shared_vgpr_count 0
		.amdhsa_exception_fp_ieee_invalid_op 0
		.amdhsa_exception_fp_denorm_src 0
		.amdhsa_exception_fp_ieee_div_zero 0
		.amdhsa_exception_fp_ieee_overflow 0
		.amdhsa_exception_fp_ieee_underflow 0
		.amdhsa_exception_fp_ieee_inexact 0
		.amdhsa_exception_int_div_zero 0
	.end_amdhsa_kernel
	.section	.text._ZN9rocsparseL20bsrxmvn_17_32_kernelILj18E21rocsparse_complex_numIdEllS1_IfES2_S2_EEvT2_20rocsparse_direction_NS_24const_host_device_scalarIT0_EES4_PKS4_PKT1_SD_SA_PKT3_PKT4_S8_PT5_21rocsparse_index_base_b,"axG",@progbits,_ZN9rocsparseL20bsrxmvn_17_32_kernelILj18E21rocsparse_complex_numIdEllS1_IfES2_S2_EEvT2_20rocsparse_direction_NS_24const_host_device_scalarIT0_EES4_PKS4_PKT1_SD_SA_PKT3_PKT4_S8_PT5_21rocsparse_index_base_b,comdat
.Lfunc_end561:
	.size	_ZN9rocsparseL20bsrxmvn_17_32_kernelILj18E21rocsparse_complex_numIdEllS1_IfES2_S2_EEvT2_20rocsparse_direction_NS_24const_host_device_scalarIT0_EES4_PKS4_PKT1_SD_SA_PKT3_PKT4_S8_PT5_21rocsparse_index_base_b, .Lfunc_end561-_ZN9rocsparseL20bsrxmvn_17_32_kernelILj18E21rocsparse_complex_numIdEllS1_IfES2_S2_EEvT2_20rocsparse_direction_NS_24const_host_device_scalarIT0_EES4_PKS4_PKT1_SD_SA_PKT3_PKT4_S8_PT5_21rocsparse_index_base_b
                                        ; -- End function
	.section	.AMDGPU.csdata,"",@progbits
; Kernel info:
; codeLenInByte = 2144
; NumSgprs: 24
; NumVgprs: 29
; ScratchSize: 0
; MemoryBound: 0
; FloatMode: 240
; IeeeMode: 1
; LDSByteSize: 10368 bytes/workgroup (compile time only)
; SGPRBlocks: 2
; VGPRBlocks: 3
; NumSGPRsForWavesPerEU: 24
; NumVGPRsForWavesPerEU: 29
; Occupancy: 14
; WaveLimiterHint : 1
; COMPUTE_PGM_RSRC2:SCRATCH_EN: 0
; COMPUTE_PGM_RSRC2:USER_SGPR: 15
; COMPUTE_PGM_RSRC2:TRAP_HANDLER: 0
; COMPUTE_PGM_RSRC2:TGID_X_EN: 1
; COMPUTE_PGM_RSRC2:TGID_Y_EN: 0
; COMPUTE_PGM_RSRC2:TGID_Z_EN: 0
; COMPUTE_PGM_RSRC2:TIDIG_COMP_CNT: 2
	.section	.text._ZN9rocsparseL20bsrxmvn_17_32_kernelILj19E21rocsparse_complex_numIdEllS1_IfES2_S2_EEvT2_20rocsparse_direction_NS_24const_host_device_scalarIT0_EES4_PKS4_PKT1_SD_SA_PKT3_PKT4_S8_PT5_21rocsparse_index_base_b,"axG",@progbits,_ZN9rocsparseL20bsrxmvn_17_32_kernelILj19E21rocsparse_complex_numIdEllS1_IfES2_S2_EEvT2_20rocsparse_direction_NS_24const_host_device_scalarIT0_EES4_PKS4_PKT1_SD_SA_PKT3_PKT4_S8_PT5_21rocsparse_index_base_b,comdat
	.globl	_ZN9rocsparseL20bsrxmvn_17_32_kernelILj19E21rocsparse_complex_numIdEllS1_IfES2_S2_EEvT2_20rocsparse_direction_NS_24const_host_device_scalarIT0_EES4_PKS4_PKT1_SD_SA_PKT3_PKT4_S8_PT5_21rocsparse_index_base_b ; -- Begin function _ZN9rocsparseL20bsrxmvn_17_32_kernelILj19E21rocsparse_complex_numIdEllS1_IfES2_S2_EEvT2_20rocsparse_direction_NS_24const_host_device_scalarIT0_EES4_PKS4_PKT1_SD_SA_PKT3_PKT4_S8_PT5_21rocsparse_index_base_b
	.p2align	8
	.type	_ZN9rocsparseL20bsrxmvn_17_32_kernelILj19E21rocsparse_complex_numIdEllS1_IfES2_S2_EEvT2_20rocsparse_direction_NS_24const_host_device_scalarIT0_EES4_PKS4_PKT1_SD_SA_PKT3_PKT4_S8_PT5_21rocsparse_index_base_b,@function
_ZN9rocsparseL20bsrxmvn_17_32_kernelILj19E21rocsparse_complex_numIdEllS1_IfES2_S2_EEvT2_20rocsparse_direction_NS_24const_host_device_scalarIT0_EES4_PKS4_PKT1_SD_SA_PKT3_PKT4_S8_PT5_21rocsparse_index_base_b: ; @_ZN9rocsparseL20bsrxmvn_17_32_kernelILj19E21rocsparse_complex_numIdEllS1_IfES2_S2_EEvT2_20rocsparse_direction_NS_24const_host_device_scalarIT0_EES4_PKS4_PKT1_SD_SA_PKT3_PKT4_S8_PT5_21rocsparse_index_base_b
; %bb.0:
	s_mov_b32 s12, s15
	s_clause 0x1
	s_load_b64 s[14:15], s[2:3], 0x70
	s_load_b128 s[4:7], s[2:3], 0x10
	s_load_b64 s[16:17], s[0:1], 0x4
	s_mov_b64 s[0:1], src_shared_base
	v_and_b32_e32 v18, 0x3ff, v0
	s_load_b128 s[8:11], s[2:3], 0x58
	v_bfe_u32 v2, v0, 10, 10
	v_bfe_u32 v0, v0, 20, 10
	s_waitcnt lgkmcnt(0)
	s_bitcmp1_b32 s15, 0
	v_mov_b32_e32 v11, s7
	s_cselect_b32 s0, -1, 0
	v_mov_b32_e32 v10, s6
	s_and_b32 vcc_lo, s0, exec_lo
	s_cselect_b32 s13, s1, s5
	s_lshr_b32 s15, s16, 16
	s_xor_b32 s6, s0, -1
	s_mul_i32 s15, s15, s17
	v_mov_b32_e32 v5, s13
	v_mul_lo_u32 v1, s15, v18
	s_delay_alu instid0(VALU_DEP_1) | instskip(SKIP_1) | instid1(VALU_DEP_2)
	v_mad_u32_u24 v1, v2, s17, v1
	v_dual_mov_b32 v2, s8 :: v_dual_mov_b32 v3, s9
	v_add_lshl_u32 v6, v1, v0, 3
	v_dual_mov_b32 v0, s4 :: v_dual_mov_b32 v1, s5
	ds_store_b64 v6, v[0:1] offset:8664
	ds_store_b64 v6, v[2:3] offset:5776
	v_add_nc_u32_e32 v4, 0x21d8, v6
	v_add_nc_u32_e32 v0, 0x1690, v6
	s_delay_alu instid0(VALU_DEP_2)
	v_cndmask_b32_e64 v4, s4, v4, s0
	flat_load_b64 v[8:9], v[4:5]
	s_cbranch_vccnz .LBB562_2
; %bb.1:
	v_dual_mov_b32 v1, s4 :: v_dual_mov_b32 v2, s5
	flat_load_b64 v[10:11], v[1:2] offset:8
.LBB562_2:
	s_and_b32 s4, s0, exec_lo
	s_cselect_b32 s1, s1, s9
	v_cndmask_b32_e64 v0, s8, v0, s0
	v_dual_mov_b32 v1, s1 :: v_dual_mov_b32 v6, s10
	v_mov_b32_e32 v7, s11
	s_and_not1_b32 vcc_lo, exec_lo, s6
	flat_load_b64 v[4:5], v[0:1]
	s_cbranch_vccnz .LBB562_4
; %bb.3:
	v_dual_mov_b32 v0, s8 :: v_dual_mov_b32 v1, s9
	flat_load_b64 v[6:7], v[0:1] offset:8
.LBB562_4:
	s_waitcnt vmcnt(1) lgkmcnt(1)
	v_cmp_eq_f64_e32 vcc_lo, 0, v[8:9]
	v_cmp_eq_f64_e64 s0, 0, v[10:11]
	s_delay_alu instid0(VALU_DEP_1)
	s_and_b32 s4, vcc_lo, s0
	s_mov_b32 s0, -1
	s_and_saveexec_b32 s1, s4
	s_cbranch_execz .LBB562_6
; %bb.5:
	s_waitcnt vmcnt(0) lgkmcnt(0)
	v_cmp_neq_f64_e32 vcc_lo, 1.0, v[4:5]
	v_cmp_neq_f64_e64 s0, 0, v[6:7]
	s_delay_alu instid0(VALU_DEP_1) | instskip(NEXT) | instid1(SALU_CYCLE_1)
	s_or_b32 s0, vcc_lo, s0
	s_or_not1_b32 s0, s0, exec_lo
.LBB562_6:
	s_or_b32 exec_lo, exec_lo, s1
	s_and_saveexec_b32 s1, s0
	s_cbranch_execz .LBB562_43
; %bb.7:
	s_clause 0x1
	s_load_b128 s[4:7], s[2:3], 0x28
	s_load_b64 s[8:9], s[2:3], 0x38
	s_mov_b32 s13, 0
	s_waitcnt lgkmcnt(0)
	s_cmp_eq_u64 s[4:5], 0
	s_cbranch_scc1 .LBB562_9
; %bb.8:
	s_lshl_b64 s[0:1], s[12:13], 3
	s_delay_alu instid0(SALU_CYCLE_1)
	s_add_u32 s0, s4, s0
	s_addc_u32 s1, s5, s1
	s_load_b64 s[0:1], s[0:1], 0x0
	s_waitcnt lgkmcnt(0)
	s_sub_u32 s12, s0, s14
	s_subb_u32 s13, s1, 0
.LBB562_9:
	s_load_b32 s1, s[2:3], 0x8
	v_mul_u32_u24_e32 v0, 0xd7a, v18
	v_mov_b32_e32 v2, 0
	v_mov_b32_e32 v3, 0
	s_delay_alu instid0(VALU_DEP_3) | instskip(NEXT) | instid1(VALU_DEP_1)
	v_lshrrev_b32_e32 v12, 16, v0
	v_mul_lo_u16 v0, v12, 19
	s_delay_alu instid0(VALU_DEP_1) | instskip(NEXT) | instid1(VALU_DEP_4)
	v_sub_nc_u16 v19, v18, v0
	v_dual_mov_b32 v0, v2 :: v_dual_mov_b32 v1, v3
	s_waitcnt lgkmcnt(0)
	s_cmp_eq_u32 s1, 1
	s_cselect_b32 s0, -1, 0
	s_cmp_lg_u32 s1, 1
	s_cselect_b32 s1, -1, 0
	s_lshl_b64 s[4:5], s[12:13], 3
	s_delay_alu instid0(SALU_CYCLE_1)
	s_add_u32 s6, s6, s4
	s_addc_u32 s7, s7, s5
	s_add_u32 s10, s6, 8
	s_addc_u32 s11, s7, 0
	;; [unrolled: 2-line block ×3, first 2 shown]
	s_cmp_eq_u64 s[8:9], 0
	s_load_b64 s[8:9], s[2:3], 0x68
	s_cselect_b32 s5, s11, s5
	s_cselect_b32 s4, s10, s4
	s_load_b64 s[16:17], s[6:7], 0x0
	s_load_b64 s[10:11], s[4:5], 0x0
	s_waitcnt lgkmcnt(0)
	v_cmp_ge_i64_e64 s4, s[16:17], s[10:11]
	s_delay_alu instid0(VALU_DEP_1)
	s_and_b32 vcc_lo, exec_lo, s4
	s_cbranch_vccnz .LBB562_14
; %bb.10:
	v_mul_lo_u16 v0, v12, 14
	v_and_b32_e32 v2, 0xffff, v18
	s_clause 0x1
	s_load_b64 s[18:19], s[2:3], 0x50
	s_load_b128 s[4:7], s[2:3], 0x40
	v_and_b32_e32 v1, 0xffff, v19
	s_sub_u32 s2, s10, s14
	v_lshrrev_b16 v0, 8, v0
	v_mul_u32_u24_e32 v2, 0xb6, v2
	s_subb_u32 s3, s11, 0
	s_sub_u32 s10, s16, s14
	s_subb_u32 s11, s17, 0
	v_mul_lo_u16 v0, v0, 19
	v_lshrrev_b32_e32 v20, 16, v2
	s_mul_hi_u32 s15, s10, 0xb48
	s_mul_i32 s20, s11, 0xb48
	s_mul_i32 s21, s10, 0xb48
	v_sub_nc_u16 v0, v12, v0
	s_add_i32 s15, s15, s20
	v_lshlrev_b32_e32 v14, 3, v18
	s_delay_alu instid0(VALU_DEP_2) | instskip(NEXT) | instid1(VALU_DEP_1)
	v_and_b32_e32 v0, 0xff, v0
	v_cndmask_b32_e64 v0, v1, v0, s0
	v_add_co_u32 v1, s0, s16, v20
	s_delay_alu instid0(VALU_DEP_1) | instskip(NEXT) | instid1(VALU_DEP_3)
	v_add_co_ci_u32_e64 v2, null, s17, 0, s0
	v_lshlrev_b32_e32 v3, 4, v0
	s_delay_alu instid0(VALU_DEP_3) | instskip(NEXT) | instid1(VALU_DEP_3)
	v_sub_co_u32 v0, vcc_lo, v1, s14
	v_subrev_co_ci_u32_e32 v1, vcc_lo, 0, v2, vcc_lo
	s_waitcnt lgkmcnt(0)
	s_add_u32 s0, s6, s21
	s_addc_u32 s6, s7, s15
	v_add_co_u32 v12, s7, s18, v3
	v_lshlrev_b64 v[0:1], 3, v[0:1]
	v_mov_b32_e32 v2, 0
	v_mov_b32_e32 v3, 0
	v_add_co_u32 v14, s0, s0, v14
	v_add_co_ci_u32_e64 v13, null, s19, 0, s7
	v_add_co_u32 v16, vcc_lo, s4, v0
	v_add_co_ci_u32_e32 v17, vcc_lo, s5, v1, vcc_lo
	v_dual_mov_b32 v0, v2 :: v_dual_mov_b32 v1, v3
	v_add_co_ci_u32_e64 v15, null, s6, 0, s0
	s_branch .LBB562_12
.LBB562_11:                             ;   in Loop: Header=BB562_12 Depth=1
	s_or_b32 exec_lo, exec_lo, s0
	s_add_u32 s10, s10, 1
	s_addc_u32 s11, s11, 0
	v_add_co_u32 v16, vcc_lo, v16, 8
	v_cmp_lt_i64_e64 s0, s[10:11], s[2:3]
	v_add_co_ci_u32_e32 v17, vcc_lo, 0, v17, vcc_lo
	s_delay_alu instid0(VALU_DEP_2)
	s_and_b32 vcc_lo, exec_lo, s0
	s_cbranch_vccz .LBB562_14
.LBB562_12:                             ; =>This Inner Loop Header: Depth=1
	v_add_co_u32 v21, s0, v20, s10
	s_delay_alu instid0(VALU_DEP_1) | instskip(SKIP_1) | instid1(VALU_DEP_1)
	v_add_co_ci_u32_e64 v22, null, 0, s11, s0
	s_mov_b32 s0, exec_lo
	v_cmpx_gt_i64_e64 s[2:3], v[21:22]
	s_cbranch_execz .LBB562_11
; %bb.13:                               ;   in Loop: Header=BB562_12 Depth=1
	global_load_b64 v[21:22], v[16:17], off
	global_load_b64 v[25:26], v[14:15], off
	s_waitcnt vmcnt(1)
	v_sub_co_u32 v23, vcc_lo, v21, s14
	v_subrev_co_ci_u32_e32 v27, vcc_lo, 0, v22, vcc_lo
	v_add_co_u32 v14, vcc_lo, 0xb48, v14
	s_delay_alu instid0(VALU_DEP_3) | instskip(SKIP_1) | instid1(VALU_DEP_2)
	v_mad_u64_u32 v[21:22], null, 0x130, v23, v[12:13]
	v_add_co_ci_u32_e32 v15, vcc_lo, 0, v15, vcc_lo
	v_mad_u64_u32 v[23:24], null, 0x130, v27, v[22:23]
	s_waitcnt vmcnt(0)
	v_cvt_f64_f32_e32 v[27:28], v25
	v_cvt_f64_f32_e32 v[25:26], v26
	s_delay_alu instid0(VALU_DEP_3) | instskip(SKIP_4) | instid1(VALU_DEP_2)
	v_mov_b32_e32 v22, v23
	global_load_b128 v[21:24], v[21:22], off
	s_waitcnt vmcnt(0)
	v_fma_f64 v[0:1], v[27:28], v[21:22], v[0:1]
	v_fma_f64 v[2:3], v[25:26], v[21:22], v[2:3]
	v_fma_f64 v[0:1], -v[25:26], v[23:24], v[0:1]
	s_delay_alu instid0(VALU_DEP_2)
	v_fma_f64 v[2:3], v[27:28], v[23:24], v[2:3]
	s_branch .LBB562_11
.LBB562_14:
	v_lshlrev_b32_e32 v16, 4, v18
	s_and_b32 vcc_lo, exec_lo, s1
	ds_store_b128 v16, v[0:3]
	s_waitcnt vmcnt(0) lgkmcnt(0)
	s_barrier
	buffer_gl0_inv
	s_cbranch_vccz .LBB562_26
; %bb.15:
	s_mov_b32 s0, exec_lo
	v_cmpx_gt_u16_e32 3, v19
	s_cbranch_execz .LBB562_17
; %bb.16:
	ds_load_b128 v[12:15], v16 offset:256
	ds_load_b128 v[20:23], v16
	s_waitcnt lgkmcnt(0)
	v_add_f64 v[12:13], v[12:13], v[20:21]
	v_add_f64 v[14:15], v[14:15], v[22:23]
	ds_store_b128 v16, v[12:15]
.LBB562_17:
	s_or_b32 exec_lo, exec_lo, s0
	s_delay_alu instid0(SALU_CYCLE_1)
	s_mov_b32 s0, exec_lo
	s_waitcnt lgkmcnt(0)
	s_barrier
	buffer_gl0_inv
	v_cmpx_gt_u16_e32 8, v19
	s_cbranch_execz .LBB562_19
; %bb.18:
	ds_load_b128 v[12:15], v16 offset:128
	ds_load_b128 v[20:23], v16
	s_waitcnt lgkmcnt(0)
	v_add_f64 v[12:13], v[12:13], v[20:21]
	v_add_f64 v[14:15], v[14:15], v[22:23]
	ds_store_b128 v16, v[12:15]
.LBB562_19:
	s_or_b32 exec_lo, exec_lo, s0
	s_delay_alu instid0(SALU_CYCLE_1)
	s_mov_b32 s0, exec_lo
	s_waitcnt lgkmcnt(0)
	s_barrier
	buffer_gl0_inv
	;; [unrolled: 16-line block ×3, first 2 shown]
	v_cmpx_gt_u16_e32 2, v19
	s_cbranch_execz .LBB562_23
; %bb.22:
	ds_load_b128 v[12:15], v16
	ds_load_b128 v[19:22], v16 offset:32
	s_waitcnt lgkmcnt(0)
	v_add_f64 v[12:13], v[19:20], v[12:13]
	v_add_f64 v[14:15], v[21:22], v[14:15]
	ds_store_b128 v16, v[12:15]
.LBB562_23:
	s_or_b32 exec_lo, exec_lo, s0
	v_dual_mov_b32 v15, v3 :: v_dual_mov_b32 v14, v2
	v_dual_mov_b32 v13, v1 :: v_dual_mov_b32 v12, v0
	s_mov_b32 s0, exec_lo
	s_waitcnt lgkmcnt(0)
	s_barrier
	buffer_gl0_inv
	v_cmpx_gt_u32_e32 19, v18
	s_cbranch_execz .LBB562_25
; %bb.24:
	v_mul_u32_u24_e32 v12, 19, v18
	s_delay_alu instid0(VALU_DEP_1)
	v_lshlrev_b32_e32 v17, 4, v12
	ds_load_b128 v[12:15], v17
	ds_load_b128 v[19:22], v17 offset:16
	s_waitcnt lgkmcnt(0)
	v_add_f64 v[12:13], v[19:20], v[12:13]
	v_add_f64 v[14:15], v[21:22], v[14:15]
.LBB562_25:
	s_or_b32 exec_lo, exec_lo, s0
	s_branch .LBB562_38
.LBB562_26:
                                        ; implicit-def: $vgpr14_vgpr15
                                        ; implicit-def: $vgpr12_vgpr13
	s_cbranch_execz .LBB562_38
; %bb.27:
	s_mov_b32 s0, exec_lo
	v_cmpx_gt_u32_e32 57, v18
	s_cbranch_execz .LBB562_29
; %bb.28:
	ds_load_b128 v[12:15], v16 offset:4864
	ds_load_b128 v[19:22], v16
	s_waitcnt lgkmcnt(0)
	v_add_f64 v[12:13], v[12:13], v[19:20]
	v_add_f64 v[14:15], v[14:15], v[21:22]
	ds_store_b128 v16, v[12:15]
.LBB562_29:
	s_or_b32 exec_lo, exec_lo, s0
	s_delay_alu instid0(SALU_CYCLE_1)
	s_mov_b32 s0, exec_lo
	s_waitcnt lgkmcnt(0)
	s_barrier
	buffer_gl0_inv
	v_cmpx_gt_u32_e32 0x98, v18
	s_cbranch_execz .LBB562_31
; %bb.30:
	ds_load_b128 v[12:15], v16 offset:2432
	ds_load_b128 v[19:22], v16
	s_waitcnt lgkmcnt(0)
	v_add_f64 v[12:13], v[12:13], v[19:20]
	v_add_f64 v[14:15], v[14:15], v[21:22]
	ds_store_b128 v16, v[12:15]
.LBB562_31:
	s_or_b32 exec_lo, exec_lo, s0
	s_delay_alu instid0(SALU_CYCLE_1)
	s_mov_b32 s0, exec_lo
	s_waitcnt lgkmcnt(0)
	s_barrier
	buffer_gl0_inv
	;; [unrolled: 16-line block ×3, first 2 shown]
	v_cmpx_gt_u32_e32 38, v18
	s_cbranch_execz .LBB562_35
; %bb.34:
	ds_load_b128 v[12:15], v16 offset:608
	ds_load_b128 v[19:22], v16
	s_waitcnt lgkmcnt(0)
	v_add_f64 v[12:13], v[12:13], v[19:20]
	v_add_f64 v[14:15], v[14:15], v[21:22]
	ds_store_b128 v16, v[12:15]
.LBB562_35:
	s_or_b32 exec_lo, exec_lo, s0
	s_delay_alu instid0(SALU_CYCLE_1)
	s_mov_b32 s0, exec_lo
	s_waitcnt lgkmcnt(0)
	buffer_gl0_inv
	v_cmpx_gt_u32_e32 19, v18
	s_cbranch_execz .LBB562_37
; %bb.36:
	ds_load_b128 v[0:3], v16 offset:304
	ds_load_b128 v[12:15], v16
	s_waitcnt lgkmcnt(0)
	v_add_f64 v[0:1], v[0:1], v[12:13]
	v_add_f64 v[2:3], v[2:3], v[14:15]
.LBB562_37:
	s_or_b32 exec_lo, exec_lo, s0
	s_delay_alu instid0(VALU_DEP_1) | instskip(NEXT) | instid1(VALU_DEP_3)
	v_dual_mov_b32 v15, v3 :: v_dual_mov_b32 v14, v2
	v_dual_mov_b32 v13, v1 :: v_dual_mov_b32 v12, v0
.LBB562_38:
	v_cmp_gt_u32_e32 vcc_lo, 19, v18
	s_and_b32 exec_lo, exec_lo, vcc_lo
	s_cbranch_execz .LBB562_43
; %bb.39:
	s_delay_alu instid0(VALU_DEP_2)
	v_mul_f64 v[0:1], v[14:15], -v[10:11]
	v_mul_f64 v[2:3], v[8:9], v[14:15]
	v_cmp_eq_f64_e32 vcc_lo, 0, v[4:5]
	v_cmp_eq_f64_e64 s0, 0, v[6:7]
	s_mul_hi_u32 s1, s12, 0x130
	s_mul_i32 s2, s12, 0x130
	s_delay_alu instid0(VALU_DEP_4) | instskip(NEXT) | instid1(VALU_DEP_4)
	v_fma_f64 v[0:1], v[8:9], v[12:13], v[0:1]
	v_fma_f64 v[2:3], v[10:11], v[12:13], v[2:3]
	s_delay_alu instid0(VALU_DEP_3) | instskip(SKIP_2) | instid1(SALU_CYCLE_1)
	s_and_b32 s3, vcc_lo, s0
	s_mul_i32 s0, s13, 0x130
	s_and_saveexec_b32 s4, s3
	s_xor_b32 s3, exec_lo, s4
	s_cbranch_execz .LBB562_41
; %bb.40:
	s_add_i32 s5, s1, s0
	s_add_u32 s4, s8, s2
	s_addc_u32 s5, s9, s5
                                        ; implicit-def: $vgpr4_vgpr5
                                        ; implicit-def: $vgpr6_vgpr7
	global_store_b128 v16, v[0:3], s[4:5]
                                        ; implicit-def: $vgpr16
                                        ; implicit-def: $vgpr0_vgpr1
.LBB562_41:
	s_and_not1_saveexec_b32 s3, s3
	s_cbranch_execz .LBB562_43
; %bb.42:
	s_add_i32 s1, s1, s0
	s_add_u32 s0, s8, s2
	s_addc_u32 s1, s9, s1
	global_load_b128 v[8:11], v16, s[0:1]
	s_waitcnt vmcnt(0)
	v_fma_f64 v[0:1], v[4:5], v[8:9], v[0:1]
	v_fma_f64 v[2:3], v[6:7], v[8:9], v[2:3]
	s_delay_alu instid0(VALU_DEP_2) | instskip(NEXT) | instid1(VALU_DEP_2)
	v_fma_f64 v[0:1], -v[6:7], v[10:11], v[0:1]
	v_fma_f64 v[2:3], v[4:5], v[10:11], v[2:3]
	global_store_b128 v16, v[0:3], s[0:1]
.LBB562_43:
	s_nop 0
	s_sendmsg sendmsg(MSG_DEALLOC_VGPRS)
	s_endpgm
	.section	.rodata,"a",@progbits
	.p2align	6, 0x0
	.amdhsa_kernel _ZN9rocsparseL20bsrxmvn_17_32_kernelILj19E21rocsparse_complex_numIdEllS1_IfES2_S2_EEvT2_20rocsparse_direction_NS_24const_host_device_scalarIT0_EES4_PKS4_PKT1_SD_SA_PKT3_PKT4_S8_PT5_21rocsparse_index_base_b
		.amdhsa_group_segment_fixed_size 11552
		.amdhsa_private_segment_fixed_size 0
		.amdhsa_kernarg_size 120
		.amdhsa_user_sgpr_count 15
		.amdhsa_user_sgpr_dispatch_ptr 1
		.amdhsa_user_sgpr_queue_ptr 0
		.amdhsa_user_sgpr_kernarg_segment_ptr 1
		.amdhsa_user_sgpr_dispatch_id 0
		.amdhsa_user_sgpr_private_segment_size 0
		.amdhsa_wavefront_size32 1
		.amdhsa_uses_dynamic_stack 0
		.amdhsa_enable_private_segment 0
		.amdhsa_system_sgpr_workgroup_id_x 1
		.amdhsa_system_sgpr_workgroup_id_y 0
		.amdhsa_system_sgpr_workgroup_id_z 0
		.amdhsa_system_sgpr_workgroup_info 0
		.amdhsa_system_vgpr_workitem_id 2
		.amdhsa_next_free_vgpr 29
		.amdhsa_next_free_sgpr 22
		.amdhsa_reserve_vcc 1
		.amdhsa_float_round_mode_32 0
		.amdhsa_float_round_mode_16_64 0
		.amdhsa_float_denorm_mode_32 3
		.amdhsa_float_denorm_mode_16_64 3
		.amdhsa_dx10_clamp 1
		.amdhsa_ieee_mode 1
		.amdhsa_fp16_overflow 0
		.amdhsa_workgroup_processor_mode 1
		.amdhsa_memory_ordered 1
		.amdhsa_forward_progress 0
		.amdhsa_shared_vgpr_count 0
		.amdhsa_exception_fp_ieee_invalid_op 0
		.amdhsa_exception_fp_denorm_src 0
		.amdhsa_exception_fp_ieee_div_zero 0
		.amdhsa_exception_fp_ieee_overflow 0
		.amdhsa_exception_fp_ieee_underflow 0
		.amdhsa_exception_fp_ieee_inexact 0
		.amdhsa_exception_int_div_zero 0
	.end_amdhsa_kernel
	.section	.text._ZN9rocsparseL20bsrxmvn_17_32_kernelILj19E21rocsparse_complex_numIdEllS1_IfES2_S2_EEvT2_20rocsparse_direction_NS_24const_host_device_scalarIT0_EES4_PKS4_PKT1_SD_SA_PKT3_PKT4_S8_PT5_21rocsparse_index_base_b,"axG",@progbits,_ZN9rocsparseL20bsrxmvn_17_32_kernelILj19E21rocsparse_complex_numIdEllS1_IfES2_S2_EEvT2_20rocsparse_direction_NS_24const_host_device_scalarIT0_EES4_PKS4_PKT1_SD_SA_PKT3_PKT4_S8_PT5_21rocsparse_index_base_b,comdat
.Lfunc_end562:
	.size	_ZN9rocsparseL20bsrxmvn_17_32_kernelILj19E21rocsparse_complex_numIdEllS1_IfES2_S2_EEvT2_20rocsparse_direction_NS_24const_host_device_scalarIT0_EES4_PKS4_PKT1_SD_SA_PKT3_PKT4_S8_PT5_21rocsparse_index_base_b, .Lfunc_end562-_ZN9rocsparseL20bsrxmvn_17_32_kernelILj19E21rocsparse_complex_numIdEllS1_IfES2_S2_EEvT2_20rocsparse_direction_NS_24const_host_device_scalarIT0_EES4_PKS4_PKT1_SD_SA_PKT3_PKT4_S8_PT5_21rocsparse_index_base_b
                                        ; -- End function
	.section	.AMDGPU.csdata,"",@progbits
; Kernel info:
; codeLenInByte = 2160
; NumSgprs: 24
; NumVgprs: 29
; ScratchSize: 0
; MemoryBound: 0
; FloatMode: 240
; IeeeMode: 1
; LDSByteSize: 11552 bytes/workgroup (compile time only)
; SGPRBlocks: 2
; VGPRBlocks: 3
; NumSGPRsForWavesPerEU: 24
; NumVGPRsForWavesPerEU: 29
; Occupancy: 15
; WaveLimiterHint : 1
; COMPUTE_PGM_RSRC2:SCRATCH_EN: 0
; COMPUTE_PGM_RSRC2:USER_SGPR: 15
; COMPUTE_PGM_RSRC2:TRAP_HANDLER: 0
; COMPUTE_PGM_RSRC2:TGID_X_EN: 1
; COMPUTE_PGM_RSRC2:TGID_Y_EN: 0
; COMPUTE_PGM_RSRC2:TGID_Z_EN: 0
; COMPUTE_PGM_RSRC2:TIDIG_COMP_CNT: 2
	.section	.text._ZN9rocsparseL20bsrxmvn_17_32_kernelILj20E21rocsparse_complex_numIdEllS1_IfES2_S2_EEvT2_20rocsparse_direction_NS_24const_host_device_scalarIT0_EES4_PKS4_PKT1_SD_SA_PKT3_PKT4_S8_PT5_21rocsparse_index_base_b,"axG",@progbits,_ZN9rocsparseL20bsrxmvn_17_32_kernelILj20E21rocsparse_complex_numIdEllS1_IfES2_S2_EEvT2_20rocsparse_direction_NS_24const_host_device_scalarIT0_EES4_PKS4_PKT1_SD_SA_PKT3_PKT4_S8_PT5_21rocsparse_index_base_b,comdat
	.globl	_ZN9rocsparseL20bsrxmvn_17_32_kernelILj20E21rocsparse_complex_numIdEllS1_IfES2_S2_EEvT2_20rocsparse_direction_NS_24const_host_device_scalarIT0_EES4_PKS4_PKT1_SD_SA_PKT3_PKT4_S8_PT5_21rocsparse_index_base_b ; -- Begin function _ZN9rocsparseL20bsrxmvn_17_32_kernelILj20E21rocsparse_complex_numIdEllS1_IfES2_S2_EEvT2_20rocsparse_direction_NS_24const_host_device_scalarIT0_EES4_PKS4_PKT1_SD_SA_PKT3_PKT4_S8_PT5_21rocsparse_index_base_b
	.p2align	8
	.type	_ZN9rocsparseL20bsrxmvn_17_32_kernelILj20E21rocsparse_complex_numIdEllS1_IfES2_S2_EEvT2_20rocsparse_direction_NS_24const_host_device_scalarIT0_EES4_PKS4_PKT1_SD_SA_PKT3_PKT4_S8_PT5_21rocsparse_index_base_b,@function
_ZN9rocsparseL20bsrxmvn_17_32_kernelILj20E21rocsparse_complex_numIdEllS1_IfES2_S2_EEvT2_20rocsparse_direction_NS_24const_host_device_scalarIT0_EES4_PKS4_PKT1_SD_SA_PKT3_PKT4_S8_PT5_21rocsparse_index_base_b: ; @_ZN9rocsparseL20bsrxmvn_17_32_kernelILj20E21rocsparse_complex_numIdEllS1_IfES2_S2_EEvT2_20rocsparse_direction_NS_24const_host_device_scalarIT0_EES4_PKS4_PKT1_SD_SA_PKT3_PKT4_S8_PT5_21rocsparse_index_base_b
; %bb.0:
	s_mov_b32 s12, s15
	s_clause 0x1
	s_load_b64 s[14:15], s[2:3], 0x70
	s_load_b128 s[4:7], s[2:3], 0x10
	s_load_b64 s[16:17], s[0:1], 0x4
	s_mov_b64 s[0:1], src_shared_base
	v_and_b32_e32 v18, 0x3ff, v0
	s_load_b128 s[8:11], s[2:3], 0x58
	v_bfe_u32 v2, v0, 10, 10
	v_bfe_u32 v0, v0, 20, 10
	s_waitcnt lgkmcnt(0)
	s_bitcmp1_b32 s15, 0
	v_mov_b32_e32 v11, s7
	s_cselect_b32 s0, -1, 0
	v_mov_b32_e32 v10, s6
	s_and_b32 vcc_lo, s0, exec_lo
	s_cselect_b32 s13, s1, s5
	s_lshr_b32 s15, s16, 16
	s_xor_b32 s6, s0, -1
	s_mul_i32 s15, s15, s17
	v_mov_b32_e32 v5, s13
	v_mul_lo_u32 v1, s15, v18
	s_delay_alu instid0(VALU_DEP_1) | instskip(SKIP_1) | instid1(VALU_DEP_2)
	v_mad_u32_u24 v1, v2, s17, v1
	v_dual_mov_b32 v2, s8 :: v_dual_mov_b32 v3, s9
	v_add_lshl_u32 v6, v1, v0, 3
	v_dual_mov_b32 v0, s4 :: v_dual_mov_b32 v1, s5
	ds_store_b64 v6, v[0:1] offset:9600
	ds_store_b64 v6, v[2:3] offset:6400
	v_add_nc_u32_e32 v4, 0x2580, v6
	v_add_nc_u32_e32 v0, 0x1900, v6
	s_delay_alu instid0(VALU_DEP_2)
	v_cndmask_b32_e64 v4, s4, v4, s0
	flat_load_b64 v[8:9], v[4:5]
	s_cbranch_vccnz .LBB563_2
; %bb.1:
	v_dual_mov_b32 v1, s4 :: v_dual_mov_b32 v2, s5
	flat_load_b64 v[10:11], v[1:2] offset:8
.LBB563_2:
	s_and_b32 s4, s0, exec_lo
	s_cselect_b32 s1, s1, s9
	v_cndmask_b32_e64 v0, s8, v0, s0
	v_dual_mov_b32 v1, s1 :: v_dual_mov_b32 v6, s10
	v_mov_b32_e32 v7, s11
	s_and_not1_b32 vcc_lo, exec_lo, s6
	flat_load_b64 v[4:5], v[0:1]
	s_cbranch_vccnz .LBB563_4
; %bb.3:
	v_dual_mov_b32 v0, s8 :: v_dual_mov_b32 v1, s9
	flat_load_b64 v[6:7], v[0:1] offset:8
.LBB563_4:
	s_waitcnt vmcnt(1) lgkmcnt(1)
	v_cmp_eq_f64_e32 vcc_lo, 0, v[8:9]
	v_cmp_eq_f64_e64 s0, 0, v[10:11]
	s_delay_alu instid0(VALU_DEP_1)
	s_and_b32 s4, vcc_lo, s0
	s_mov_b32 s0, -1
	s_and_saveexec_b32 s1, s4
	s_cbranch_execz .LBB563_6
; %bb.5:
	s_waitcnt vmcnt(0) lgkmcnt(0)
	v_cmp_neq_f64_e32 vcc_lo, 1.0, v[4:5]
	v_cmp_neq_f64_e64 s0, 0, v[6:7]
	s_delay_alu instid0(VALU_DEP_1) | instskip(NEXT) | instid1(SALU_CYCLE_1)
	s_or_b32 s0, vcc_lo, s0
	s_or_not1_b32 s0, s0, exec_lo
.LBB563_6:
	s_or_b32 exec_lo, exec_lo, s1
	s_and_saveexec_b32 s1, s0
	s_cbranch_execz .LBB563_43
; %bb.7:
	s_clause 0x1
	s_load_b128 s[4:7], s[2:3], 0x28
	s_load_b64 s[8:9], s[2:3], 0x38
	s_mov_b32 s13, 0
	s_waitcnt lgkmcnt(0)
	s_cmp_eq_u64 s[4:5], 0
	s_cbranch_scc1 .LBB563_9
; %bb.8:
	s_lshl_b64 s[0:1], s[12:13], 3
	s_delay_alu instid0(SALU_CYCLE_1)
	s_add_u32 s0, s4, s0
	s_addc_u32 s1, s5, s1
	s_load_b64 s[0:1], s[0:1], 0x0
	s_waitcnt lgkmcnt(0)
	s_sub_u32 s12, s0, s14
	s_subb_u32 s13, s1, 0
.LBB563_9:
	s_load_b32 s1, s[2:3], 0x8
	v_mul_u32_u24_e32 v0, 0xccd, v18
	v_mov_b32_e32 v2, 0
	v_mov_b32_e32 v3, 0
	s_delay_alu instid0(VALU_DEP_3) | instskip(NEXT) | instid1(VALU_DEP_1)
	v_lshrrev_b32_e32 v12, 16, v0
	v_mul_lo_u16 v0, v12, 20
	s_delay_alu instid0(VALU_DEP_1) | instskip(NEXT) | instid1(VALU_DEP_4)
	v_sub_nc_u16 v19, v18, v0
	v_dual_mov_b32 v0, v2 :: v_dual_mov_b32 v1, v3
	s_waitcnt lgkmcnt(0)
	s_cmp_eq_u32 s1, 1
	s_cselect_b32 s0, -1, 0
	s_cmp_lg_u32 s1, 1
	s_cselect_b32 s1, -1, 0
	s_lshl_b64 s[4:5], s[12:13], 3
	s_delay_alu instid0(SALU_CYCLE_1)
	s_add_u32 s6, s6, s4
	s_addc_u32 s7, s7, s5
	s_add_u32 s10, s6, 8
	s_addc_u32 s11, s7, 0
	;; [unrolled: 2-line block ×3, first 2 shown]
	s_cmp_eq_u64 s[8:9], 0
	s_load_b64 s[8:9], s[2:3], 0x68
	s_cselect_b32 s5, s11, s5
	s_cselect_b32 s4, s10, s4
	s_load_b64 s[16:17], s[6:7], 0x0
	s_load_b64 s[10:11], s[4:5], 0x0
	s_waitcnt lgkmcnt(0)
	v_cmp_ge_i64_e64 s4, s[16:17], s[10:11]
	s_delay_alu instid0(VALU_DEP_1)
	s_and_b32 vcc_lo, exec_lo, s4
	s_cbranch_vccnz .LBB563_14
; %bb.10:
	v_mul_lo_u16 v0, v12, 13
	v_and_b32_e32 v2, 0xffff, v18
	s_clause 0x1
	s_load_b64 s[18:19], s[2:3], 0x50
	s_load_b128 s[4:7], s[2:3], 0x40
	v_and_b32_e32 v1, 0xffff, v19
	s_sub_u32 s2, s10, s14
	v_lshrrev_b16 v0, 8, v0
	v_mul_u32_u24_e32 v2, 0xa4, v2
	s_subb_u32 s3, s11, 0
	s_sub_u32 s10, s16, s14
	s_subb_u32 s11, s17, 0
	v_mul_lo_u16 v0, v0, 20
	v_lshrrev_b32_e32 v20, 16, v2
	s_mul_hi_u32 s15, s10, 0xc80
	s_mul_i32 s20, s11, 0xc80
	s_mul_i32 s21, s10, 0xc80
	v_sub_nc_u16 v0, v12, v0
	s_add_i32 s15, s15, s20
	v_lshlrev_b32_e32 v14, 3, v18
	s_delay_alu instid0(VALU_DEP_2) | instskip(NEXT) | instid1(VALU_DEP_1)
	v_and_b32_e32 v0, 0xff, v0
	v_cndmask_b32_e64 v0, v1, v0, s0
	v_add_co_u32 v1, s0, s16, v20
	s_delay_alu instid0(VALU_DEP_1) | instskip(NEXT) | instid1(VALU_DEP_3)
	v_add_co_ci_u32_e64 v2, null, s17, 0, s0
	v_lshlrev_b32_e32 v3, 4, v0
	s_delay_alu instid0(VALU_DEP_3) | instskip(NEXT) | instid1(VALU_DEP_3)
	v_sub_co_u32 v0, vcc_lo, v1, s14
	v_subrev_co_ci_u32_e32 v1, vcc_lo, 0, v2, vcc_lo
	s_waitcnt lgkmcnt(0)
	s_add_u32 s0, s6, s21
	s_addc_u32 s6, s7, s15
	v_add_co_u32 v12, s7, s18, v3
	v_lshlrev_b64 v[0:1], 3, v[0:1]
	v_mov_b32_e32 v2, 0
	v_mov_b32_e32 v3, 0
	v_add_co_u32 v14, s0, s0, v14
	v_add_co_ci_u32_e64 v13, null, s19, 0, s7
	v_add_co_u32 v16, vcc_lo, s4, v0
	v_add_co_ci_u32_e32 v17, vcc_lo, s5, v1, vcc_lo
	v_dual_mov_b32 v0, v2 :: v_dual_mov_b32 v1, v3
	v_add_co_ci_u32_e64 v15, null, s6, 0, s0
	s_branch .LBB563_12
.LBB563_11:                             ;   in Loop: Header=BB563_12 Depth=1
	s_or_b32 exec_lo, exec_lo, s0
	s_add_u32 s10, s10, 1
	s_addc_u32 s11, s11, 0
	v_add_co_u32 v16, vcc_lo, v16, 8
	v_cmp_lt_i64_e64 s0, s[10:11], s[2:3]
	v_add_co_ci_u32_e32 v17, vcc_lo, 0, v17, vcc_lo
	s_delay_alu instid0(VALU_DEP_2)
	s_and_b32 vcc_lo, exec_lo, s0
	s_cbranch_vccz .LBB563_14
.LBB563_12:                             ; =>This Inner Loop Header: Depth=1
	v_add_co_u32 v21, s0, v20, s10
	s_delay_alu instid0(VALU_DEP_1) | instskip(SKIP_1) | instid1(VALU_DEP_1)
	v_add_co_ci_u32_e64 v22, null, 0, s11, s0
	s_mov_b32 s0, exec_lo
	v_cmpx_gt_i64_e64 s[2:3], v[21:22]
	s_cbranch_execz .LBB563_11
; %bb.13:                               ;   in Loop: Header=BB563_12 Depth=1
	global_load_b64 v[21:22], v[16:17], off
	global_load_b64 v[25:26], v[14:15], off
	s_waitcnt vmcnt(1)
	v_sub_co_u32 v23, vcc_lo, v21, s14
	v_subrev_co_ci_u32_e32 v27, vcc_lo, 0, v22, vcc_lo
	v_add_co_u32 v14, vcc_lo, 0xc80, v14
	s_delay_alu instid0(VALU_DEP_3) | instskip(SKIP_1) | instid1(VALU_DEP_2)
	v_mad_u64_u32 v[21:22], null, 0x140, v23, v[12:13]
	v_add_co_ci_u32_e32 v15, vcc_lo, 0, v15, vcc_lo
	v_mad_u64_u32 v[23:24], null, 0x140, v27, v[22:23]
	s_waitcnt vmcnt(0)
	v_cvt_f64_f32_e32 v[27:28], v25
	v_cvt_f64_f32_e32 v[25:26], v26
	s_delay_alu instid0(VALU_DEP_3) | instskip(SKIP_4) | instid1(VALU_DEP_2)
	v_mov_b32_e32 v22, v23
	global_load_b128 v[21:24], v[21:22], off
	s_waitcnt vmcnt(0)
	v_fma_f64 v[0:1], v[27:28], v[21:22], v[0:1]
	v_fma_f64 v[2:3], v[25:26], v[21:22], v[2:3]
	v_fma_f64 v[0:1], -v[25:26], v[23:24], v[0:1]
	s_delay_alu instid0(VALU_DEP_2)
	v_fma_f64 v[2:3], v[27:28], v[23:24], v[2:3]
	s_branch .LBB563_11
.LBB563_14:
	v_lshlrev_b32_e32 v16, 4, v18
	s_and_b32 vcc_lo, exec_lo, s1
	ds_store_b128 v16, v[0:3]
	s_waitcnt vmcnt(0) lgkmcnt(0)
	s_barrier
	buffer_gl0_inv
	s_cbranch_vccz .LBB563_26
; %bb.15:
	v_cmp_gt_u16_e32 vcc_lo, 4, v19
	s_and_saveexec_b32 s0, vcc_lo
	s_cbranch_execz .LBB563_17
; %bb.16:
	ds_load_b128 v[12:15], v16 offset:256
	ds_load_b128 v[20:23], v16
	s_waitcnt lgkmcnt(0)
	v_add_f64 v[12:13], v[12:13], v[20:21]
	v_add_f64 v[14:15], v[14:15], v[22:23]
	ds_store_b128 v16, v[12:15]
.LBB563_17:
	s_or_b32 exec_lo, exec_lo, s0
	s_delay_alu instid0(SALU_CYCLE_1)
	s_mov_b32 s1, exec_lo
	s_waitcnt lgkmcnt(0)
	s_barrier
	buffer_gl0_inv
	v_cmpx_gt_u16_e32 8, v19
	s_cbranch_execz .LBB563_19
; %bb.18:
	ds_load_b128 v[12:15], v16 offset:128
	ds_load_b128 v[20:23], v16
	s_waitcnt lgkmcnt(0)
	v_add_f64 v[12:13], v[12:13], v[20:21]
	v_add_f64 v[14:15], v[14:15], v[22:23]
	ds_store_b128 v16, v[12:15]
.LBB563_19:
	s_or_b32 exec_lo, exec_lo, s1
	s_waitcnt lgkmcnt(0)
	s_barrier
	buffer_gl0_inv
	s_and_saveexec_b32 s0, vcc_lo
	s_cbranch_execz .LBB563_21
; %bb.20:
	ds_load_b128 v[12:15], v16 offset:64
	ds_load_b128 v[20:23], v16
	s_waitcnt lgkmcnt(0)
	v_add_f64 v[12:13], v[12:13], v[20:21]
	v_add_f64 v[14:15], v[14:15], v[22:23]
	ds_store_b128 v16, v[12:15]
.LBB563_21:
	s_or_b32 exec_lo, exec_lo, s0
	s_delay_alu instid0(SALU_CYCLE_1)
	s_mov_b32 s0, exec_lo
	s_waitcnt lgkmcnt(0)
	s_barrier
	buffer_gl0_inv
	v_cmpx_gt_u16_e32 2, v19
	s_cbranch_execz .LBB563_23
; %bb.22:
	ds_load_b128 v[12:15], v16
	ds_load_b128 v[19:22], v16 offset:32
	s_waitcnt lgkmcnt(0)
	v_add_f64 v[12:13], v[19:20], v[12:13]
	v_add_f64 v[14:15], v[21:22], v[14:15]
	ds_store_b128 v16, v[12:15]
.LBB563_23:
	s_or_b32 exec_lo, exec_lo, s0
	v_dual_mov_b32 v15, v3 :: v_dual_mov_b32 v14, v2
	v_dual_mov_b32 v13, v1 :: v_dual_mov_b32 v12, v0
	s_mov_b32 s0, exec_lo
	s_waitcnt lgkmcnt(0)
	s_barrier
	buffer_gl0_inv
	v_cmpx_gt_u32_e32 20, v18
	s_cbranch_execz .LBB563_25
; %bb.24:
	v_mul_u32_u24_e32 v12, 20, v18
	s_delay_alu instid0(VALU_DEP_1)
	v_lshlrev_b32_e32 v17, 4, v12
	ds_load_b128 v[12:15], v17
	ds_load_b128 v[19:22], v17 offset:16
	s_waitcnt lgkmcnt(0)
	v_add_f64 v[12:13], v[19:20], v[12:13]
	v_add_f64 v[14:15], v[21:22], v[14:15]
.LBB563_25:
	s_or_b32 exec_lo, exec_lo, s0
	s_branch .LBB563_38
.LBB563_26:
                                        ; implicit-def: $vgpr14_vgpr15
                                        ; implicit-def: $vgpr12_vgpr13
	s_cbranch_execz .LBB563_38
; %bb.27:
	v_cmp_gt_u32_e32 vcc_lo, 0x50, v18
	s_and_saveexec_b32 s0, vcc_lo
	s_cbranch_execz .LBB563_29
; %bb.28:
	ds_load_b128 v[12:15], v16 offset:5120
	ds_load_b128 v[19:22], v16
	s_waitcnt lgkmcnt(0)
	v_add_f64 v[12:13], v[12:13], v[19:20]
	v_add_f64 v[14:15], v[14:15], v[21:22]
	ds_store_b128 v16, v[12:15]
.LBB563_29:
	s_or_b32 exec_lo, exec_lo, s0
	s_delay_alu instid0(SALU_CYCLE_1)
	s_mov_b32 s1, exec_lo
	s_waitcnt lgkmcnt(0)
	s_barrier
	buffer_gl0_inv
	v_cmpx_gt_u32_e32 0xa0, v18
	s_cbranch_execz .LBB563_31
; %bb.30:
	ds_load_b128 v[12:15], v16 offset:2560
	ds_load_b128 v[19:22], v16
	s_waitcnt lgkmcnt(0)
	v_add_f64 v[12:13], v[12:13], v[19:20]
	v_add_f64 v[14:15], v[14:15], v[21:22]
	ds_store_b128 v16, v[12:15]
.LBB563_31:
	s_or_b32 exec_lo, exec_lo, s1
	s_waitcnt lgkmcnt(0)
	s_barrier
	buffer_gl0_inv
	s_and_saveexec_b32 s0, vcc_lo
	s_cbranch_execz .LBB563_33
; %bb.32:
	ds_load_b128 v[12:15], v16 offset:1280
	ds_load_b128 v[19:22], v16
	s_waitcnt lgkmcnt(0)
	v_add_f64 v[12:13], v[12:13], v[19:20]
	v_add_f64 v[14:15], v[14:15], v[21:22]
	ds_store_b128 v16, v[12:15]
.LBB563_33:
	s_or_b32 exec_lo, exec_lo, s0
	s_delay_alu instid0(SALU_CYCLE_1)
	s_mov_b32 s0, exec_lo
	s_waitcnt lgkmcnt(0)
	s_barrier
	buffer_gl0_inv
	v_cmpx_gt_u32_e32 40, v18
	s_cbranch_execz .LBB563_35
; %bb.34:
	ds_load_b128 v[12:15], v16 offset:640
	ds_load_b128 v[19:22], v16
	s_waitcnt lgkmcnt(0)
	v_add_f64 v[12:13], v[12:13], v[19:20]
	v_add_f64 v[14:15], v[14:15], v[21:22]
	ds_store_b128 v16, v[12:15]
.LBB563_35:
	s_or_b32 exec_lo, exec_lo, s0
	s_delay_alu instid0(SALU_CYCLE_1)
	s_mov_b32 s0, exec_lo
	s_waitcnt lgkmcnt(0)
	buffer_gl0_inv
	v_cmpx_gt_u32_e32 20, v18
	s_cbranch_execz .LBB563_37
; %bb.36:
	ds_load_b128 v[0:3], v16 offset:320
	ds_load_b128 v[12:15], v16
	s_waitcnt lgkmcnt(0)
	v_add_f64 v[0:1], v[0:1], v[12:13]
	v_add_f64 v[2:3], v[2:3], v[14:15]
.LBB563_37:
	s_or_b32 exec_lo, exec_lo, s0
	s_delay_alu instid0(VALU_DEP_1) | instskip(NEXT) | instid1(VALU_DEP_3)
	v_dual_mov_b32 v15, v3 :: v_dual_mov_b32 v14, v2
	v_dual_mov_b32 v13, v1 :: v_dual_mov_b32 v12, v0
.LBB563_38:
	v_cmp_gt_u32_e32 vcc_lo, 20, v18
	s_and_b32 exec_lo, exec_lo, vcc_lo
	s_cbranch_execz .LBB563_43
; %bb.39:
	s_delay_alu instid0(VALU_DEP_2)
	v_mul_f64 v[0:1], v[14:15], -v[10:11]
	v_mul_f64 v[2:3], v[8:9], v[14:15]
	v_cmp_eq_f64_e32 vcc_lo, 0, v[4:5]
	v_cmp_eq_f64_e64 s0, 0, v[6:7]
	s_mul_hi_u32 s1, s12, 0x140
	s_mul_i32 s2, s12, 0x140
	s_delay_alu instid0(VALU_DEP_4) | instskip(NEXT) | instid1(VALU_DEP_4)
	v_fma_f64 v[0:1], v[8:9], v[12:13], v[0:1]
	v_fma_f64 v[2:3], v[10:11], v[12:13], v[2:3]
	s_delay_alu instid0(VALU_DEP_3) | instskip(SKIP_2) | instid1(SALU_CYCLE_1)
	s_and_b32 s3, vcc_lo, s0
	s_mul_i32 s0, s13, 0x140
	s_and_saveexec_b32 s4, s3
	s_xor_b32 s3, exec_lo, s4
	s_cbranch_execz .LBB563_41
; %bb.40:
	s_add_i32 s5, s1, s0
	s_add_u32 s4, s8, s2
	s_addc_u32 s5, s9, s5
                                        ; implicit-def: $vgpr4_vgpr5
                                        ; implicit-def: $vgpr6_vgpr7
	global_store_b128 v16, v[0:3], s[4:5]
                                        ; implicit-def: $vgpr16
                                        ; implicit-def: $vgpr0_vgpr1
.LBB563_41:
	s_and_not1_saveexec_b32 s3, s3
	s_cbranch_execz .LBB563_43
; %bb.42:
	s_add_i32 s1, s1, s0
	s_add_u32 s0, s8, s2
	s_addc_u32 s1, s9, s1
	global_load_b128 v[8:11], v16, s[0:1]
	s_waitcnt vmcnt(0)
	v_fma_f64 v[0:1], v[4:5], v[8:9], v[0:1]
	v_fma_f64 v[2:3], v[6:7], v[8:9], v[2:3]
	s_delay_alu instid0(VALU_DEP_2) | instskip(NEXT) | instid1(VALU_DEP_2)
	v_fma_f64 v[0:1], -v[6:7], v[10:11], v[0:1]
	v_fma_f64 v[2:3], v[4:5], v[10:11], v[2:3]
	global_store_b128 v16, v[0:3], s[0:1]
.LBB563_43:
	s_nop 0
	s_sendmsg sendmsg(MSG_DEALLOC_VGPRS)
	s_endpgm
	.section	.rodata,"a",@progbits
	.p2align	6, 0x0
	.amdhsa_kernel _ZN9rocsparseL20bsrxmvn_17_32_kernelILj20E21rocsparse_complex_numIdEllS1_IfES2_S2_EEvT2_20rocsparse_direction_NS_24const_host_device_scalarIT0_EES4_PKS4_PKT1_SD_SA_PKT3_PKT4_S8_PT5_21rocsparse_index_base_b
		.amdhsa_group_segment_fixed_size 12800
		.amdhsa_private_segment_fixed_size 0
		.amdhsa_kernarg_size 120
		.amdhsa_user_sgpr_count 15
		.amdhsa_user_sgpr_dispatch_ptr 1
		.amdhsa_user_sgpr_queue_ptr 0
		.amdhsa_user_sgpr_kernarg_segment_ptr 1
		.amdhsa_user_sgpr_dispatch_id 0
		.amdhsa_user_sgpr_private_segment_size 0
		.amdhsa_wavefront_size32 1
		.amdhsa_uses_dynamic_stack 0
		.amdhsa_enable_private_segment 0
		.amdhsa_system_sgpr_workgroup_id_x 1
		.amdhsa_system_sgpr_workgroup_id_y 0
		.amdhsa_system_sgpr_workgroup_id_z 0
		.amdhsa_system_sgpr_workgroup_info 0
		.amdhsa_system_vgpr_workitem_id 2
		.amdhsa_next_free_vgpr 29
		.amdhsa_next_free_sgpr 22
		.amdhsa_reserve_vcc 1
		.amdhsa_float_round_mode_32 0
		.amdhsa_float_round_mode_16_64 0
		.amdhsa_float_denorm_mode_32 3
		.amdhsa_float_denorm_mode_16_64 3
		.amdhsa_dx10_clamp 1
		.amdhsa_ieee_mode 1
		.amdhsa_fp16_overflow 0
		.amdhsa_workgroup_processor_mode 1
		.amdhsa_memory_ordered 1
		.amdhsa_forward_progress 0
		.amdhsa_shared_vgpr_count 0
		.amdhsa_exception_fp_ieee_invalid_op 0
		.amdhsa_exception_fp_denorm_src 0
		.amdhsa_exception_fp_ieee_div_zero 0
		.amdhsa_exception_fp_ieee_overflow 0
		.amdhsa_exception_fp_ieee_underflow 0
		.amdhsa_exception_fp_ieee_inexact 0
		.amdhsa_exception_int_div_zero 0
	.end_amdhsa_kernel
	.section	.text._ZN9rocsparseL20bsrxmvn_17_32_kernelILj20E21rocsparse_complex_numIdEllS1_IfES2_S2_EEvT2_20rocsparse_direction_NS_24const_host_device_scalarIT0_EES4_PKS4_PKT1_SD_SA_PKT3_PKT4_S8_PT5_21rocsparse_index_base_b,"axG",@progbits,_ZN9rocsparseL20bsrxmvn_17_32_kernelILj20E21rocsparse_complex_numIdEllS1_IfES2_S2_EEvT2_20rocsparse_direction_NS_24const_host_device_scalarIT0_EES4_PKS4_PKT1_SD_SA_PKT3_PKT4_S8_PT5_21rocsparse_index_base_b,comdat
.Lfunc_end563:
	.size	_ZN9rocsparseL20bsrxmvn_17_32_kernelILj20E21rocsparse_complex_numIdEllS1_IfES2_S2_EEvT2_20rocsparse_direction_NS_24const_host_device_scalarIT0_EES4_PKS4_PKT1_SD_SA_PKT3_PKT4_S8_PT5_21rocsparse_index_base_b, .Lfunc_end563-_ZN9rocsparseL20bsrxmvn_17_32_kernelILj20E21rocsparse_complex_numIdEllS1_IfES2_S2_EEvT2_20rocsparse_direction_NS_24const_host_device_scalarIT0_EES4_PKS4_PKT1_SD_SA_PKT3_PKT4_S8_PT5_21rocsparse_index_base_b
                                        ; -- End function
	.section	.AMDGPU.csdata,"",@progbits
; Kernel info:
; codeLenInByte = 2144
; NumSgprs: 24
; NumVgprs: 29
; ScratchSize: 0
; MemoryBound: 0
; FloatMode: 240
; IeeeMode: 1
; LDSByteSize: 12800 bytes/workgroup (compile time only)
; SGPRBlocks: 2
; VGPRBlocks: 3
; NumSGPRsForWavesPerEU: 24
; NumVGPRsForWavesPerEU: 29
; Occupancy: 13
; WaveLimiterHint : 1
; COMPUTE_PGM_RSRC2:SCRATCH_EN: 0
; COMPUTE_PGM_RSRC2:USER_SGPR: 15
; COMPUTE_PGM_RSRC2:TRAP_HANDLER: 0
; COMPUTE_PGM_RSRC2:TGID_X_EN: 1
; COMPUTE_PGM_RSRC2:TGID_Y_EN: 0
; COMPUTE_PGM_RSRC2:TGID_Z_EN: 0
; COMPUTE_PGM_RSRC2:TIDIG_COMP_CNT: 2
	.section	.text._ZN9rocsparseL20bsrxmvn_17_32_kernelILj21E21rocsparse_complex_numIdEllS1_IfES2_S2_EEvT2_20rocsparse_direction_NS_24const_host_device_scalarIT0_EES4_PKS4_PKT1_SD_SA_PKT3_PKT4_S8_PT5_21rocsparse_index_base_b,"axG",@progbits,_ZN9rocsparseL20bsrxmvn_17_32_kernelILj21E21rocsparse_complex_numIdEllS1_IfES2_S2_EEvT2_20rocsparse_direction_NS_24const_host_device_scalarIT0_EES4_PKS4_PKT1_SD_SA_PKT3_PKT4_S8_PT5_21rocsparse_index_base_b,comdat
	.globl	_ZN9rocsparseL20bsrxmvn_17_32_kernelILj21E21rocsparse_complex_numIdEllS1_IfES2_S2_EEvT2_20rocsparse_direction_NS_24const_host_device_scalarIT0_EES4_PKS4_PKT1_SD_SA_PKT3_PKT4_S8_PT5_21rocsparse_index_base_b ; -- Begin function _ZN9rocsparseL20bsrxmvn_17_32_kernelILj21E21rocsparse_complex_numIdEllS1_IfES2_S2_EEvT2_20rocsparse_direction_NS_24const_host_device_scalarIT0_EES4_PKS4_PKT1_SD_SA_PKT3_PKT4_S8_PT5_21rocsparse_index_base_b
	.p2align	8
	.type	_ZN9rocsparseL20bsrxmvn_17_32_kernelILj21E21rocsparse_complex_numIdEllS1_IfES2_S2_EEvT2_20rocsparse_direction_NS_24const_host_device_scalarIT0_EES4_PKS4_PKT1_SD_SA_PKT3_PKT4_S8_PT5_21rocsparse_index_base_b,@function
_ZN9rocsparseL20bsrxmvn_17_32_kernelILj21E21rocsparse_complex_numIdEllS1_IfES2_S2_EEvT2_20rocsparse_direction_NS_24const_host_device_scalarIT0_EES4_PKS4_PKT1_SD_SA_PKT3_PKT4_S8_PT5_21rocsparse_index_base_b: ; @_ZN9rocsparseL20bsrxmvn_17_32_kernelILj21E21rocsparse_complex_numIdEllS1_IfES2_S2_EEvT2_20rocsparse_direction_NS_24const_host_device_scalarIT0_EES4_PKS4_PKT1_SD_SA_PKT3_PKT4_S8_PT5_21rocsparse_index_base_b
; %bb.0:
	s_mov_b32 s12, s15
	s_clause 0x1
	s_load_b64 s[14:15], s[2:3], 0x70
	s_load_b128 s[4:7], s[2:3], 0x10
	s_load_b64 s[16:17], s[0:1], 0x4
	s_mov_b64 s[0:1], src_shared_base
	v_and_b32_e32 v18, 0x3ff, v0
	s_load_b128 s[8:11], s[2:3], 0x58
	v_bfe_u32 v2, v0, 10, 10
	v_bfe_u32 v0, v0, 20, 10
	s_waitcnt lgkmcnt(0)
	s_bitcmp1_b32 s15, 0
	v_mov_b32_e32 v11, s7
	s_cselect_b32 s0, -1, 0
	v_mov_b32_e32 v10, s6
	s_and_b32 vcc_lo, s0, exec_lo
	s_cselect_b32 s13, s1, s5
	s_lshr_b32 s15, s16, 16
	s_xor_b32 s6, s0, -1
	s_mul_i32 s15, s15, s17
	v_mov_b32_e32 v5, s13
	v_mul_lo_u32 v1, s15, v18
	s_delay_alu instid0(VALU_DEP_1) | instskip(SKIP_1) | instid1(VALU_DEP_2)
	v_mad_u32_u24 v1, v2, s17, v1
	v_dual_mov_b32 v2, s8 :: v_dual_mov_b32 v3, s9
	v_add_lshl_u32 v6, v1, v0, 3
	v_dual_mov_b32 v0, s4 :: v_dual_mov_b32 v1, s5
	ds_store_b64 v6, v[0:1] offset:10584
	ds_store_b64 v6, v[2:3] offset:7056
	v_add_nc_u32_e32 v4, 0x2958, v6
	v_add_nc_u32_e32 v0, 0x1b90, v6
	s_delay_alu instid0(VALU_DEP_2)
	v_cndmask_b32_e64 v4, s4, v4, s0
	flat_load_b64 v[8:9], v[4:5]
	s_cbranch_vccnz .LBB564_2
; %bb.1:
	v_dual_mov_b32 v1, s4 :: v_dual_mov_b32 v2, s5
	flat_load_b64 v[10:11], v[1:2] offset:8
.LBB564_2:
	s_and_b32 s4, s0, exec_lo
	s_cselect_b32 s1, s1, s9
	v_cndmask_b32_e64 v0, s8, v0, s0
	v_dual_mov_b32 v1, s1 :: v_dual_mov_b32 v6, s10
	v_mov_b32_e32 v7, s11
	s_and_not1_b32 vcc_lo, exec_lo, s6
	flat_load_b64 v[4:5], v[0:1]
	s_cbranch_vccnz .LBB564_4
; %bb.3:
	v_dual_mov_b32 v0, s8 :: v_dual_mov_b32 v1, s9
	flat_load_b64 v[6:7], v[0:1] offset:8
.LBB564_4:
	s_waitcnt vmcnt(1) lgkmcnt(1)
	v_cmp_eq_f64_e32 vcc_lo, 0, v[8:9]
	v_cmp_eq_f64_e64 s0, 0, v[10:11]
	s_delay_alu instid0(VALU_DEP_1)
	s_and_b32 s4, vcc_lo, s0
	s_mov_b32 s0, -1
	s_and_saveexec_b32 s1, s4
	s_cbranch_execz .LBB564_6
; %bb.5:
	s_waitcnt vmcnt(0) lgkmcnt(0)
	v_cmp_neq_f64_e32 vcc_lo, 1.0, v[4:5]
	v_cmp_neq_f64_e64 s0, 0, v[6:7]
	s_delay_alu instid0(VALU_DEP_1) | instskip(NEXT) | instid1(SALU_CYCLE_1)
	s_or_b32 s0, vcc_lo, s0
	s_or_not1_b32 s0, s0, exec_lo
.LBB564_6:
	s_or_b32 exec_lo, exec_lo, s1
	s_and_saveexec_b32 s1, s0
	s_cbranch_execz .LBB564_43
; %bb.7:
	s_clause 0x1
	s_load_b128 s[4:7], s[2:3], 0x28
	s_load_b64 s[8:9], s[2:3], 0x38
	s_mov_b32 s13, 0
	s_waitcnt lgkmcnt(0)
	s_cmp_eq_u64 s[4:5], 0
	s_cbranch_scc1 .LBB564_9
; %bb.8:
	s_lshl_b64 s[0:1], s[12:13], 3
	s_delay_alu instid0(SALU_CYCLE_1)
	s_add_u32 s0, s4, s0
	s_addc_u32 s1, s5, s1
	s_load_b64 s[0:1], s[0:1], 0x0
	s_waitcnt lgkmcnt(0)
	s_sub_u32 s12, s0, s14
	s_subb_u32 s13, s1, 0
.LBB564_9:
	s_load_b32 s1, s[2:3], 0x8
	v_mul_u32_u24_e32 v0, 0xc31, v18
	v_mov_b32_e32 v2, 0
	v_mov_b32_e32 v3, 0
	s_delay_alu instid0(VALU_DEP_3) | instskip(NEXT) | instid1(VALU_DEP_1)
	v_lshrrev_b32_e32 v12, 16, v0
	v_mul_lo_u16 v0, v12, 21
	s_delay_alu instid0(VALU_DEP_1) | instskip(NEXT) | instid1(VALU_DEP_4)
	v_sub_nc_u16 v19, v18, v0
	v_dual_mov_b32 v0, v2 :: v_dual_mov_b32 v1, v3
	s_waitcnt lgkmcnt(0)
	s_cmp_eq_u32 s1, 1
	s_cselect_b32 s0, -1, 0
	s_cmp_lg_u32 s1, 1
	s_cselect_b32 s1, -1, 0
	s_lshl_b64 s[4:5], s[12:13], 3
	s_delay_alu instid0(SALU_CYCLE_1)
	s_add_u32 s6, s6, s4
	s_addc_u32 s7, s7, s5
	s_add_u32 s10, s6, 8
	s_addc_u32 s11, s7, 0
	;; [unrolled: 2-line block ×3, first 2 shown]
	s_cmp_eq_u64 s[8:9], 0
	s_load_b64 s[8:9], s[2:3], 0x68
	s_cselect_b32 s5, s11, s5
	s_cselect_b32 s4, s10, s4
	s_load_b64 s[16:17], s[6:7], 0x0
	s_load_b64 s[10:11], s[4:5], 0x0
	s_waitcnt lgkmcnt(0)
	v_cmp_ge_i64_e64 s4, s[16:17], s[10:11]
	s_delay_alu instid0(VALU_DEP_1)
	s_and_b32 vcc_lo, exec_lo, s4
	s_cbranch_vccnz .LBB564_14
; %bb.10:
	v_mul_lo_u16 v0, v12, 25
	v_and_b32_e32 v2, 0xffff, v18
	s_clause 0x1
	s_load_b64 s[18:19], s[2:3], 0x50
	s_load_b128 s[4:7], s[2:3], 0x40
	v_and_b32_e32 v1, 0xffff, v19
	s_sub_u32 s2, s10, s14
	v_lshrrev_b16 v0, 9, v0
	v_mul_u32_u24_e32 v2, 0x253, v2
	s_subb_u32 s3, s11, 0
	s_sub_u32 s10, s16, s14
	s_subb_u32 s11, s17, 0
	v_mul_lo_u16 v0, v0, 21
	v_lshrrev_b32_e32 v20, 18, v2
	s_mul_hi_u32 s15, s10, 0xdc8
	s_mul_i32 s20, s11, 0xdc8
	s_mul_i32 s21, s10, 0xdc8
	v_sub_nc_u16 v0, v12, v0
	s_add_i32 s15, s15, s20
	v_lshlrev_b32_e32 v14, 3, v18
	s_delay_alu instid0(VALU_DEP_2) | instskip(NEXT) | instid1(VALU_DEP_1)
	v_and_b32_e32 v0, 0xff, v0
	v_cndmask_b32_e64 v0, v1, v0, s0
	v_add_co_u32 v1, s0, s16, v20
	s_delay_alu instid0(VALU_DEP_1) | instskip(NEXT) | instid1(VALU_DEP_3)
	v_add_co_ci_u32_e64 v2, null, s17, 0, s0
	v_lshlrev_b32_e32 v3, 4, v0
	s_delay_alu instid0(VALU_DEP_3) | instskip(NEXT) | instid1(VALU_DEP_3)
	v_sub_co_u32 v0, vcc_lo, v1, s14
	v_subrev_co_ci_u32_e32 v1, vcc_lo, 0, v2, vcc_lo
	s_waitcnt lgkmcnt(0)
	s_add_u32 s0, s6, s21
	s_addc_u32 s6, s7, s15
	v_add_co_u32 v12, s7, s18, v3
	v_lshlrev_b64 v[0:1], 3, v[0:1]
	v_mov_b32_e32 v2, 0
	v_mov_b32_e32 v3, 0
	v_add_co_u32 v14, s0, s0, v14
	v_add_co_ci_u32_e64 v13, null, s19, 0, s7
	v_add_co_u32 v16, vcc_lo, s4, v0
	v_add_co_ci_u32_e32 v17, vcc_lo, s5, v1, vcc_lo
	v_dual_mov_b32 v0, v2 :: v_dual_mov_b32 v1, v3
	v_add_co_ci_u32_e64 v15, null, s6, 0, s0
	s_branch .LBB564_12
.LBB564_11:                             ;   in Loop: Header=BB564_12 Depth=1
	s_or_b32 exec_lo, exec_lo, s0
	s_add_u32 s10, s10, 1
	s_addc_u32 s11, s11, 0
	v_add_co_u32 v16, vcc_lo, v16, 8
	v_cmp_lt_i64_e64 s0, s[10:11], s[2:3]
	v_add_co_ci_u32_e32 v17, vcc_lo, 0, v17, vcc_lo
	s_delay_alu instid0(VALU_DEP_2)
	s_and_b32 vcc_lo, exec_lo, s0
	s_cbranch_vccz .LBB564_14
.LBB564_12:                             ; =>This Inner Loop Header: Depth=1
	v_add_co_u32 v21, s0, v20, s10
	s_delay_alu instid0(VALU_DEP_1) | instskip(SKIP_1) | instid1(VALU_DEP_1)
	v_add_co_ci_u32_e64 v22, null, 0, s11, s0
	s_mov_b32 s0, exec_lo
	v_cmpx_gt_i64_e64 s[2:3], v[21:22]
	s_cbranch_execz .LBB564_11
; %bb.13:                               ;   in Loop: Header=BB564_12 Depth=1
	global_load_b64 v[21:22], v[16:17], off
	global_load_b64 v[25:26], v[14:15], off
	s_waitcnt vmcnt(1)
	v_sub_co_u32 v23, vcc_lo, v21, s14
	v_subrev_co_ci_u32_e32 v27, vcc_lo, 0, v22, vcc_lo
	v_add_co_u32 v14, vcc_lo, 0xdc8, v14
	s_delay_alu instid0(VALU_DEP_3) | instskip(SKIP_1) | instid1(VALU_DEP_2)
	v_mad_u64_u32 v[21:22], null, 0x150, v23, v[12:13]
	v_add_co_ci_u32_e32 v15, vcc_lo, 0, v15, vcc_lo
	v_mad_u64_u32 v[23:24], null, 0x150, v27, v[22:23]
	s_waitcnt vmcnt(0)
	v_cvt_f64_f32_e32 v[27:28], v25
	v_cvt_f64_f32_e32 v[25:26], v26
	s_delay_alu instid0(VALU_DEP_3) | instskip(SKIP_4) | instid1(VALU_DEP_2)
	v_mov_b32_e32 v22, v23
	global_load_b128 v[21:24], v[21:22], off
	s_waitcnt vmcnt(0)
	v_fma_f64 v[0:1], v[27:28], v[21:22], v[0:1]
	v_fma_f64 v[2:3], v[25:26], v[21:22], v[2:3]
	v_fma_f64 v[0:1], -v[25:26], v[23:24], v[0:1]
	s_delay_alu instid0(VALU_DEP_2)
	v_fma_f64 v[2:3], v[27:28], v[23:24], v[2:3]
	s_branch .LBB564_11
.LBB564_14:
	v_lshlrev_b32_e32 v16, 4, v18
	s_and_b32 vcc_lo, exec_lo, s1
	ds_store_b128 v16, v[0:3]
	s_waitcnt vmcnt(0) lgkmcnt(0)
	s_barrier
	buffer_gl0_inv
	s_cbranch_vccz .LBB564_26
; %bb.15:
	s_mov_b32 s0, exec_lo
	v_cmpx_gt_u16_e32 5, v19
	s_cbranch_execz .LBB564_17
; %bb.16:
	ds_load_b128 v[12:15], v16 offset:256
	ds_load_b128 v[20:23], v16
	s_waitcnt lgkmcnt(0)
	v_add_f64 v[12:13], v[12:13], v[20:21]
	v_add_f64 v[14:15], v[14:15], v[22:23]
	ds_store_b128 v16, v[12:15]
.LBB564_17:
	s_or_b32 exec_lo, exec_lo, s0
	s_delay_alu instid0(SALU_CYCLE_1)
	s_mov_b32 s0, exec_lo
	s_waitcnt lgkmcnt(0)
	s_barrier
	buffer_gl0_inv
	v_cmpx_gt_u16_e32 8, v19
	s_cbranch_execz .LBB564_19
; %bb.18:
	ds_load_b128 v[12:15], v16 offset:128
	ds_load_b128 v[20:23], v16
	s_waitcnt lgkmcnt(0)
	v_add_f64 v[12:13], v[12:13], v[20:21]
	v_add_f64 v[14:15], v[14:15], v[22:23]
	ds_store_b128 v16, v[12:15]
.LBB564_19:
	s_or_b32 exec_lo, exec_lo, s0
	s_delay_alu instid0(SALU_CYCLE_1)
	s_mov_b32 s0, exec_lo
	s_waitcnt lgkmcnt(0)
	s_barrier
	buffer_gl0_inv
	;; [unrolled: 16-line block ×3, first 2 shown]
	v_cmpx_gt_u16_e32 2, v19
	s_cbranch_execz .LBB564_23
; %bb.22:
	ds_load_b128 v[12:15], v16
	ds_load_b128 v[19:22], v16 offset:32
	s_waitcnt lgkmcnt(0)
	v_add_f64 v[12:13], v[19:20], v[12:13]
	v_add_f64 v[14:15], v[21:22], v[14:15]
	ds_store_b128 v16, v[12:15]
.LBB564_23:
	s_or_b32 exec_lo, exec_lo, s0
	v_dual_mov_b32 v15, v3 :: v_dual_mov_b32 v14, v2
	v_dual_mov_b32 v13, v1 :: v_dual_mov_b32 v12, v0
	s_mov_b32 s0, exec_lo
	s_waitcnt lgkmcnt(0)
	s_barrier
	buffer_gl0_inv
	v_cmpx_gt_u32_e32 21, v18
	s_cbranch_execz .LBB564_25
; %bb.24:
	v_mul_u32_u24_e32 v12, 21, v18
	s_delay_alu instid0(VALU_DEP_1)
	v_lshlrev_b32_e32 v17, 4, v12
	ds_load_b128 v[12:15], v17
	ds_load_b128 v[19:22], v17 offset:16
	s_waitcnt lgkmcnt(0)
	v_add_f64 v[12:13], v[19:20], v[12:13]
	v_add_f64 v[14:15], v[21:22], v[14:15]
.LBB564_25:
	s_or_b32 exec_lo, exec_lo, s0
	s_branch .LBB564_38
.LBB564_26:
                                        ; implicit-def: $vgpr14_vgpr15
                                        ; implicit-def: $vgpr12_vgpr13
	s_cbranch_execz .LBB564_38
; %bb.27:
	s_mov_b32 s0, exec_lo
	v_cmpx_gt_u32_e32 0x69, v18
	s_cbranch_execz .LBB564_29
; %bb.28:
	ds_load_b128 v[12:15], v16 offset:5376
	ds_load_b128 v[19:22], v16
	s_waitcnt lgkmcnt(0)
	v_add_f64 v[12:13], v[12:13], v[19:20]
	v_add_f64 v[14:15], v[14:15], v[21:22]
	ds_store_b128 v16, v[12:15]
.LBB564_29:
	s_or_b32 exec_lo, exec_lo, s0
	s_delay_alu instid0(SALU_CYCLE_1)
	s_mov_b32 s0, exec_lo
	s_waitcnt lgkmcnt(0)
	s_barrier
	buffer_gl0_inv
	v_cmpx_gt_u32_e32 0xa8, v18
	s_cbranch_execz .LBB564_31
; %bb.30:
	ds_load_b128 v[12:15], v16 offset:2688
	ds_load_b128 v[19:22], v16
	s_waitcnt lgkmcnt(0)
	v_add_f64 v[12:13], v[12:13], v[19:20]
	v_add_f64 v[14:15], v[14:15], v[21:22]
	ds_store_b128 v16, v[12:15]
.LBB564_31:
	s_or_b32 exec_lo, exec_lo, s0
	s_delay_alu instid0(SALU_CYCLE_1)
	s_mov_b32 s0, exec_lo
	s_waitcnt lgkmcnt(0)
	s_barrier
	buffer_gl0_inv
	;; [unrolled: 16-line block ×3, first 2 shown]
	v_cmpx_gt_u32_e32 42, v18
	s_cbranch_execz .LBB564_35
; %bb.34:
	ds_load_b128 v[12:15], v16 offset:672
	ds_load_b128 v[19:22], v16
	s_waitcnt lgkmcnt(0)
	v_add_f64 v[12:13], v[12:13], v[19:20]
	v_add_f64 v[14:15], v[14:15], v[21:22]
	ds_store_b128 v16, v[12:15]
.LBB564_35:
	s_or_b32 exec_lo, exec_lo, s0
	s_delay_alu instid0(SALU_CYCLE_1)
	s_mov_b32 s0, exec_lo
	s_waitcnt lgkmcnt(0)
	buffer_gl0_inv
	v_cmpx_gt_u32_e32 21, v18
	s_cbranch_execz .LBB564_37
; %bb.36:
	ds_load_b128 v[0:3], v16 offset:336
	ds_load_b128 v[12:15], v16
	s_waitcnt lgkmcnt(0)
	v_add_f64 v[0:1], v[0:1], v[12:13]
	v_add_f64 v[2:3], v[2:3], v[14:15]
.LBB564_37:
	s_or_b32 exec_lo, exec_lo, s0
	s_delay_alu instid0(VALU_DEP_1) | instskip(NEXT) | instid1(VALU_DEP_3)
	v_dual_mov_b32 v15, v3 :: v_dual_mov_b32 v14, v2
	v_dual_mov_b32 v13, v1 :: v_dual_mov_b32 v12, v0
.LBB564_38:
	v_cmp_gt_u32_e32 vcc_lo, 21, v18
	s_and_b32 exec_lo, exec_lo, vcc_lo
	s_cbranch_execz .LBB564_43
; %bb.39:
	s_delay_alu instid0(VALU_DEP_2)
	v_mul_f64 v[0:1], v[14:15], -v[10:11]
	v_mul_f64 v[2:3], v[8:9], v[14:15]
	v_cmp_eq_f64_e32 vcc_lo, 0, v[4:5]
	v_cmp_eq_f64_e64 s0, 0, v[6:7]
	s_mul_hi_u32 s1, s12, 0x150
	s_mul_i32 s2, s12, 0x150
	s_delay_alu instid0(VALU_DEP_4) | instskip(NEXT) | instid1(VALU_DEP_4)
	v_fma_f64 v[0:1], v[8:9], v[12:13], v[0:1]
	v_fma_f64 v[2:3], v[10:11], v[12:13], v[2:3]
	s_delay_alu instid0(VALU_DEP_3) | instskip(SKIP_2) | instid1(SALU_CYCLE_1)
	s_and_b32 s3, vcc_lo, s0
	s_mul_i32 s0, s13, 0x150
	s_and_saveexec_b32 s4, s3
	s_xor_b32 s3, exec_lo, s4
	s_cbranch_execz .LBB564_41
; %bb.40:
	s_add_i32 s5, s1, s0
	s_add_u32 s4, s8, s2
	s_addc_u32 s5, s9, s5
                                        ; implicit-def: $vgpr4_vgpr5
                                        ; implicit-def: $vgpr6_vgpr7
	global_store_b128 v16, v[0:3], s[4:5]
                                        ; implicit-def: $vgpr16
                                        ; implicit-def: $vgpr0_vgpr1
.LBB564_41:
	s_and_not1_saveexec_b32 s3, s3
	s_cbranch_execz .LBB564_43
; %bb.42:
	s_add_i32 s1, s1, s0
	s_add_u32 s0, s8, s2
	s_addc_u32 s1, s9, s1
	global_load_b128 v[8:11], v16, s[0:1]
	s_waitcnt vmcnt(0)
	v_fma_f64 v[0:1], v[4:5], v[8:9], v[0:1]
	v_fma_f64 v[2:3], v[6:7], v[8:9], v[2:3]
	s_delay_alu instid0(VALU_DEP_2) | instskip(NEXT) | instid1(VALU_DEP_2)
	v_fma_f64 v[0:1], -v[6:7], v[10:11], v[0:1]
	v_fma_f64 v[2:3], v[4:5], v[10:11], v[2:3]
	global_store_b128 v16, v[0:3], s[0:1]
.LBB564_43:
	s_nop 0
	s_sendmsg sendmsg(MSG_DEALLOC_VGPRS)
	s_endpgm
	.section	.rodata,"a",@progbits
	.p2align	6, 0x0
	.amdhsa_kernel _ZN9rocsparseL20bsrxmvn_17_32_kernelILj21E21rocsparse_complex_numIdEllS1_IfES2_S2_EEvT2_20rocsparse_direction_NS_24const_host_device_scalarIT0_EES4_PKS4_PKT1_SD_SA_PKT3_PKT4_S8_PT5_21rocsparse_index_base_b
		.amdhsa_group_segment_fixed_size 14112
		.amdhsa_private_segment_fixed_size 0
		.amdhsa_kernarg_size 120
		.amdhsa_user_sgpr_count 15
		.amdhsa_user_sgpr_dispatch_ptr 1
		.amdhsa_user_sgpr_queue_ptr 0
		.amdhsa_user_sgpr_kernarg_segment_ptr 1
		.amdhsa_user_sgpr_dispatch_id 0
		.amdhsa_user_sgpr_private_segment_size 0
		.amdhsa_wavefront_size32 1
		.amdhsa_uses_dynamic_stack 0
		.amdhsa_enable_private_segment 0
		.amdhsa_system_sgpr_workgroup_id_x 1
		.amdhsa_system_sgpr_workgroup_id_y 0
		.amdhsa_system_sgpr_workgroup_id_z 0
		.amdhsa_system_sgpr_workgroup_info 0
		.amdhsa_system_vgpr_workitem_id 2
		.amdhsa_next_free_vgpr 29
		.amdhsa_next_free_sgpr 22
		.amdhsa_reserve_vcc 1
		.amdhsa_float_round_mode_32 0
		.amdhsa_float_round_mode_16_64 0
		.amdhsa_float_denorm_mode_32 3
		.amdhsa_float_denorm_mode_16_64 3
		.amdhsa_dx10_clamp 1
		.amdhsa_ieee_mode 1
		.amdhsa_fp16_overflow 0
		.amdhsa_workgroup_processor_mode 1
		.amdhsa_memory_ordered 1
		.amdhsa_forward_progress 0
		.amdhsa_shared_vgpr_count 0
		.amdhsa_exception_fp_ieee_invalid_op 0
		.amdhsa_exception_fp_denorm_src 0
		.amdhsa_exception_fp_ieee_div_zero 0
		.amdhsa_exception_fp_ieee_overflow 0
		.amdhsa_exception_fp_ieee_underflow 0
		.amdhsa_exception_fp_ieee_inexact 0
		.amdhsa_exception_int_div_zero 0
	.end_amdhsa_kernel
	.section	.text._ZN9rocsparseL20bsrxmvn_17_32_kernelILj21E21rocsparse_complex_numIdEllS1_IfES2_S2_EEvT2_20rocsparse_direction_NS_24const_host_device_scalarIT0_EES4_PKS4_PKT1_SD_SA_PKT3_PKT4_S8_PT5_21rocsparse_index_base_b,"axG",@progbits,_ZN9rocsparseL20bsrxmvn_17_32_kernelILj21E21rocsparse_complex_numIdEllS1_IfES2_S2_EEvT2_20rocsparse_direction_NS_24const_host_device_scalarIT0_EES4_PKS4_PKT1_SD_SA_PKT3_PKT4_S8_PT5_21rocsparse_index_base_b,comdat
.Lfunc_end564:
	.size	_ZN9rocsparseL20bsrxmvn_17_32_kernelILj21E21rocsparse_complex_numIdEllS1_IfES2_S2_EEvT2_20rocsparse_direction_NS_24const_host_device_scalarIT0_EES4_PKS4_PKT1_SD_SA_PKT3_PKT4_S8_PT5_21rocsparse_index_base_b, .Lfunc_end564-_ZN9rocsparseL20bsrxmvn_17_32_kernelILj21E21rocsparse_complex_numIdEllS1_IfES2_S2_EEvT2_20rocsparse_direction_NS_24const_host_device_scalarIT0_EES4_PKS4_PKT1_SD_SA_PKT3_PKT4_S8_PT5_21rocsparse_index_base_b
                                        ; -- End function
	.section	.AMDGPU.csdata,"",@progbits
; Kernel info:
; codeLenInByte = 2164
; NumSgprs: 24
; NumVgprs: 29
; ScratchSize: 0
; MemoryBound: 0
; FloatMode: 240
; IeeeMode: 1
; LDSByteSize: 14112 bytes/workgroup (compile time only)
; SGPRBlocks: 2
; VGPRBlocks: 3
; NumSGPRsForWavesPerEU: 24
; NumVGPRsForWavesPerEU: 29
; Occupancy: 14
; WaveLimiterHint : 1
; COMPUTE_PGM_RSRC2:SCRATCH_EN: 0
; COMPUTE_PGM_RSRC2:USER_SGPR: 15
; COMPUTE_PGM_RSRC2:TRAP_HANDLER: 0
; COMPUTE_PGM_RSRC2:TGID_X_EN: 1
; COMPUTE_PGM_RSRC2:TGID_Y_EN: 0
; COMPUTE_PGM_RSRC2:TGID_Z_EN: 0
; COMPUTE_PGM_RSRC2:TIDIG_COMP_CNT: 2
	.section	.text._ZN9rocsparseL20bsrxmvn_17_32_kernelILj22E21rocsparse_complex_numIdEllS1_IfES2_S2_EEvT2_20rocsparse_direction_NS_24const_host_device_scalarIT0_EES4_PKS4_PKT1_SD_SA_PKT3_PKT4_S8_PT5_21rocsparse_index_base_b,"axG",@progbits,_ZN9rocsparseL20bsrxmvn_17_32_kernelILj22E21rocsparse_complex_numIdEllS1_IfES2_S2_EEvT2_20rocsparse_direction_NS_24const_host_device_scalarIT0_EES4_PKS4_PKT1_SD_SA_PKT3_PKT4_S8_PT5_21rocsparse_index_base_b,comdat
	.globl	_ZN9rocsparseL20bsrxmvn_17_32_kernelILj22E21rocsparse_complex_numIdEllS1_IfES2_S2_EEvT2_20rocsparse_direction_NS_24const_host_device_scalarIT0_EES4_PKS4_PKT1_SD_SA_PKT3_PKT4_S8_PT5_21rocsparse_index_base_b ; -- Begin function _ZN9rocsparseL20bsrxmvn_17_32_kernelILj22E21rocsparse_complex_numIdEllS1_IfES2_S2_EEvT2_20rocsparse_direction_NS_24const_host_device_scalarIT0_EES4_PKS4_PKT1_SD_SA_PKT3_PKT4_S8_PT5_21rocsparse_index_base_b
	.p2align	8
	.type	_ZN9rocsparseL20bsrxmvn_17_32_kernelILj22E21rocsparse_complex_numIdEllS1_IfES2_S2_EEvT2_20rocsparse_direction_NS_24const_host_device_scalarIT0_EES4_PKS4_PKT1_SD_SA_PKT3_PKT4_S8_PT5_21rocsparse_index_base_b,@function
_ZN9rocsparseL20bsrxmvn_17_32_kernelILj22E21rocsparse_complex_numIdEllS1_IfES2_S2_EEvT2_20rocsparse_direction_NS_24const_host_device_scalarIT0_EES4_PKS4_PKT1_SD_SA_PKT3_PKT4_S8_PT5_21rocsparse_index_base_b: ; @_ZN9rocsparseL20bsrxmvn_17_32_kernelILj22E21rocsparse_complex_numIdEllS1_IfES2_S2_EEvT2_20rocsparse_direction_NS_24const_host_device_scalarIT0_EES4_PKS4_PKT1_SD_SA_PKT3_PKT4_S8_PT5_21rocsparse_index_base_b
; %bb.0:
	s_mov_b32 s12, s15
	s_clause 0x1
	s_load_b64 s[14:15], s[2:3], 0x70
	s_load_b128 s[4:7], s[2:3], 0x10
	s_load_b64 s[16:17], s[0:1], 0x4
	s_mov_b64 s[0:1], src_shared_base
	v_and_b32_e32 v18, 0x3ff, v0
	s_load_b128 s[8:11], s[2:3], 0x58
	v_bfe_u32 v2, v0, 10, 10
	v_bfe_u32 v0, v0, 20, 10
	s_waitcnt lgkmcnt(0)
	s_bitcmp1_b32 s15, 0
	v_mov_b32_e32 v11, s7
	s_cselect_b32 s0, -1, 0
	v_mov_b32_e32 v10, s6
	s_and_b32 vcc_lo, s0, exec_lo
	s_cselect_b32 s13, s1, s5
	s_lshr_b32 s15, s16, 16
	s_xor_b32 s6, s0, -1
	s_mul_i32 s15, s15, s17
	v_mov_b32_e32 v5, s13
	v_mul_lo_u32 v1, s15, v18
	s_delay_alu instid0(VALU_DEP_1) | instskip(SKIP_1) | instid1(VALU_DEP_2)
	v_mad_u32_u24 v1, v2, s17, v1
	v_dual_mov_b32 v2, s8 :: v_dual_mov_b32 v3, s9
	v_add_lshl_u32 v6, v1, v0, 3
	v_dual_mov_b32 v0, s4 :: v_dual_mov_b32 v1, s5
	ds_store_b64 v6, v[0:1] offset:11616
	ds_store_b64 v6, v[2:3] offset:7744
	v_add_nc_u32_e32 v4, 0x2d60, v6
	v_add_nc_u32_e32 v0, 0x1e40, v6
	s_delay_alu instid0(VALU_DEP_2)
	v_cndmask_b32_e64 v4, s4, v4, s0
	flat_load_b64 v[8:9], v[4:5]
	s_cbranch_vccnz .LBB565_2
; %bb.1:
	v_dual_mov_b32 v1, s4 :: v_dual_mov_b32 v2, s5
	flat_load_b64 v[10:11], v[1:2] offset:8
.LBB565_2:
	s_and_b32 s4, s0, exec_lo
	s_cselect_b32 s1, s1, s9
	v_cndmask_b32_e64 v0, s8, v0, s0
	v_dual_mov_b32 v1, s1 :: v_dual_mov_b32 v6, s10
	v_mov_b32_e32 v7, s11
	s_and_not1_b32 vcc_lo, exec_lo, s6
	flat_load_b64 v[4:5], v[0:1]
	s_cbranch_vccnz .LBB565_4
; %bb.3:
	v_dual_mov_b32 v0, s8 :: v_dual_mov_b32 v1, s9
	flat_load_b64 v[6:7], v[0:1] offset:8
.LBB565_4:
	s_waitcnt vmcnt(1) lgkmcnt(1)
	v_cmp_eq_f64_e32 vcc_lo, 0, v[8:9]
	v_cmp_eq_f64_e64 s0, 0, v[10:11]
	s_delay_alu instid0(VALU_DEP_1)
	s_and_b32 s4, vcc_lo, s0
	s_mov_b32 s0, -1
	s_and_saveexec_b32 s1, s4
	s_cbranch_execz .LBB565_6
; %bb.5:
	s_waitcnt vmcnt(0) lgkmcnt(0)
	v_cmp_neq_f64_e32 vcc_lo, 1.0, v[4:5]
	v_cmp_neq_f64_e64 s0, 0, v[6:7]
	s_delay_alu instid0(VALU_DEP_1) | instskip(NEXT) | instid1(SALU_CYCLE_1)
	s_or_b32 s0, vcc_lo, s0
	s_or_not1_b32 s0, s0, exec_lo
.LBB565_6:
	s_or_b32 exec_lo, exec_lo, s1
	s_and_saveexec_b32 s1, s0
	s_cbranch_execz .LBB565_43
; %bb.7:
	s_clause 0x1
	s_load_b128 s[4:7], s[2:3], 0x28
	s_load_b64 s[8:9], s[2:3], 0x38
	s_mov_b32 s13, 0
	s_waitcnt lgkmcnt(0)
	s_cmp_eq_u64 s[4:5], 0
	s_cbranch_scc1 .LBB565_9
; %bb.8:
	s_lshl_b64 s[0:1], s[12:13], 3
	s_delay_alu instid0(SALU_CYCLE_1)
	s_add_u32 s0, s4, s0
	s_addc_u32 s1, s5, s1
	s_load_b64 s[0:1], s[0:1], 0x0
	s_waitcnt lgkmcnt(0)
	s_sub_u32 s12, s0, s14
	s_subb_u32 s13, s1, 0
.LBB565_9:
	s_load_b32 s1, s[2:3], 0x8
	v_mul_u32_u24_e32 v0, 0xba3, v18
	v_mov_b32_e32 v2, 0
	v_mov_b32_e32 v3, 0
	s_delay_alu instid0(VALU_DEP_3) | instskip(NEXT) | instid1(VALU_DEP_1)
	v_lshrrev_b32_e32 v12, 16, v0
	v_mul_lo_u16 v0, v12, 22
	s_delay_alu instid0(VALU_DEP_1) | instskip(NEXT) | instid1(VALU_DEP_4)
	v_sub_nc_u16 v19, v18, v0
	v_dual_mov_b32 v0, v2 :: v_dual_mov_b32 v1, v3
	s_waitcnt lgkmcnt(0)
	s_cmp_eq_u32 s1, 1
	s_cselect_b32 s0, -1, 0
	s_cmp_lg_u32 s1, 1
	s_cselect_b32 s1, -1, 0
	s_lshl_b64 s[4:5], s[12:13], 3
	s_delay_alu instid0(SALU_CYCLE_1)
	s_add_u32 s6, s6, s4
	s_addc_u32 s7, s7, s5
	s_add_u32 s10, s6, 8
	s_addc_u32 s11, s7, 0
	;; [unrolled: 2-line block ×3, first 2 shown]
	s_cmp_eq_u64 s[8:9], 0
	s_load_b64 s[8:9], s[2:3], 0x68
	s_cselect_b32 s5, s11, s5
	s_cselect_b32 s4, s10, s4
	s_load_b64 s[16:17], s[6:7], 0x0
	s_load_b64 s[10:11], s[4:5], 0x0
	s_waitcnt lgkmcnt(0)
	v_cmp_ge_i64_e64 s4, s[16:17], s[10:11]
	s_delay_alu instid0(VALU_DEP_1)
	s_and_b32 vcc_lo, exec_lo, s4
	s_cbranch_vccnz .LBB565_14
; %bb.10:
	v_mul_lo_u16 v0, v12, 12
	v_and_b32_e32 v2, 0xffff, v18
	s_clause 0x1
	s_load_b64 s[18:19], s[2:3], 0x50
	s_load_b128 s[4:7], s[2:3], 0x40
	v_and_b32_e32 v1, 0xffff, v19
	s_sub_u32 s2, s10, s14
	v_lshrrev_b16 v0, 8, v0
	v_mul_u32_u24_e32 v2, 0x10f, v2
	s_subb_u32 s3, s11, 0
	s_sub_u32 s10, s16, s14
	s_subb_u32 s11, s17, 0
	v_mul_lo_u16 v0, v0, 22
	v_lshrrev_b32_e32 v20, 17, v2
	s_mul_hi_u32 s15, s10, 0xf20
	s_mul_i32 s20, s11, 0xf20
	s_mul_i32 s21, s10, 0xf20
	v_sub_nc_u16 v0, v12, v0
	s_add_i32 s15, s15, s20
	v_lshlrev_b32_e32 v14, 3, v18
	s_delay_alu instid0(VALU_DEP_2) | instskip(NEXT) | instid1(VALU_DEP_1)
	v_and_b32_e32 v0, 0xff, v0
	v_cndmask_b32_e64 v0, v1, v0, s0
	v_add_co_u32 v1, s0, s16, v20
	s_delay_alu instid0(VALU_DEP_1) | instskip(NEXT) | instid1(VALU_DEP_3)
	v_add_co_ci_u32_e64 v2, null, s17, 0, s0
	v_lshlrev_b32_e32 v3, 4, v0
	s_delay_alu instid0(VALU_DEP_3) | instskip(NEXT) | instid1(VALU_DEP_3)
	v_sub_co_u32 v0, vcc_lo, v1, s14
	v_subrev_co_ci_u32_e32 v1, vcc_lo, 0, v2, vcc_lo
	s_waitcnt lgkmcnt(0)
	s_add_u32 s0, s6, s21
	s_addc_u32 s6, s7, s15
	v_add_co_u32 v12, s7, s18, v3
	v_lshlrev_b64 v[0:1], 3, v[0:1]
	v_mov_b32_e32 v2, 0
	v_mov_b32_e32 v3, 0
	v_add_co_u32 v14, s0, s0, v14
	v_add_co_ci_u32_e64 v13, null, s19, 0, s7
	v_add_co_u32 v16, vcc_lo, s4, v0
	v_add_co_ci_u32_e32 v17, vcc_lo, s5, v1, vcc_lo
	v_dual_mov_b32 v0, v2 :: v_dual_mov_b32 v1, v3
	v_add_co_ci_u32_e64 v15, null, s6, 0, s0
	s_branch .LBB565_12
.LBB565_11:                             ;   in Loop: Header=BB565_12 Depth=1
	s_or_b32 exec_lo, exec_lo, s0
	s_add_u32 s10, s10, 1
	s_addc_u32 s11, s11, 0
	v_add_co_u32 v16, vcc_lo, v16, 8
	v_cmp_lt_i64_e64 s0, s[10:11], s[2:3]
	v_add_co_ci_u32_e32 v17, vcc_lo, 0, v17, vcc_lo
	s_delay_alu instid0(VALU_DEP_2)
	s_and_b32 vcc_lo, exec_lo, s0
	s_cbranch_vccz .LBB565_14
.LBB565_12:                             ; =>This Inner Loop Header: Depth=1
	v_add_co_u32 v21, s0, v20, s10
	s_delay_alu instid0(VALU_DEP_1) | instskip(SKIP_1) | instid1(VALU_DEP_1)
	v_add_co_ci_u32_e64 v22, null, 0, s11, s0
	s_mov_b32 s0, exec_lo
	v_cmpx_gt_i64_e64 s[2:3], v[21:22]
	s_cbranch_execz .LBB565_11
; %bb.13:                               ;   in Loop: Header=BB565_12 Depth=1
	global_load_b64 v[21:22], v[16:17], off
	global_load_b64 v[25:26], v[14:15], off
	s_waitcnt vmcnt(1)
	v_sub_co_u32 v23, vcc_lo, v21, s14
	v_subrev_co_ci_u32_e32 v27, vcc_lo, 0, v22, vcc_lo
	v_add_co_u32 v14, vcc_lo, 0xf20, v14
	s_delay_alu instid0(VALU_DEP_3) | instskip(SKIP_1) | instid1(VALU_DEP_2)
	v_mad_u64_u32 v[21:22], null, 0x160, v23, v[12:13]
	v_add_co_ci_u32_e32 v15, vcc_lo, 0, v15, vcc_lo
	v_mad_u64_u32 v[23:24], null, 0x160, v27, v[22:23]
	s_waitcnt vmcnt(0)
	v_cvt_f64_f32_e32 v[27:28], v25
	v_cvt_f64_f32_e32 v[25:26], v26
	s_delay_alu instid0(VALU_DEP_3) | instskip(SKIP_4) | instid1(VALU_DEP_2)
	v_mov_b32_e32 v22, v23
	global_load_b128 v[21:24], v[21:22], off
	s_waitcnt vmcnt(0)
	v_fma_f64 v[0:1], v[27:28], v[21:22], v[0:1]
	v_fma_f64 v[2:3], v[25:26], v[21:22], v[2:3]
	v_fma_f64 v[0:1], -v[25:26], v[23:24], v[0:1]
	s_delay_alu instid0(VALU_DEP_2)
	v_fma_f64 v[2:3], v[27:28], v[23:24], v[2:3]
	s_branch .LBB565_11
.LBB565_14:
	v_lshlrev_b32_e32 v16, 4, v18
	s_and_b32 vcc_lo, exec_lo, s1
	ds_store_b128 v16, v[0:3]
	s_waitcnt vmcnt(0) lgkmcnt(0)
	s_barrier
	buffer_gl0_inv
	s_cbranch_vccz .LBB565_26
; %bb.15:
	s_mov_b32 s0, exec_lo
	v_cmpx_gt_u16_e32 6, v19
	s_cbranch_execz .LBB565_17
; %bb.16:
	ds_load_b128 v[12:15], v16 offset:256
	ds_load_b128 v[20:23], v16
	s_waitcnt lgkmcnt(0)
	v_add_f64 v[12:13], v[12:13], v[20:21]
	v_add_f64 v[14:15], v[14:15], v[22:23]
	ds_store_b128 v16, v[12:15]
.LBB565_17:
	s_or_b32 exec_lo, exec_lo, s0
	s_delay_alu instid0(SALU_CYCLE_1)
	s_mov_b32 s0, exec_lo
	s_waitcnt lgkmcnt(0)
	s_barrier
	buffer_gl0_inv
	v_cmpx_gt_u16_e32 8, v19
	s_cbranch_execz .LBB565_19
; %bb.18:
	ds_load_b128 v[12:15], v16 offset:128
	ds_load_b128 v[20:23], v16
	s_waitcnt lgkmcnt(0)
	v_add_f64 v[12:13], v[12:13], v[20:21]
	v_add_f64 v[14:15], v[14:15], v[22:23]
	ds_store_b128 v16, v[12:15]
.LBB565_19:
	s_or_b32 exec_lo, exec_lo, s0
	s_delay_alu instid0(SALU_CYCLE_1)
	s_mov_b32 s0, exec_lo
	s_waitcnt lgkmcnt(0)
	s_barrier
	buffer_gl0_inv
	;; [unrolled: 16-line block ×3, first 2 shown]
	v_cmpx_gt_u16_e32 2, v19
	s_cbranch_execz .LBB565_23
; %bb.22:
	ds_load_b128 v[12:15], v16
	ds_load_b128 v[19:22], v16 offset:32
	s_waitcnt lgkmcnt(0)
	v_add_f64 v[12:13], v[19:20], v[12:13]
	v_add_f64 v[14:15], v[21:22], v[14:15]
	ds_store_b128 v16, v[12:15]
.LBB565_23:
	s_or_b32 exec_lo, exec_lo, s0
	v_dual_mov_b32 v15, v3 :: v_dual_mov_b32 v14, v2
	v_dual_mov_b32 v13, v1 :: v_dual_mov_b32 v12, v0
	s_mov_b32 s0, exec_lo
	s_waitcnt lgkmcnt(0)
	s_barrier
	buffer_gl0_inv
	v_cmpx_gt_u32_e32 22, v18
	s_cbranch_execz .LBB565_25
; %bb.24:
	v_mul_u32_u24_e32 v12, 22, v18
	s_delay_alu instid0(VALU_DEP_1)
	v_lshlrev_b32_e32 v17, 4, v12
	ds_load_b128 v[12:15], v17
	ds_load_b128 v[19:22], v17 offset:16
	s_waitcnt lgkmcnt(0)
	v_add_f64 v[12:13], v[19:20], v[12:13]
	v_add_f64 v[14:15], v[21:22], v[14:15]
.LBB565_25:
	s_or_b32 exec_lo, exec_lo, s0
	s_branch .LBB565_38
.LBB565_26:
                                        ; implicit-def: $vgpr14_vgpr15
                                        ; implicit-def: $vgpr12_vgpr13
	s_cbranch_execz .LBB565_38
; %bb.27:
	s_mov_b32 s0, exec_lo
	v_cmpx_gt_u32_e32 0x84, v18
	s_cbranch_execz .LBB565_29
; %bb.28:
	ds_load_b128 v[12:15], v16 offset:5632
	ds_load_b128 v[19:22], v16
	s_waitcnt lgkmcnt(0)
	v_add_f64 v[12:13], v[12:13], v[19:20]
	v_add_f64 v[14:15], v[14:15], v[21:22]
	ds_store_b128 v16, v[12:15]
.LBB565_29:
	s_or_b32 exec_lo, exec_lo, s0
	s_delay_alu instid0(SALU_CYCLE_1)
	s_mov_b32 s0, exec_lo
	s_waitcnt lgkmcnt(0)
	s_barrier
	buffer_gl0_inv
	v_cmpx_gt_u32_e32 0xb0, v18
	s_cbranch_execz .LBB565_31
; %bb.30:
	ds_load_b128 v[12:15], v16 offset:2816
	ds_load_b128 v[19:22], v16
	s_waitcnt lgkmcnt(0)
	v_add_f64 v[12:13], v[12:13], v[19:20]
	v_add_f64 v[14:15], v[14:15], v[21:22]
	ds_store_b128 v16, v[12:15]
.LBB565_31:
	s_or_b32 exec_lo, exec_lo, s0
	s_delay_alu instid0(SALU_CYCLE_1)
	s_mov_b32 s0, exec_lo
	s_waitcnt lgkmcnt(0)
	s_barrier
	buffer_gl0_inv
	;; [unrolled: 16-line block ×3, first 2 shown]
	v_cmpx_gt_u32_e32 44, v18
	s_cbranch_execz .LBB565_35
; %bb.34:
	ds_load_b128 v[12:15], v16 offset:704
	ds_load_b128 v[19:22], v16
	s_waitcnt lgkmcnt(0)
	v_add_f64 v[12:13], v[12:13], v[19:20]
	v_add_f64 v[14:15], v[14:15], v[21:22]
	ds_store_b128 v16, v[12:15]
.LBB565_35:
	s_or_b32 exec_lo, exec_lo, s0
	s_delay_alu instid0(SALU_CYCLE_1)
	s_mov_b32 s0, exec_lo
	s_waitcnt lgkmcnt(0)
	buffer_gl0_inv
	v_cmpx_gt_u32_e32 22, v18
	s_cbranch_execz .LBB565_37
; %bb.36:
	ds_load_b128 v[0:3], v16 offset:352
	ds_load_b128 v[12:15], v16
	s_waitcnt lgkmcnt(0)
	v_add_f64 v[0:1], v[0:1], v[12:13]
	v_add_f64 v[2:3], v[2:3], v[14:15]
.LBB565_37:
	s_or_b32 exec_lo, exec_lo, s0
	s_delay_alu instid0(VALU_DEP_1) | instskip(NEXT) | instid1(VALU_DEP_3)
	v_dual_mov_b32 v15, v3 :: v_dual_mov_b32 v14, v2
	v_dual_mov_b32 v13, v1 :: v_dual_mov_b32 v12, v0
.LBB565_38:
	v_cmp_gt_u32_e32 vcc_lo, 22, v18
	s_and_b32 exec_lo, exec_lo, vcc_lo
	s_cbranch_execz .LBB565_43
; %bb.39:
	s_delay_alu instid0(VALU_DEP_2)
	v_mul_f64 v[0:1], v[14:15], -v[10:11]
	v_mul_f64 v[2:3], v[8:9], v[14:15]
	v_cmp_eq_f64_e32 vcc_lo, 0, v[4:5]
	v_cmp_eq_f64_e64 s0, 0, v[6:7]
	s_mul_hi_u32 s1, s12, 0x160
	s_mul_i32 s2, s12, 0x160
	s_delay_alu instid0(VALU_DEP_4) | instskip(NEXT) | instid1(VALU_DEP_4)
	v_fma_f64 v[0:1], v[8:9], v[12:13], v[0:1]
	v_fma_f64 v[2:3], v[10:11], v[12:13], v[2:3]
	s_delay_alu instid0(VALU_DEP_3) | instskip(SKIP_2) | instid1(SALU_CYCLE_1)
	s_and_b32 s3, vcc_lo, s0
	s_mul_i32 s0, s13, 0x160
	s_and_saveexec_b32 s4, s3
	s_xor_b32 s3, exec_lo, s4
	s_cbranch_execz .LBB565_41
; %bb.40:
	s_add_i32 s5, s1, s0
	s_add_u32 s4, s8, s2
	s_addc_u32 s5, s9, s5
                                        ; implicit-def: $vgpr4_vgpr5
                                        ; implicit-def: $vgpr6_vgpr7
	global_store_b128 v16, v[0:3], s[4:5]
                                        ; implicit-def: $vgpr16
                                        ; implicit-def: $vgpr0_vgpr1
.LBB565_41:
	s_and_not1_saveexec_b32 s3, s3
	s_cbranch_execz .LBB565_43
; %bb.42:
	s_add_i32 s1, s1, s0
	s_add_u32 s0, s8, s2
	s_addc_u32 s1, s9, s1
	global_load_b128 v[8:11], v16, s[0:1]
	s_waitcnt vmcnt(0)
	v_fma_f64 v[0:1], v[4:5], v[8:9], v[0:1]
	v_fma_f64 v[2:3], v[6:7], v[8:9], v[2:3]
	s_delay_alu instid0(VALU_DEP_2) | instskip(NEXT) | instid1(VALU_DEP_2)
	v_fma_f64 v[0:1], -v[6:7], v[10:11], v[0:1]
	v_fma_f64 v[2:3], v[4:5], v[10:11], v[2:3]
	global_store_b128 v16, v[0:3], s[0:1]
.LBB565_43:
	s_nop 0
	s_sendmsg sendmsg(MSG_DEALLOC_VGPRS)
	s_endpgm
	.section	.rodata,"a",@progbits
	.p2align	6, 0x0
	.amdhsa_kernel _ZN9rocsparseL20bsrxmvn_17_32_kernelILj22E21rocsparse_complex_numIdEllS1_IfES2_S2_EEvT2_20rocsparse_direction_NS_24const_host_device_scalarIT0_EES4_PKS4_PKT1_SD_SA_PKT3_PKT4_S8_PT5_21rocsparse_index_base_b
		.amdhsa_group_segment_fixed_size 15488
		.amdhsa_private_segment_fixed_size 0
		.amdhsa_kernarg_size 120
		.amdhsa_user_sgpr_count 15
		.amdhsa_user_sgpr_dispatch_ptr 1
		.amdhsa_user_sgpr_queue_ptr 0
		.amdhsa_user_sgpr_kernarg_segment_ptr 1
		.amdhsa_user_sgpr_dispatch_id 0
		.amdhsa_user_sgpr_private_segment_size 0
		.amdhsa_wavefront_size32 1
		.amdhsa_uses_dynamic_stack 0
		.amdhsa_enable_private_segment 0
		.amdhsa_system_sgpr_workgroup_id_x 1
		.amdhsa_system_sgpr_workgroup_id_y 0
		.amdhsa_system_sgpr_workgroup_id_z 0
		.amdhsa_system_sgpr_workgroup_info 0
		.amdhsa_system_vgpr_workitem_id 2
		.amdhsa_next_free_vgpr 29
		.amdhsa_next_free_sgpr 22
		.amdhsa_reserve_vcc 1
		.amdhsa_float_round_mode_32 0
		.amdhsa_float_round_mode_16_64 0
		.amdhsa_float_denorm_mode_32 3
		.amdhsa_float_denorm_mode_16_64 3
		.amdhsa_dx10_clamp 1
		.amdhsa_ieee_mode 1
		.amdhsa_fp16_overflow 0
		.amdhsa_workgroup_processor_mode 1
		.amdhsa_memory_ordered 1
		.amdhsa_forward_progress 0
		.amdhsa_shared_vgpr_count 0
		.amdhsa_exception_fp_ieee_invalid_op 0
		.amdhsa_exception_fp_denorm_src 0
		.amdhsa_exception_fp_ieee_div_zero 0
		.amdhsa_exception_fp_ieee_overflow 0
		.amdhsa_exception_fp_ieee_underflow 0
		.amdhsa_exception_fp_ieee_inexact 0
		.amdhsa_exception_int_div_zero 0
	.end_amdhsa_kernel
	.section	.text._ZN9rocsparseL20bsrxmvn_17_32_kernelILj22E21rocsparse_complex_numIdEllS1_IfES2_S2_EEvT2_20rocsparse_direction_NS_24const_host_device_scalarIT0_EES4_PKS4_PKT1_SD_SA_PKT3_PKT4_S8_PT5_21rocsparse_index_base_b,"axG",@progbits,_ZN9rocsparseL20bsrxmvn_17_32_kernelILj22E21rocsparse_complex_numIdEllS1_IfES2_S2_EEvT2_20rocsparse_direction_NS_24const_host_device_scalarIT0_EES4_PKS4_PKT1_SD_SA_PKT3_PKT4_S8_PT5_21rocsparse_index_base_b,comdat
.Lfunc_end565:
	.size	_ZN9rocsparseL20bsrxmvn_17_32_kernelILj22E21rocsparse_complex_numIdEllS1_IfES2_S2_EEvT2_20rocsparse_direction_NS_24const_host_device_scalarIT0_EES4_PKS4_PKT1_SD_SA_PKT3_PKT4_S8_PT5_21rocsparse_index_base_b, .Lfunc_end565-_ZN9rocsparseL20bsrxmvn_17_32_kernelILj22E21rocsparse_complex_numIdEllS1_IfES2_S2_EEvT2_20rocsparse_direction_NS_24const_host_device_scalarIT0_EES4_PKS4_PKT1_SD_SA_PKT3_PKT4_S8_PT5_21rocsparse_index_base_b
                                        ; -- End function
	.section	.AMDGPU.csdata,"",@progbits
; Kernel info:
; codeLenInByte = 2164
; NumSgprs: 24
; NumVgprs: 29
; ScratchSize: 0
; MemoryBound: 0
; FloatMode: 240
; IeeeMode: 1
; LDSByteSize: 15488 bytes/workgroup (compile time only)
; SGPRBlocks: 2
; VGPRBlocks: 3
; NumSGPRsForWavesPerEU: 24
; NumVGPRsForWavesPerEU: 29
; Occupancy: 16
; WaveLimiterHint : 1
; COMPUTE_PGM_RSRC2:SCRATCH_EN: 0
; COMPUTE_PGM_RSRC2:USER_SGPR: 15
; COMPUTE_PGM_RSRC2:TRAP_HANDLER: 0
; COMPUTE_PGM_RSRC2:TGID_X_EN: 1
; COMPUTE_PGM_RSRC2:TGID_Y_EN: 0
; COMPUTE_PGM_RSRC2:TGID_Z_EN: 0
; COMPUTE_PGM_RSRC2:TIDIG_COMP_CNT: 2
	.section	.text._ZN9rocsparseL20bsrxmvn_17_32_kernelILj23E21rocsparse_complex_numIdEllS1_IfES2_S2_EEvT2_20rocsparse_direction_NS_24const_host_device_scalarIT0_EES4_PKS4_PKT1_SD_SA_PKT3_PKT4_S8_PT5_21rocsparse_index_base_b,"axG",@progbits,_ZN9rocsparseL20bsrxmvn_17_32_kernelILj23E21rocsparse_complex_numIdEllS1_IfES2_S2_EEvT2_20rocsparse_direction_NS_24const_host_device_scalarIT0_EES4_PKS4_PKT1_SD_SA_PKT3_PKT4_S8_PT5_21rocsparse_index_base_b,comdat
	.globl	_ZN9rocsparseL20bsrxmvn_17_32_kernelILj23E21rocsparse_complex_numIdEllS1_IfES2_S2_EEvT2_20rocsparse_direction_NS_24const_host_device_scalarIT0_EES4_PKS4_PKT1_SD_SA_PKT3_PKT4_S8_PT5_21rocsparse_index_base_b ; -- Begin function _ZN9rocsparseL20bsrxmvn_17_32_kernelILj23E21rocsparse_complex_numIdEllS1_IfES2_S2_EEvT2_20rocsparse_direction_NS_24const_host_device_scalarIT0_EES4_PKS4_PKT1_SD_SA_PKT3_PKT4_S8_PT5_21rocsparse_index_base_b
	.p2align	8
	.type	_ZN9rocsparseL20bsrxmvn_17_32_kernelILj23E21rocsparse_complex_numIdEllS1_IfES2_S2_EEvT2_20rocsparse_direction_NS_24const_host_device_scalarIT0_EES4_PKS4_PKT1_SD_SA_PKT3_PKT4_S8_PT5_21rocsparse_index_base_b,@function
_ZN9rocsparseL20bsrxmvn_17_32_kernelILj23E21rocsparse_complex_numIdEllS1_IfES2_S2_EEvT2_20rocsparse_direction_NS_24const_host_device_scalarIT0_EES4_PKS4_PKT1_SD_SA_PKT3_PKT4_S8_PT5_21rocsparse_index_base_b: ; @_ZN9rocsparseL20bsrxmvn_17_32_kernelILj23E21rocsparse_complex_numIdEllS1_IfES2_S2_EEvT2_20rocsparse_direction_NS_24const_host_device_scalarIT0_EES4_PKS4_PKT1_SD_SA_PKT3_PKT4_S8_PT5_21rocsparse_index_base_b
; %bb.0:
	s_mov_b32 s12, s15
	s_clause 0x1
	s_load_b64 s[14:15], s[2:3], 0x70
	s_load_b128 s[4:7], s[2:3], 0x10
	s_load_b64 s[16:17], s[0:1], 0x4
	s_mov_b64 s[0:1], src_shared_base
	v_and_b32_e32 v16, 0x3ff, v0
	s_load_b128 s[8:11], s[2:3], 0x58
	v_bfe_u32 v2, v0, 10, 10
	v_bfe_u32 v0, v0, 20, 10
	s_waitcnt lgkmcnt(0)
	s_bitcmp1_b32 s15, 0
	v_mov_b32_e32 v11, s7
	s_cselect_b32 s0, -1, 0
	v_mov_b32_e32 v10, s6
	s_and_b32 vcc_lo, s0, exec_lo
	s_cselect_b32 s13, s1, s5
	s_lshr_b32 s15, s16, 16
	s_xor_b32 s6, s0, -1
	s_mul_i32 s15, s15, s17
	v_mov_b32_e32 v5, s13
	v_mul_lo_u32 v1, s15, v16
	s_delay_alu instid0(VALU_DEP_1) | instskip(SKIP_1) | instid1(VALU_DEP_2)
	v_mad_u32_u24 v1, v2, s17, v1
	v_dual_mov_b32 v2, s8 :: v_dual_mov_b32 v3, s9
	v_add_lshl_u32 v6, v1, v0, 3
	v_dual_mov_b32 v0, s4 :: v_dual_mov_b32 v1, s5
	ds_store_b64 v6, v[0:1] offset:12696
	ds_store_b64 v6, v[2:3] offset:8464
	v_add_nc_u32_e32 v4, 0x3198, v6
	v_add_nc_u32_e32 v0, 0x2110, v6
	s_delay_alu instid0(VALU_DEP_2)
	v_cndmask_b32_e64 v4, s4, v4, s0
	flat_load_b64 v[8:9], v[4:5]
	s_cbranch_vccnz .LBB566_2
; %bb.1:
	v_dual_mov_b32 v1, s4 :: v_dual_mov_b32 v2, s5
	flat_load_b64 v[10:11], v[1:2] offset:8
.LBB566_2:
	s_and_b32 s4, s0, exec_lo
	s_cselect_b32 s1, s1, s9
	v_cndmask_b32_e64 v0, s8, v0, s0
	v_dual_mov_b32 v1, s1 :: v_dual_mov_b32 v6, s10
	v_mov_b32_e32 v7, s11
	s_and_not1_b32 vcc_lo, exec_lo, s6
	flat_load_b64 v[4:5], v[0:1]
	s_cbranch_vccnz .LBB566_4
; %bb.3:
	v_dual_mov_b32 v0, s8 :: v_dual_mov_b32 v1, s9
	flat_load_b64 v[6:7], v[0:1] offset:8
.LBB566_4:
	s_waitcnt vmcnt(1) lgkmcnt(1)
	v_cmp_eq_f64_e32 vcc_lo, 0, v[8:9]
	v_cmp_eq_f64_e64 s0, 0, v[10:11]
	s_delay_alu instid0(VALU_DEP_1)
	s_and_b32 s4, vcc_lo, s0
	s_mov_b32 s0, -1
	s_and_saveexec_b32 s1, s4
	s_cbranch_execz .LBB566_6
; %bb.5:
	s_waitcnt vmcnt(0) lgkmcnt(0)
	v_cmp_neq_f64_e32 vcc_lo, 1.0, v[4:5]
	v_cmp_neq_f64_e64 s0, 0, v[6:7]
	s_delay_alu instid0(VALU_DEP_1) | instskip(NEXT) | instid1(SALU_CYCLE_1)
	s_or_b32 s0, vcc_lo, s0
	s_or_not1_b32 s0, s0, exec_lo
.LBB566_6:
	s_or_b32 exec_lo, exec_lo, s1
	s_and_saveexec_b32 s1, s0
	s_cbranch_execz .LBB566_43
; %bb.7:
	s_clause 0x1
	s_load_b128 s[4:7], s[2:3], 0x28
	s_load_b64 s[8:9], s[2:3], 0x38
	s_mov_b32 s13, 0
	s_delay_alu instid0(SALU_CYCLE_1)
	s_mov_b32 s15, s13
	s_waitcnt lgkmcnt(0)
	s_cmp_eq_u64 s[4:5], 0
	s_cbranch_scc1 .LBB566_9
; %bb.8:
	s_lshl_b64 s[0:1], s[12:13], 3
	s_delay_alu instid0(SALU_CYCLE_1)
	s_add_u32 s0, s4, s0
	s_addc_u32 s1, s5, s1
	s_load_b64 s[0:1], s[0:1], 0x0
	s_waitcnt lgkmcnt(0)
	s_sub_u32 s12, s0, s14
	s_subb_u32 s13, s1, 0
.LBB566_9:
	s_load_b32 s1, s[2:3], 0x8
	v_mul_u32_u24_e32 v0, 0xb22, v16
	v_mov_b32_e32 v2, 0
	v_mov_b32_e32 v3, 0
	s_delay_alu instid0(VALU_DEP_3) | instskip(NEXT) | instid1(VALU_DEP_1)
	v_lshrrev_b32_e32 v12, 16, v0
	v_mul_lo_u16 v0, v12, 23
	s_delay_alu instid0(VALU_DEP_1) | instskip(NEXT) | instid1(VALU_DEP_4)
	v_sub_nc_u16 v18, v16, v0
	v_dual_mov_b32 v0, v2 :: v_dual_mov_b32 v1, v3
	s_waitcnt lgkmcnt(0)
	s_cmp_eq_u32 s1, 1
	s_cselect_b32 s0, -1, 0
	s_cmp_lg_u32 s1, 1
	s_cselect_b32 s18, -1, 0
	s_lshl_b64 s[4:5], s[12:13], 3
	s_delay_alu instid0(SALU_CYCLE_1)
	s_add_u32 s6, s6, s4
	s_addc_u32 s7, s7, s5
	s_add_u32 s1, s6, 8
	s_addc_u32 s10, s7, 0
	;; [unrolled: 2-line block ×3, first 2 shown]
	s_cmp_eq_u64 s[8:9], 0
	s_load_b64 s[8:9], s[2:3], 0x68
	s_cselect_b32 s5, s10, s5
	s_cselect_b32 s4, s1, s4
	s_load_b64 s[10:11], s[6:7], 0x0
	s_load_b64 s[16:17], s[4:5], 0x0
	s_waitcnt lgkmcnt(0)
	v_cmp_ge_i64_e64 s1, s[10:11], s[16:17]
	s_delay_alu instid0(VALU_DEP_1)
	s_and_b32 vcc_lo, exec_lo, s1
	s_cbranch_vccnz .LBB566_14
; %bb.10:
	s_clause 0x1
	s_load_b64 s[20:21], s[2:3], 0x50
	s_load_b128 s[4:7], s[2:3], 0x40
	v_and_b32_e32 v0, 0xffff, v18
	v_dual_mov_b32 v2, 0 :: v_dual_and_b32 v1, 0xffff, v12
	v_mov_b32_e32 v3, 0
	s_sub_u32 s2, s16, s14
	s_subb_u32 s3, s17, 0
	s_delay_alu instid0(VALU_DEP_2)
	v_cndmask_b32_e64 v0, v0, v1, s0
	s_sub_u32 s0, s10, s14
	s_subb_u32 s1, s11, 0
	s_mul_hi_u32 s16, s0, 0x1088
	s_mul_i32 s17, s1, 0x1088
	v_lshlrev_b32_e32 v0, 4, v0
	v_lshlrev_b32_e32 v14, 3, v16
	s_mul_i32 s19, s0, 0x1088
	s_add_i32 s16, s16, s17
	s_waitcnt lgkmcnt(0)
	v_add_co_u32 v12, s17, s20, v0
	s_delay_alu instid0(VALU_DEP_1)
	v_add_co_ci_u32_e64 v13, null, s21, 0, s17
	s_add_u32 s17, s6, s19
	v_dual_mov_b32 v0, v2 :: v_dual_mov_b32 v1, v3
	s_addc_u32 s16, s7, s16
	s_lshl_b64 s[6:7], s[10:11], 3
	s_lshl_b64 s[10:11], s[14:15], 3
	v_add_co_u32 v14, s15, s17, v14
	s_delay_alu instid0(VALU_DEP_1)
	v_add_co_ci_u32_e64 v15, null, s16, 0, s15
	s_sub_u32 s6, s6, s10
	s_subb_u32 s7, s7, s11
	s_add_u32 s4, s4, s6
	s_addc_u32 s5, s5, s7
	s_set_inst_prefetch_distance 0x1
	s_branch .LBB566_12
	.p2align	6
.LBB566_11:                             ;   in Loop: Header=BB566_12 Depth=1
	s_add_u32 s0, s0, 1
	s_addc_u32 s1, s1, 0
	s_add_u32 s4, s4, 8
	v_cmp_lt_i64_e64 s6, s[0:1], s[2:3]
	s_addc_u32 s5, s5, 0
	s_delay_alu instid0(VALU_DEP_1)
	s_and_b32 vcc_lo, exec_lo, s6
	s_cbranch_vccz .LBB566_14
.LBB566_12:                             ; =>This Inner Loop Header: Depth=1
	v_cmp_ge_i64_e64 s6, s[0:1], s[2:3]
	s_delay_alu instid0(VALU_DEP_1)
	s_and_b32 vcc_lo, exec_lo, s6
	s_cbranch_vccnz .LBB566_11
; %bb.13:                               ;   in Loop: Header=BB566_12 Depth=1
	s_load_b64 s[6:7], s[4:5], 0x0
	global_load_b64 v[23:24], v[14:15], off
	v_add_co_u32 v14, vcc_lo, 0x1088, v14
	v_add_co_ci_u32_e32 v15, vcc_lo, 0, v15, vcc_lo
	s_waitcnt lgkmcnt(0)
	s_sub_u32 s6, s6, s14
	s_delay_alu instid0(SALU_CYCLE_1) | instskip(SKIP_1) | instid1(VALU_DEP_1)
	v_mad_u64_u32 v[19:20], null, 0x170, s6, v[12:13]
	s_subb_u32 s6, s7, 0
	v_mov_b32_e32 v17, v20
	s_delay_alu instid0(VALU_DEP_1)
	v_mad_u64_u32 v[20:21], null, 0x170, s6, v[17:18]
	global_load_b128 v[19:22], v[19:20], off
	s_waitcnt vmcnt(1)
	v_cvt_f64_f32_e32 v[25:26], v23
	v_cvt_f64_f32_e32 v[23:24], v24
	s_waitcnt vmcnt(0)
	s_delay_alu instid0(VALU_DEP_2) | instskip(NEXT) | instid1(VALU_DEP_2)
	v_fma_f64 v[0:1], v[25:26], v[19:20], v[0:1]
	v_fma_f64 v[2:3], v[23:24], v[19:20], v[2:3]
	s_delay_alu instid0(VALU_DEP_2) | instskip(NEXT) | instid1(VALU_DEP_2)
	v_fma_f64 v[0:1], -v[23:24], v[21:22], v[0:1]
	v_fma_f64 v[2:3], v[25:26], v[21:22], v[2:3]
	s_branch .LBB566_11
.LBB566_14:
	s_set_inst_prefetch_distance 0x2
	v_lshlrev_b32_e32 v17, 4, v16
	s_and_b32 vcc_lo, exec_lo, s18
	ds_store_b128 v17, v[0:3]
	s_waitcnt vmcnt(0) lgkmcnt(0)
	s_barrier
	buffer_gl0_inv
	s_cbranch_vccz .LBB566_26
; %bb.15:
	s_mov_b32 s0, exec_lo
	v_cmpx_gt_u16_e32 7, v18
	s_cbranch_execz .LBB566_17
; %bb.16:
	ds_load_b128 v[12:15], v17 offset:256
	ds_load_b128 v[19:22], v17
	s_waitcnt lgkmcnt(0)
	v_add_f64 v[12:13], v[12:13], v[19:20]
	v_add_f64 v[14:15], v[14:15], v[21:22]
	ds_store_b128 v17, v[12:15]
.LBB566_17:
	s_or_b32 exec_lo, exec_lo, s0
	s_delay_alu instid0(SALU_CYCLE_1)
	s_mov_b32 s0, exec_lo
	s_waitcnt lgkmcnt(0)
	s_barrier
	buffer_gl0_inv
	v_cmpx_gt_u16_e32 8, v18
	s_cbranch_execz .LBB566_19
; %bb.18:
	ds_load_b128 v[12:15], v17 offset:128
	ds_load_b128 v[19:22], v17
	s_waitcnt lgkmcnt(0)
	v_add_f64 v[12:13], v[12:13], v[19:20]
	v_add_f64 v[14:15], v[14:15], v[21:22]
	ds_store_b128 v17, v[12:15]
.LBB566_19:
	s_or_b32 exec_lo, exec_lo, s0
	s_delay_alu instid0(SALU_CYCLE_1)
	s_mov_b32 s0, exec_lo
	s_waitcnt lgkmcnt(0)
	s_barrier
	buffer_gl0_inv
	;; [unrolled: 16-line block ×3, first 2 shown]
	v_cmpx_gt_u16_e32 2, v18
	s_cbranch_execz .LBB566_23
; %bb.22:
	ds_load_b128 v[12:15], v17
	ds_load_b128 v[18:21], v17 offset:32
	s_waitcnt lgkmcnt(0)
	v_add_f64 v[12:13], v[18:19], v[12:13]
	v_add_f64 v[14:15], v[20:21], v[14:15]
	ds_store_b128 v17, v[12:15]
.LBB566_23:
	s_or_b32 exec_lo, exec_lo, s0
	v_dual_mov_b32 v15, v3 :: v_dual_mov_b32 v14, v2
	v_dual_mov_b32 v13, v1 :: v_dual_mov_b32 v12, v0
	s_mov_b32 s0, exec_lo
	s_waitcnt lgkmcnt(0)
	s_barrier
	buffer_gl0_inv
	v_cmpx_gt_u32_e32 23, v16
	s_cbranch_execz .LBB566_25
; %bb.24:
	v_mul_u32_u24_e32 v12, 23, v16
	s_delay_alu instid0(VALU_DEP_1)
	v_lshlrev_b32_e32 v18, 4, v12
	ds_load_b128 v[12:15], v18
	ds_load_b128 v[18:21], v18 offset:16
	s_waitcnt lgkmcnt(0)
	v_add_f64 v[12:13], v[18:19], v[12:13]
	v_add_f64 v[14:15], v[20:21], v[14:15]
.LBB566_25:
	s_or_b32 exec_lo, exec_lo, s0
	s_branch .LBB566_38
.LBB566_26:
                                        ; implicit-def: $vgpr14_vgpr15
                                        ; implicit-def: $vgpr12_vgpr13
	s_cbranch_execz .LBB566_38
; %bb.27:
	s_mov_b32 s0, exec_lo
	v_cmpx_gt_u32_e32 0xa1, v16
	s_cbranch_execz .LBB566_29
; %bb.28:
	ds_load_b128 v[12:15], v17 offset:5888
	ds_load_b128 v[18:21], v17
	s_waitcnt lgkmcnt(0)
	v_add_f64 v[12:13], v[12:13], v[18:19]
	v_add_f64 v[14:15], v[14:15], v[20:21]
	ds_store_b128 v17, v[12:15]
.LBB566_29:
	s_or_b32 exec_lo, exec_lo, s0
	s_delay_alu instid0(SALU_CYCLE_1)
	s_mov_b32 s0, exec_lo
	s_waitcnt lgkmcnt(0)
	s_barrier
	buffer_gl0_inv
	v_cmpx_gt_u32_e32 0xb8, v16
	s_cbranch_execz .LBB566_31
; %bb.30:
	ds_load_b128 v[12:15], v17 offset:2944
	ds_load_b128 v[18:21], v17
	s_waitcnt lgkmcnt(0)
	v_add_f64 v[12:13], v[12:13], v[18:19]
	v_add_f64 v[14:15], v[14:15], v[20:21]
	ds_store_b128 v17, v[12:15]
.LBB566_31:
	s_or_b32 exec_lo, exec_lo, s0
	s_delay_alu instid0(SALU_CYCLE_1)
	s_mov_b32 s0, exec_lo
	s_waitcnt lgkmcnt(0)
	s_barrier
	buffer_gl0_inv
	;; [unrolled: 16-line block ×3, first 2 shown]
	v_cmpx_gt_u32_e32 46, v16
	s_cbranch_execz .LBB566_35
; %bb.34:
	ds_load_b128 v[12:15], v17 offset:736
	ds_load_b128 v[18:21], v17
	s_waitcnt lgkmcnt(0)
	v_add_f64 v[12:13], v[12:13], v[18:19]
	v_add_f64 v[14:15], v[14:15], v[20:21]
	ds_store_b128 v17, v[12:15]
.LBB566_35:
	s_or_b32 exec_lo, exec_lo, s0
	s_delay_alu instid0(SALU_CYCLE_1)
	s_mov_b32 s0, exec_lo
	s_waitcnt lgkmcnt(0)
	buffer_gl0_inv
	v_cmpx_gt_u32_e32 23, v16
	s_cbranch_execz .LBB566_37
; %bb.36:
	ds_load_b128 v[0:3], v17 offset:368
	ds_load_b128 v[12:15], v17
	s_waitcnt lgkmcnt(0)
	v_add_f64 v[0:1], v[0:1], v[12:13]
	v_add_f64 v[2:3], v[2:3], v[14:15]
.LBB566_37:
	s_or_b32 exec_lo, exec_lo, s0
	s_delay_alu instid0(VALU_DEP_1) | instskip(NEXT) | instid1(VALU_DEP_3)
	v_dual_mov_b32 v15, v3 :: v_dual_mov_b32 v14, v2
	v_dual_mov_b32 v13, v1 :: v_dual_mov_b32 v12, v0
.LBB566_38:
	v_cmp_gt_u32_e32 vcc_lo, 23, v16
	s_and_b32 exec_lo, exec_lo, vcc_lo
	s_cbranch_execz .LBB566_43
; %bb.39:
	s_delay_alu instid0(VALU_DEP_2)
	v_mul_f64 v[0:1], v[14:15], -v[10:11]
	v_mul_f64 v[2:3], v[8:9], v[14:15]
	v_cmp_eq_f64_e32 vcc_lo, 0, v[4:5]
	v_cmp_eq_f64_e64 s0, 0, v[6:7]
	s_mul_hi_u32 s1, s12, 0x170
	s_mul_i32 s2, s12, 0x170
	s_delay_alu instid0(VALU_DEP_4) | instskip(NEXT) | instid1(VALU_DEP_4)
	v_fma_f64 v[0:1], v[8:9], v[12:13], v[0:1]
	v_fma_f64 v[2:3], v[10:11], v[12:13], v[2:3]
	s_delay_alu instid0(VALU_DEP_3) | instskip(SKIP_2) | instid1(SALU_CYCLE_1)
	s_and_b32 s3, vcc_lo, s0
	s_mul_i32 s0, s13, 0x170
	s_and_saveexec_b32 s4, s3
	s_xor_b32 s3, exec_lo, s4
	s_cbranch_execz .LBB566_41
; %bb.40:
	s_add_i32 s5, s1, s0
	s_add_u32 s4, s8, s2
	s_addc_u32 s5, s9, s5
                                        ; implicit-def: $vgpr4_vgpr5
                                        ; implicit-def: $vgpr6_vgpr7
	global_store_b128 v17, v[0:3], s[4:5]
                                        ; implicit-def: $vgpr17
                                        ; implicit-def: $vgpr0_vgpr1
.LBB566_41:
	s_and_not1_saveexec_b32 s3, s3
	s_cbranch_execz .LBB566_43
; %bb.42:
	s_add_i32 s1, s1, s0
	s_add_u32 s0, s8, s2
	s_addc_u32 s1, s9, s1
	global_load_b128 v[8:11], v17, s[0:1]
	s_waitcnt vmcnt(0)
	v_fma_f64 v[0:1], v[4:5], v[8:9], v[0:1]
	v_fma_f64 v[2:3], v[6:7], v[8:9], v[2:3]
	s_delay_alu instid0(VALU_DEP_2) | instskip(NEXT) | instid1(VALU_DEP_2)
	v_fma_f64 v[0:1], -v[6:7], v[10:11], v[0:1]
	v_fma_f64 v[2:3], v[4:5], v[10:11], v[2:3]
	global_store_b128 v17, v[0:3], s[0:1]
.LBB566_43:
	s_nop 0
	s_sendmsg sendmsg(MSG_DEALLOC_VGPRS)
	s_endpgm
	.section	.rodata,"a",@progbits
	.p2align	6, 0x0
	.amdhsa_kernel _ZN9rocsparseL20bsrxmvn_17_32_kernelILj23E21rocsparse_complex_numIdEllS1_IfES2_S2_EEvT2_20rocsparse_direction_NS_24const_host_device_scalarIT0_EES4_PKS4_PKT1_SD_SA_PKT3_PKT4_S8_PT5_21rocsparse_index_base_b
		.amdhsa_group_segment_fixed_size 16928
		.amdhsa_private_segment_fixed_size 0
		.amdhsa_kernarg_size 120
		.amdhsa_user_sgpr_count 15
		.amdhsa_user_sgpr_dispatch_ptr 1
		.amdhsa_user_sgpr_queue_ptr 0
		.amdhsa_user_sgpr_kernarg_segment_ptr 1
		.amdhsa_user_sgpr_dispatch_id 0
		.amdhsa_user_sgpr_private_segment_size 0
		.amdhsa_wavefront_size32 1
		.amdhsa_uses_dynamic_stack 0
		.amdhsa_enable_private_segment 0
		.amdhsa_system_sgpr_workgroup_id_x 1
		.amdhsa_system_sgpr_workgroup_id_y 0
		.amdhsa_system_sgpr_workgroup_id_z 0
		.amdhsa_system_sgpr_workgroup_info 0
		.amdhsa_system_vgpr_workitem_id 2
		.amdhsa_next_free_vgpr 27
		.amdhsa_next_free_sgpr 22
		.amdhsa_reserve_vcc 1
		.amdhsa_float_round_mode_32 0
		.amdhsa_float_round_mode_16_64 0
		.amdhsa_float_denorm_mode_32 3
		.amdhsa_float_denorm_mode_16_64 3
		.amdhsa_dx10_clamp 1
		.amdhsa_ieee_mode 1
		.amdhsa_fp16_overflow 0
		.amdhsa_workgroup_processor_mode 1
		.amdhsa_memory_ordered 1
		.amdhsa_forward_progress 0
		.amdhsa_shared_vgpr_count 0
		.amdhsa_exception_fp_ieee_invalid_op 0
		.amdhsa_exception_fp_denorm_src 0
		.amdhsa_exception_fp_ieee_div_zero 0
		.amdhsa_exception_fp_ieee_overflow 0
		.amdhsa_exception_fp_ieee_underflow 0
		.amdhsa_exception_fp_ieee_inexact 0
		.amdhsa_exception_int_div_zero 0
	.end_amdhsa_kernel
	.section	.text._ZN9rocsparseL20bsrxmvn_17_32_kernelILj23E21rocsparse_complex_numIdEllS1_IfES2_S2_EEvT2_20rocsparse_direction_NS_24const_host_device_scalarIT0_EES4_PKS4_PKT1_SD_SA_PKT3_PKT4_S8_PT5_21rocsparse_index_base_b,"axG",@progbits,_ZN9rocsparseL20bsrxmvn_17_32_kernelILj23E21rocsparse_complex_numIdEllS1_IfES2_S2_EEvT2_20rocsparse_direction_NS_24const_host_device_scalarIT0_EES4_PKS4_PKT1_SD_SA_PKT3_PKT4_S8_PT5_21rocsparse_index_base_b,comdat
.Lfunc_end566:
	.size	_ZN9rocsparseL20bsrxmvn_17_32_kernelILj23E21rocsparse_complex_numIdEllS1_IfES2_S2_EEvT2_20rocsparse_direction_NS_24const_host_device_scalarIT0_EES4_PKS4_PKT1_SD_SA_PKT3_PKT4_S8_PT5_21rocsparse_index_base_b, .Lfunc_end566-_ZN9rocsparseL20bsrxmvn_17_32_kernelILj23E21rocsparse_complex_numIdEllS1_IfES2_S2_EEvT2_20rocsparse_direction_NS_24const_host_device_scalarIT0_EES4_PKS4_PKT1_SD_SA_PKT3_PKT4_S8_PT5_21rocsparse_index_base_b
                                        ; -- End function
	.section	.AMDGPU.csdata,"",@progbits
; Kernel info:
; codeLenInByte = 2080
; NumSgprs: 24
; NumVgprs: 27
; ScratchSize: 0
; MemoryBound: 0
; FloatMode: 240
; IeeeMode: 1
; LDSByteSize: 16928 bytes/workgroup (compile time only)
; SGPRBlocks: 2
; VGPRBlocks: 3
; NumSGPRsForWavesPerEU: 24
; NumVGPRsForWavesPerEU: 27
; Occupancy: 13
; WaveLimiterHint : 1
; COMPUTE_PGM_RSRC2:SCRATCH_EN: 0
; COMPUTE_PGM_RSRC2:USER_SGPR: 15
; COMPUTE_PGM_RSRC2:TRAP_HANDLER: 0
; COMPUTE_PGM_RSRC2:TGID_X_EN: 1
; COMPUTE_PGM_RSRC2:TGID_Y_EN: 0
; COMPUTE_PGM_RSRC2:TGID_Z_EN: 0
; COMPUTE_PGM_RSRC2:TIDIG_COMP_CNT: 2
	.section	.text._ZN9rocsparseL20bsrxmvn_17_32_kernelILj24E21rocsparse_complex_numIdEllS1_IfES2_S2_EEvT2_20rocsparse_direction_NS_24const_host_device_scalarIT0_EES4_PKS4_PKT1_SD_SA_PKT3_PKT4_S8_PT5_21rocsparse_index_base_b,"axG",@progbits,_ZN9rocsparseL20bsrxmvn_17_32_kernelILj24E21rocsparse_complex_numIdEllS1_IfES2_S2_EEvT2_20rocsparse_direction_NS_24const_host_device_scalarIT0_EES4_PKS4_PKT1_SD_SA_PKT3_PKT4_S8_PT5_21rocsparse_index_base_b,comdat
	.globl	_ZN9rocsparseL20bsrxmvn_17_32_kernelILj24E21rocsparse_complex_numIdEllS1_IfES2_S2_EEvT2_20rocsparse_direction_NS_24const_host_device_scalarIT0_EES4_PKS4_PKT1_SD_SA_PKT3_PKT4_S8_PT5_21rocsparse_index_base_b ; -- Begin function _ZN9rocsparseL20bsrxmvn_17_32_kernelILj24E21rocsparse_complex_numIdEllS1_IfES2_S2_EEvT2_20rocsparse_direction_NS_24const_host_device_scalarIT0_EES4_PKS4_PKT1_SD_SA_PKT3_PKT4_S8_PT5_21rocsparse_index_base_b
	.p2align	8
	.type	_ZN9rocsparseL20bsrxmvn_17_32_kernelILj24E21rocsparse_complex_numIdEllS1_IfES2_S2_EEvT2_20rocsparse_direction_NS_24const_host_device_scalarIT0_EES4_PKS4_PKT1_SD_SA_PKT3_PKT4_S8_PT5_21rocsparse_index_base_b,@function
_ZN9rocsparseL20bsrxmvn_17_32_kernelILj24E21rocsparse_complex_numIdEllS1_IfES2_S2_EEvT2_20rocsparse_direction_NS_24const_host_device_scalarIT0_EES4_PKS4_PKT1_SD_SA_PKT3_PKT4_S8_PT5_21rocsparse_index_base_b: ; @_ZN9rocsparseL20bsrxmvn_17_32_kernelILj24E21rocsparse_complex_numIdEllS1_IfES2_S2_EEvT2_20rocsparse_direction_NS_24const_host_device_scalarIT0_EES4_PKS4_PKT1_SD_SA_PKT3_PKT4_S8_PT5_21rocsparse_index_base_b
; %bb.0:
	s_mov_b32 s12, s15
	s_clause 0x1
	s_load_b64 s[14:15], s[2:3], 0x70
	s_load_b128 s[4:7], s[2:3], 0x10
	s_load_b64 s[16:17], s[0:1], 0x4
	s_mov_b64 s[0:1], src_shared_base
	v_and_b32_e32 v16, 0x3ff, v0
	s_load_b128 s[8:11], s[2:3], 0x58
	v_bfe_u32 v2, v0, 10, 10
	v_bfe_u32 v0, v0, 20, 10
	s_waitcnt lgkmcnt(0)
	s_bitcmp1_b32 s15, 0
	v_mov_b32_e32 v11, s7
	s_cselect_b32 s0, -1, 0
	v_mov_b32_e32 v10, s6
	s_and_b32 vcc_lo, s0, exec_lo
	s_cselect_b32 s13, s1, s5
	s_lshr_b32 s15, s16, 16
	s_xor_b32 s6, s0, -1
	s_mul_i32 s15, s15, s17
	v_mov_b32_e32 v5, s13
	v_mul_lo_u32 v1, s15, v16
	s_delay_alu instid0(VALU_DEP_1) | instskip(SKIP_1) | instid1(VALU_DEP_2)
	v_mad_u32_u24 v1, v2, s17, v1
	v_dual_mov_b32 v2, s8 :: v_dual_mov_b32 v3, s9
	v_add_lshl_u32 v6, v1, v0, 3
	v_dual_mov_b32 v0, s4 :: v_dual_mov_b32 v1, s5
	s_delay_alu instid0(VALU_DEP_2)
	v_add_nc_u32_e32 v4, 0x3600, v6
	ds_store_2addr_stride64_b64 v6, v[2:3], v[0:1] offset0:18 offset1:27
	v_add_nc_u32_e32 v0, 0x2400, v6
	v_cndmask_b32_e64 v4, s4, v4, s0
	flat_load_b64 v[8:9], v[4:5]
	s_cbranch_vccnz .LBB567_2
; %bb.1:
	v_dual_mov_b32 v1, s4 :: v_dual_mov_b32 v2, s5
	flat_load_b64 v[10:11], v[1:2] offset:8
.LBB567_2:
	s_and_b32 s4, s0, exec_lo
	s_cselect_b32 s1, s1, s9
	v_cndmask_b32_e64 v0, s8, v0, s0
	v_dual_mov_b32 v1, s1 :: v_dual_mov_b32 v6, s10
	v_mov_b32_e32 v7, s11
	s_and_not1_b32 vcc_lo, exec_lo, s6
	flat_load_b64 v[4:5], v[0:1]
	s_cbranch_vccnz .LBB567_4
; %bb.3:
	v_dual_mov_b32 v0, s8 :: v_dual_mov_b32 v1, s9
	flat_load_b64 v[6:7], v[0:1] offset:8
.LBB567_4:
	s_waitcnt vmcnt(1) lgkmcnt(1)
	v_cmp_eq_f64_e32 vcc_lo, 0, v[8:9]
	v_cmp_eq_f64_e64 s0, 0, v[10:11]
	s_delay_alu instid0(VALU_DEP_1)
	s_and_b32 s4, vcc_lo, s0
	s_mov_b32 s0, -1
	s_and_saveexec_b32 s1, s4
	s_cbranch_execz .LBB567_6
; %bb.5:
	s_waitcnt vmcnt(0) lgkmcnt(0)
	v_cmp_neq_f64_e32 vcc_lo, 1.0, v[4:5]
	v_cmp_neq_f64_e64 s0, 0, v[6:7]
	s_delay_alu instid0(VALU_DEP_1) | instskip(NEXT) | instid1(SALU_CYCLE_1)
	s_or_b32 s0, vcc_lo, s0
	s_or_not1_b32 s0, s0, exec_lo
.LBB567_6:
	s_or_b32 exec_lo, exec_lo, s1
	s_and_saveexec_b32 s1, s0
	s_cbranch_execz .LBB567_43
; %bb.7:
	s_clause 0x1
	s_load_b128 s[4:7], s[2:3], 0x28
	s_load_b64 s[8:9], s[2:3], 0x38
	s_mov_b32 s13, 0
	s_delay_alu instid0(SALU_CYCLE_1)
	s_mov_b32 s15, s13
	s_waitcnt lgkmcnt(0)
	s_cmp_eq_u64 s[4:5], 0
	s_cbranch_scc1 .LBB567_9
; %bb.8:
	s_lshl_b64 s[0:1], s[12:13], 3
	s_delay_alu instid0(SALU_CYCLE_1)
	s_add_u32 s0, s4, s0
	s_addc_u32 s1, s5, s1
	s_load_b64 s[0:1], s[0:1], 0x0
	s_waitcnt lgkmcnt(0)
	s_sub_u32 s12, s0, s14
	s_subb_u32 s13, s1, 0
.LBB567_9:
	s_load_b32 s1, s[2:3], 0x8
	v_mul_u32_u24_e32 v0, 0xaab, v16
	v_mov_b32_e32 v2, 0
	v_mov_b32_e32 v3, 0
	s_delay_alu instid0(VALU_DEP_3) | instskip(NEXT) | instid1(VALU_DEP_1)
	v_lshrrev_b32_e32 v12, 16, v0
	v_mul_lo_u16 v0, v12, 24
	s_delay_alu instid0(VALU_DEP_1) | instskip(NEXT) | instid1(VALU_DEP_4)
	v_sub_nc_u16 v18, v16, v0
	v_dual_mov_b32 v0, v2 :: v_dual_mov_b32 v1, v3
	s_waitcnt lgkmcnt(0)
	s_cmp_eq_u32 s1, 1
	s_cselect_b32 s0, -1, 0
	s_cmp_lg_u32 s1, 1
	s_cselect_b32 s18, -1, 0
	s_lshl_b64 s[4:5], s[12:13], 3
	s_delay_alu instid0(SALU_CYCLE_1)
	s_add_u32 s6, s6, s4
	s_addc_u32 s7, s7, s5
	s_add_u32 s1, s6, 8
	s_addc_u32 s10, s7, 0
	;; [unrolled: 2-line block ×3, first 2 shown]
	s_cmp_eq_u64 s[8:9], 0
	s_load_b64 s[8:9], s[2:3], 0x68
	s_cselect_b32 s5, s10, s5
	s_cselect_b32 s4, s1, s4
	s_load_b64 s[10:11], s[6:7], 0x0
	s_load_b64 s[16:17], s[4:5], 0x0
	s_waitcnt lgkmcnt(0)
	v_cmp_ge_i64_e64 s1, s[10:11], s[16:17]
	s_delay_alu instid0(VALU_DEP_1)
	s_and_b32 vcc_lo, exec_lo, s1
	s_cbranch_vccnz .LBB567_14
; %bb.10:
	s_clause 0x1
	s_load_b64 s[20:21], s[2:3], 0x50
	s_load_b128 s[4:7], s[2:3], 0x40
	v_and_b32_e32 v0, 0xffff, v18
	v_dual_mov_b32 v2, 0 :: v_dual_and_b32 v1, 0xffff, v12
	v_mov_b32_e32 v3, 0
	s_sub_u32 s2, s16, s14
	s_subb_u32 s3, s17, 0
	s_delay_alu instid0(VALU_DEP_2)
	v_cndmask_b32_e64 v0, v0, v1, s0
	s_sub_u32 s0, s10, s14
	s_subb_u32 s1, s11, 0
	s_mul_hi_u32 s16, s0, 0x1200
	s_mul_i32 s17, s1, 0x1200
	v_lshlrev_b32_e32 v0, 4, v0
	v_lshlrev_b32_e32 v14, 3, v16
	s_mul_i32 s19, s0, 0x1200
	s_add_i32 s16, s16, s17
	s_waitcnt lgkmcnt(0)
	v_add_co_u32 v12, s17, s20, v0
	s_delay_alu instid0(VALU_DEP_1)
	v_add_co_ci_u32_e64 v13, null, s21, 0, s17
	s_add_u32 s17, s6, s19
	v_dual_mov_b32 v0, v2 :: v_dual_mov_b32 v1, v3
	s_addc_u32 s16, s7, s16
	s_lshl_b64 s[6:7], s[10:11], 3
	s_lshl_b64 s[10:11], s[14:15], 3
	v_add_co_u32 v14, s15, s17, v14
	s_delay_alu instid0(VALU_DEP_1)
	v_add_co_ci_u32_e64 v15, null, s16, 0, s15
	s_sub_u32 s6, s6, s10
	s_subb_u32 s7, s7, s11
	s_add_u32 s4, s4, s6
	s_addc_u32 s5, s5, s7
	s_set_inst_prefetch_distance 0x1
	s_branch .LBB567_12
	.p2align	6
.LBB567_11:                             ;   in Loop: Header=BB567_12 Depth=1
	s_add_u32 s0, s0, 1
	s_addc_u32 s1, s1, 0
	s_add_u32 s4, s4, 8
	v_cmp_lt_i64_e64 s6, s[0:1], s[2:3]
	s_addc_u32 s5, s5, 0
	s_delay_alu instid0(VALU_DEP_1)
	s_and_b32 vcc_lo, exec_lo, s6
	s_cbranch_vccz .LBB567_14
.LBB567_12:                             ; =>This Inner Loop Header: Depth=1
	v_cmp_ge_i64_e64 s6, s[0:1], s[2:3]
	s_delay_alu instid0(VALU_DEP_1)
	s_and_b32 vcc_lo, exec_lo, s6
	s_cbranch_vccnz .LBB567_11
; %bb.13:                               ;   in Loop: Header=BB567_12 Depth=1
	s_load_b64 s[6:7], s[4:5], 0x0
	global_load_b64 v[23:24], v[14:15], off
	v_add_co_u32 v14, vcc_lo, 0x1200, v14
	v_add_co_ci_u32_e32 v15, vcc_lo, 0, v15, vcc_lo
	s_waitcnt lgkmcnt(0)
	s_sub_u32 s6, s6, s14
	s_delay_alu instid0(SALU_CYCLE_1) | instskip(SKIP_1) | instid1(VALU_DEP_1)
	v_mad_u64_u32 v[19:20], null, 0x180, s6, v[12:13]
	s_subb_u32 s6, s7, 0
	v_mov_b32_e32 v17, v20
	s_delay_alu instid0(VALU_DEP_1)
	v_mad_u64_u32 v[20:21], null, 0x180, s6, v[17:18]
	global_load_b128 v[19:22], v[19:20], off
	s_waitcnt vmcnt(1)
	v_cvt_f64_f32_e32 v[25:26], v23
	v_cvt_f64_f32_e32 v[23:24], v24
	s_waitcnt vmcnt(0)
	s_delay_alu instid0(VALU_DEP_2) | instskip(NEXT) | instid1(VALU_DEP_2)
	v_fma_f64 v[0:1], v[25:26], v[19:20], v[0:1]
	v_fma_f64 v[2:3], v[23:24], v[19:20], v[2:3]
	s_delay_alu instid0(VALU_DEP_2) | instskip(NEXT) | instid1(VALU_DEP_2)
	v_fma_f64 v[0:1], -v[23:24], v[21:22], v[0:1]
	v_fma_f64 v[2:3], v[25:26], v[21:22], v[2:3]
	s_branch .LBB567_11
.LBB567_14:
	s_set_inst_prefetch_distance 0x2
	v_lshlrev_b32_e32 v17, 4, v16
	s_and_b32 vcc_lo, exec_lo, s18
	ds_store_b128 v17, v[0:3]
	s_waitcnt vmcnt(0) lgkmcnt(0)
	s_barrier
	buffer_gl0_inv
	s_cbranch_vccz .LBB567_26
; %bb.15:
	v_cmp_gt_u16_e32 vcc_lo, 8, v18
	s_and_saveexec_b32 s0, vcc_lo
	s_cbranch_execz .LBB567_17
; %bb.16:
	ds_load_b128 v[12:15], v17 offset:256
	ds_load_b128 v[19:22], v17
	s_waitcnt lgkmcnt(0)
	v_add_f64 v[12:13], v[12:13], v[19:20]
	v_add_f64 v[14:15], v[14:15], v[21:22]
	ds_store_b128 v17, v[12:15]
.LBB567_17:
	s_or_b32 exec_lo, exec_lo, s0
	s_waitcnt lgkmcnt(0)
	s_barrier
	buffer_gl0_inv
	s_and_saveexec_b32 s0, vcc_lo
	s_cbranch_execz .LBB567_19
; %bb.18:
	ds_load_b128 v[12:15], v17 offset:128
	ds_load_b128 v[19:22], v17
	s_waitcnt lgkmcnt(0)
	v_add_f64 v[12:13], v[12:13], v[19:20]
	v_add_f64 v[14:15], v[14:15], v[21:22]
	ds_store_b128 v17, v[12:15]
.LBB567_19:
	s_or_b32 exec_lo, exec_lo, s0
	s_delay_alu instid0(SALU_CYCLE_1)
	s_mov_b32 s0, exec_lo
	s_waitcnt lgkmcnt(0)
	s_barrier
	buffer_gl0_inv
	v_cmpx_gt_u16_e32 4, v18
	s_cbranch_execz .LBB567_21
; %bb.20:
	ds_load_b128 v[12:15], v17 offset:64
	ds_load_b128 v[19:22], v17
	s_waitcnt lgkmcnt(0)
	v_add_f64 v[12:13], v[12:13], v[19:20]
	v_add_f64 v[14:15], v[14:15], v[21:22]
	ds_store_b128 v17, v[12:15]
.LBB567_21:
	s_or_b32 exec_lo, exec_lo, s0
	s_delay_alu instid0(SALU_CYCLE_1)
	s_mov_b32 s0, exec_lo
	s_waitcnt lgkmcnt(0)
	s_barrier
	buffer_gl0_inv
	v_cmpx_gt_u16_e32 2, v18
	s_cbranch_execz .LBB567_23
; %bb.22:
	ds_load_b128 v[12:15], v17
	ds_load_b128 v[18:21], v17 offset:32
	s_waitcnt lgkmcnt(0)
	v_add_f64 v[12:13], v[18:19], v[12:13]
	v_add_f64 v[14:15], v[20:21], v[14:15]
	ds_store_b128 v17, v[12:15]
.LBB567_23:
	s_or_b32 exec_lo, exec_lo, s0
	v_dual_mov_b32 v15, v3 :: v_dual_mov_b32 v14, v2
	v_dual_mov_b32 v13, v1 :: v_dual_mov_b32 v12, v0
	s_mov_b32 s0, exec_lo
	s_waitcnt lgkmcnt(0)
	s_barrier
	buffer_gl0_inv
	v_cmpx_gt_u32_e32 24, v16
	s_cbranch_execz .LBB567_25
; %bb.24:
	v_mul_u32_u24_e32 v12, 24, v16
	s_delay_alu instid0(VALU_DEP_1)
	v_lshlrev_b32_e32 v18, 4, v12
	ds_load_b128 v[12:15], v18
	ds_load_b128 v[18:21], v18 offset:16
	s_waitcnt lgkmcnt(0)
	v_add_f64 v[12:13], v[18:19], v[12:13]
	v_add_f64 v[14:15], v[20:21], v[14:15]
.LBB567_25:
	s_or_b32 exec_lo, exec_lo, s0
	s_branch .LBB567_38
.LBB567_26:
                                        ; implicit-def: $vgpr14_vgpr15
                                        ; implicit-def: $vgpr12_vgpr13
	s_cbranch_execz .LBB567_38
; %bb.27:
	v_cmp_gt_u32_e32 vcc_lo, 0xc0, v16
	s_and_saveexec_b32 s0, vcc_lo
	s_cbranch_execz .LBB567_29
; %bb.28:
	ds_load_b128 v[12:15], v17 offset:6144
	ds_load_b128 v[18:21], v17
	s_waitcnt lgkmcnt(0)
	v_add_f64 v[12:13], v[12:13], v[18:19]
	v_add_f64 v[14:15], v[14:15], v[20:21]
	ds_store_b128 v17, v[12:15]
.LBB567_29:
	s_or_b32 exec_lo, exec_lo, s0
	s_waitcnt lgkmcnt(0)
	s_barrier
	buffer_gl0_inv
	s_and_saveexec_b32 s0, vcc_lo
	s_cbranch_execz .LBB567_31
; %bb.30:
	ds_load_b128 v[12:15], v17 offset:3072
	ds_load_b128 v[18:21], v17
	s_waitcnt lgkmcnt(0)
	v_add_f64 v[12:13], v[12:13], v[18:19]
	v_add_f64 v[14:15], v[14:15], v[20:21]
	ds_store_b128 v17, v[12:15]
.LBB567_31:
	s_or_b32 exec_lo, exec_lo, s0
	s_delay_alu instid0(SALU_CYCLE_1)
	s_mov_b32 s0, exec_lo
	s_waitcnt lgkmcnt(0)
	s_barrier
	buffer_gl0_inv
	v_cmpx_gt_u32_e32 0x60, v16
	s_cbranch_execz .LBB567_33
; %bb.32:
	ds_load_b128 v[12:15], v17 offset:1536
	ds_load_b128 v[18:21], v17
	s_waitcnt lgkmcnt(0)
	v_add_f64 v[12:13], v[12:13], v[18:19]
	v_add_f64 v[14:15], v[14:15], v[20:21]
	ds_store_b128 v17, v[12:15]
.LBB567_33:
	s_or_b32 exec_lo, exec_lo, s0
	s_delay_alu instid0(SALU_CYCLE_1)
	s_mov_b32 s0, exec_lo
	s_waitcnt lgkmcnt(0)
	s_barrier
	buffer_gl0_inv
	v_cmpx_gt_u32_e32 48, v16
	s_cbranch_execz .LBB567_35
; %bb.34:
	ds_load_b128 v[12:15], v17 offset:768
	ds_load_b128 v[18:21], v17
	s_waitcnt lgkmcnt(0)
	v_add_f64 v[12:13], v[12:13], v[18:19]
	v_add_f64 v[14:15], v[14:15], v[20:21]
	ds_store_b128 v17, v[12:15]
.LBB567_35:
	s_or_b32 exec_lo, exec_lo, s0
	s_delay_alu instid0(SALU_CYCLE_1)
	s_mov_b32 s0, exec_lo
	s_waitcnt lgkmcnt(0)
	buffer_gl0_inv
	v_cmpx_gt_u32_e32 24, v16
	s_cbranch_execz .LBB567_37
; %bb.36:
	ds_load_b128 v[0:3], v17 offset:384
	ds_load_b128 v[12:15], v17
	s_waitcnt lgkmcnt(0)
	v_add_f64 v[0:1], v[0:1], v[12:13]
	v_add_f64 v[2:3], v[2:3], v[14:15]
.LBB567_37:
	s_or_b32 exec_lo, exec_lo, s0
	s_delay_alu instid0(VALU_DEP_1) | instskip(NEXT) | instid1(VALU_DEP_3)
	v_dual_mov_b32 v15, v3 :: v_dual_mov_b32 v14, v2
	v_dual_mov_b32 v13, v1 :: v_dual_mov_b32 v12, v0
.LBB567_38:
	v_cmp_gt_u32_e32 vcc_lo, 24, v16
	s_and_b32 exec_lo, exec_lo, vcc_lo
	s_cbranch_execz .LBB567_43
; %bb.39:
	s_delay_alu instid0(VALU_DEP_2)
	v_mul_f64 v[0:1], v[14:15], -v[10:11]
	v_mul_f64 v[2:3], v[8:9], v[14:15]
	v_cmp_eq_f64_e32 vcc_lo, 0, v[4:5]
	v_cmp_eq_f64_e64 s0, 0, v[6:7]
	s_mul_hi_u32 s1, s12, 0x180
	s_mul_i32 s2, s12, 0x180
	s_delay_alu instid0(VALU_DEP_4) | instskip(NEXT) | instid1(VALU_DEP_4)
	v_fma_f64 v[0:1], v[8:9], v[12:13], v[0:1]
	v_fma_f64 v[2:3], v[10:11], v[12:13], v[2:3]
	s_delay_alu instid0(VALU_DEP_3) | instskip(SKIP_2) | instid1(SALU_CYCLE_1)
	s_and_b32 s3, vcc_lo, s0
	s_mul_i32 s0, s13, 0x180
	s_and_saveexec_b32 s4, s3
	s_xor_b32 s3, exec_lo, s4
	s_cbranch_execz .LBB567_41
; %bb.40:
	s_add_i32 s5, s1, s0
	s_add_u32 s4, s8, s2
	s_addc_u32 s5, s9, s5
                                        ; implicit-def: $vgpr4_vgpr5
                                        ; implicit-def: $vgpr6_vgpr7
	global_store_b128 v17, v[0:3], s[4:5]
                                        ; implicit-def: $vgpr17
                                        ; implicit-def: $vgpr0_vgpr1
.LBB567_41:
	s_and_not1_saveexec_b32 s3, s3
	s_cbranch_execz .LBB567_43
; %bb.42:
	s_add_i32 s1, s1, s0
	s_add_u32 s0, s8, s2
	s_addc_u32 s1, s9, s1
	global_load_b128 v[8:11], v17, s[0:1]
	s_waitcnt vmcnt(0)
	v_fma_f64 v[0:1], v[4:5], v[8:9], v[0:1]
	v_fma_f64 v[2:3], v[6:7], v[8:9], v[2:3]
	s_delay_alu instid0(VALU_DEP_2) | instskip(NEXT) | instid1(VALU_DEP_2)
	v_fma_f64 v[0:1], -v[6:7], v[10:11], v[0:1]
	v_fma_f64 v[2:3], v[4:5], v[10:11], v[2:3]
	global_store_b128 v17, v[0:3], s[0:1]
.LBB567_43:
	s_nop 0
	s_sendmsg sendmsg(MSG_DEALLOC_VGPRS)
	s_endpgm
	.section	.rodata,"a",@progbits
	.p2align	6, 0x0
	.amdhsa_kernel _ZN9rocsparseL20bsrxmvn_17_32_kernelILj24E21rocsparse_complex_numIdEllS1_IfES2_S2_EEvT2_20rocsparse_direction_NS_24const_host_device_scalarIT0_EES4_PKS4_PKT1_SD_SA_PKT3_PKT4_S8_PT5_21rocsparse_index_base_b
		.amdhsa_group_segment_fixed_size 18432
		.amdhsa_private_segment_fixed_size 0
		.amdhsa_kernarg_size 120
		.amdhsa_user_sgpr_count 15
		.amdhsa_user_sgpr_dispatch_ptr 1
		.amdhsa_user_sgpr_queue_ptr 0
		.amdhsa_user_sgpr_kernarg_segment_ptr 1
		.amdhsa_user_sgpr_dispatch_id 0
		.amdhsa_user_sgpr_private_segment_size 0
		.amdhsa_wavefront_size32 1
		.amdhsa_uses_dynamic_stack 0
		.amdhsa_enable_private_segment 0
		.amdhsa_system_sgpr_workgroup_id_x 1
		.amdhsa_system_sgpr_workgroup_id_y 0
		.amdhsa_system_sgpr_workgroup_id_z 0
		.amdhsa_system_sgpr_workgroup_info 0
		.amdhsa_system_vgpr_workitem_id 2
		.amdhsa_next_free_vgpr 27
		.amdhsa_next_free_sgpr 22
		.amdhsa_reserve_vcc 1
		.amdhsa_float_round_mode_32 0
		.amdhsa_float_round_mode_16_64 0
		.amdhsa_float_denorm_mode_32 3
		.amdhsa_float_denorm_mode_16_64 3
		.amdhsa_dx10_clamp 1
		.amdhsa_ieee_mode 1
		.amdhsa_fp16_overflow 0
		.amdhsa_workgroup_processor_mode 1
		.amdhsa_memory_ordered 1
		.amdhsa_forward_progress 0
		.amdhsa_shared_vgpr_count 0
		.amdhsa_exception_fp_ieee_invalid_op 0
		.amdhsa_exception_fp_denorm_src 0
		.amdhsa_exception_fp_ieee_div_zero 0
		.amdhsa_exception_fp_ieee_overflow 0
		.amdhsa_exception_fp_ieee_underflow 0
		.amdhsa_exception_fp_ieee_inexact 0
		.amdhsa_exception_int_div_zero 0
	.end_amdhsa_kernel
	.section	.text._ZN9rocsparseL20bsrxmvn_17_32_kernelILj24E21rocsparse_complex_numIdEllS1_IfES2_S2_EEvT2_20rocsparse_direction_NS_24const_host_device_scalarIT0_EES4_PKS4_PKT1_SD_SA_PKT3_PKT4_S8_PT5_21rocsparse_index_base_b,"axG",@progbits,_ZN9rocsparseL20bsrxmvn_17_32_kernelILj24E21rocsparse_complex_numIdEllS1_IfES2_S2_EEvT2_20rocsparse_direction_NS_24const_host_device_scalarIT0_EES4_PKS4_PKT1_SD_SA_PKT3_PKT4_S8_PT5_21rocsparse_index_base_b,comdat
.Lfunc_end567:
	.size	_ZN9rocsparseL20bsrxmvn_17_32_kernelILj24E21rocsparse_complex_numIdEllS1_IfES2_S2_EEvT2_20rocsparse_direction_NS_24const_host_device_scalarIT0_EES4_PKS4_PKT1_SD_SA_PKT3_PKT4_S8_PT5_21rocsparse_index_base_b, .Lfunc_end567-_ZN9rocsparseL20bsrxmvn_17_32_kernelILj24E21rocsparse_complex_numIdEllS1_IfES2_S2_EEvT2_20rocsparse_direction_NS_24const_host_device_scalarIT0_EES4_PKS4_PKT1_SD_SA_PKT3_PKT4_S8_PT5_21rocsparse_index_base_b
                                        ; -- End function
	.section	.AMDGPU.csdata,"",@progbits
; Kernel info:
; codeLenInByte = 2052
; NumSgprs: 24
; NumVgprs: 27
; ScratchSize: 0
; MemoryBound: 0
; FloatMode: 240
; IeeeMode: 1
; LDSByteSize: 18432 bytes/workgroup (compile time only)
; SGPRBlocks: 2
; VGPRBlocks: 3
; NumSGPRsForWavesPerEU: 24
; NumVGPRsForWavesPerEU: 27
; Occupancy: 14
; WaveLimiterHint : 1
; COMPUTE_PGM_RSRC2:SCRATCH_EN: 0
; COMPUTE_PGM_RSRC2:USER_SGPR: 15
; COMPUTE_PGM_RSRC2:TRAP_HANDLER: 0
; COMPUTE_PGM_RSRC2:TGID_X_EN: 1
; COMPUTE_PGM_RSRC2:TGID_Y_EN: 0
; COMPUTE_PGM_RSRC2:TGID_Z_EN: 0
; COMPUTE_PGM_RSRC2:TIDIG_COMP_CNT: 2
	.section	.text._ZN9rocsparseL20bsrxmvn_17_32_kernelILj25E21rocsparse_complex_numIdEllS1_IfES2_S2_EEvT2_20rocsparse_direction_NS_24const_host_device_scalarIT0_EES4_PKS4_PKT1_SD_SA_PKT3_PKT4_S8_PT5_21rocsparse_index_base_b,"axG",@progbits,_ZN9rocsparseL20bsrxmvn_17_32_kernelILj25E21rocsparse_complex_numIdEllS1_IfES2_S2_EEvT2_20rocsparse_direction_NS_24const_host_device_scalarIT0_EES4_PKS4_PKT1_SD_SA_PKT3_PKT4_S8_PT5_21rocsparse_index_base_b,comdat
	.globl	_ZN9rocsparseL20bsrxmvn_17_32_kernelILj25E21rocsparse_complex_numIdEllS1_IfES2_S2_EEvT2_20rocsparse_direction_NS_24const_host_device_scalarIT0_EES4_PKS4_PKT1_SD_SA_PKT3_PKT4_S8_PT5_21rocsparse_index_base_b ; -- Begin function _ZN9rocsparseL20bsrxmvn_17_32_kernelILj25E21rocsparse_complex_numIdEllS1_IfES2_S2_EEvT2_20rocsparse_direction_NS_24const_host_device_scalarIT0_EES4_PKS4_PKT1_SD_SA_PKT3_PKT4_S8_PT5_21rocsparse_index_base_b
	.p2align	8
	.type	_ZN9rocsparseL20bsrxmvn_17_32_kernelILj25E21rocsparse_complex_numIdEllS1_IfES2_S2_EEvT2_20rocsparse_direction_NS_24const_host_device_scalarIT0_EES4_PKS4_PKT1_SD_SA_PKT3_PKT4_S8_PT5_21rocsparse_index_base_b,@function
_ZN9rocsparseL20bsrxmvn_17_32_kernelILj25E21rocsparse_complex_numIdEllS1_IfES2_S2_EEvT2_20rocsparse_direction_NS_24const_host_device_scalarIT0_EES4_PKS4_PKT1_SD_SA_PKT3_PKT4_S8_PT5_21rocsparse_index_base_b: ; @_ZN9rocsparseL20bsrxmvn_17_32_kernelILj25E21rocsparse_complex_numIdEllS1_IfES2_S2_EEvT2_20rocsparse_direction_NS_24const_host_device_scalarIT0_EES4_PKS4_PKT1_SD_SA_PKT3_PKT4_S8_PT5_21rocsparse_index_base_b
; %bb.0:
	s_mov_b32 s12, s15
	s_clause 0x1
	s_load_b64 s[14:15], s[2:3], 0x70
	s_load_b128 s[4:7], s[2:3], 0x10
	s_load_b64 s[16:17], s[0:1], 0x4
	s_mov_b64 s[0:1], src_shared_base
	v_and_b32_e32 v16, 0x3ff, v0
	s_load_b128 s[8:11], s[2:3], 0x58
	v_bfe_u32 v2, v0, 10, 10
	v_bfe_u32 v0, v0, 20, 10
	s_waitcnt lgkmcnt(0)
	s_bitcmp1_b32 s15, 0
	v_mov_b32_e32 v11, s7
	s_cselect_b32 s0, -1, 0
	v_mov_b32_e32 v10, s6
	s_and_b32 vcc_lo, s0, exec_lo
	s_cselect_b32 s13, s1, s5
	s_lshr_b32 s15, s16, 16
	s_xor_b32 s6, s0, -1
	s_mul_i32 s15, s15, s17
	v_mov_b32_e32 v5, s13
	v_mul_lo_u32 v1, s15, v16
	s_delay_alu instid0(VALU_DEP_1) | instskip(SKIP_1) | instid1(VALU_DEP_2)
	v_mad_u32_u24 v1, v2, s17, v1
	v_dual_mov_b32 v2, s8 :: v_dual_mov_b32 v3, s9
	v_add_lshl_u32 v6, v1, v0, 3
	v_dual_mov_b32 v0, s4 :: v_dual_mov_b32 v1, s5
	ds_store_b64 v6, v[0:1] offset:15000
	ds_store_b64 v6, v[2:3] offset:10000
	v_add_nc_u32_e32 v4, 0x3a98, v6
	v_add_nc_u32_e32 v0, 0x2710, v6
	s_delay_alu instid0(VALU_DEP_2)
	v_cndmask_b32_e64 v4, s4, v4, s0
	flat_load_b64 v[8:9], v[4:5]
	s_cbranch_vccnz .LBB568_2
; %bb.1:
	v_dual_mov_b32 v1, s4 :: v_dual_mov_b32 v2, s5
	flat_load_b64 v[10:11], v[1:2] offset:8
.LBB568_2:
	s_and_b32 s4, s0, exec_lo
	s_cselect_b32 s1, s1, s9
	v_cndmask_b32_e64 v0, s8, v0, s0
	v_dual_mov_b32 v1, s1 :: v_dual_mov_b32 v6, s10
	v_mov_b32_e32 v7, s11
	s_and_not1_b32 vcc_lo, exec_lo, s6
	flat_load_b64 v[4:5], v[0:1]
	s_cbranch_vccnz .LBB568_4
; %bb.3:
	v_dual_mov_b32 v0, s8 :: v_dual_mov_b32 v1, s9
	flat_load_b64 v[6:7], v[0:1] offset:8
.LBB568_4:
	s_waitcnt vmcnt(1) lgkmcnt(1)
	v_cmp_eq_f64_e32 vcc_lo, 0, v[8:9]
	v_cmp_eq_f64_e64 s0, 0, v[10:11]
	s_delay_alu instid0(VALU_DEP_1)
	s_and_b32 s4, vcc_lo, s0
	s_mov_b32 s0, -1
	s_and_saveexec_b32 s1, s4
	s_cbranch_execz .LBB568_6
; %bb.5:
	s_waitcnt vmcnt(0) lgkmcnt(0)
	v_cmp_neq_f64_e32 vcc_lo, 1.0, v[4:5]
	v_cmp_neq_f64_e64 s0, 0, v[6:7]
	s_delay_alu instid0(VALU_DEP_1) | instskip(NEXT) | instid1(SALU_CYCLE_1)
	s_or_b32 s0, vcc_lo, s0
	s_or_not1_b32 s0, s0, exec_lo
.LBB568_6:
	s_or_b32 exec_lo, exec_lo, s1
	s_and_saveexec_b32 s1, s0
	s_cbranch_execz .LBB568_43
; %bb.7:
	s_clause 0x1
	s_load_b128 s[4:7], s[2:3], 0x28
	s_load_b64 s[8:9], s[2:3], 0x38
	s_mov_b32 s13, 0
	s_delay_alu instid0(SALU_CYCLE_1)
	s_mov_b32 s15, s13
	s_waitcnt lgkmcnt(0)
	s_cmp_eq_u64 s[4:5], 0
	s_cbranch_scc1 .LBB568_9
; %bb.8:
	s_lshl_b64 s[0:1], s[12:13], 3
	s_delay_alu instid0(SALU_CYCLE_1)
	s_add_u32 s0, s4, s0
	s_addc_u32 s1, s5, s1
	s_load_b64 s[0:1], s[0:1], 0x0
	s_waitcnt lgkmcnt(0)
	s_sub_u32 s12, s0, s14
	s_subb_u32 s13, s1, 0
.LBB568_9:
	s_load_b32 s1, s[2:3], 0x8
	v_mul_u32_u24_e32 v0, 0xa3e, v16
	v_mov_b32_e32 v2, 0
	v_mov_b32_e32 v3, 0
	s_delay_alu instid0(VALU_DEP_3) | instskip(NEXT) | instid1(VALU_DEP_1)
	v_lshrrev_b32_e32 v12, 16, v0
	v_mul_lo_u16 v0, v12, 25
	s_delay_alu instid0(VALU_DEP_1) | instskip(NEXT) | instid1(VALU_DEP_4)
	v_sub_nc_u16 v18, v16, v0
	v_dual_mov_b32 v0, v2 :: v_dual_mov_b32 v1, v3
	s_waitcnt lgkmcnt(0)
	s_cmp_eq_u32 s1, 1
	s_cselect_b32 s0, -1, 0
	s_cmp_lg_u32 s1, 1
	s_cselect_b32 s18, -1, 0
	s_lshl_b64 s[4:5], s[12:13], 3
	s_delay_alu instid0(SALU_CYCLE_1)
	s_add_u32 s6, s6, s4
	s_addc_u32 s7, s7, s5
	s_add_u32 s1, s6, 8
	s_addc_u32 s10, s7, 0
	;; [unrolled: 2-line block ×3, first 2 shown]
	s_cmp_eq_u64 s[8:9], 0
	s_load_b64 s[8:9], s[2:3], 0x68
	s_cselect_b32 s5, s10, s5
	s_cselect_b32 s4, s1, s4
	s_load_b64 s[10:11], s[6:7], 0x0
	s_load_b64 s[16:17], s[4:5], 0x0
	s_waitcnt lgkmcnt(0)
	v_cmp_ge_i64_e64 s1, s[10:11], s[16:17]
	s_delay_alu instid0(VALU_DEP_1)
	s_and_b32 vcc_lo, exec_lo, s1
	s_cbranch_vccnz .LBB568_14
; %bb.10:
	s_clause 0x1
	s_load_b64 s[20:21], s[2:3], 0x50
	s_load_b128 s[4:7], s[2:3], 0x40
	v_and_b32_e32 v0, 0xffff, v18
	v_dual_mov_b32 v2, 0 :: v_dual_and_b32 v1, 0xffff, v12
	v_mov_b32_e32 v3, 0
	s_sub_u32 s2, s16, s14
	s_subb_u32 s3, s17, 0
	s_delay_alu instid0(VALU_DEP_2)
	v_cndmask_b32_e64 v0, v0, v1, s0
	s_sub_u32 s0, s10, s14
	s_subb_u32 s1, s11, 0
	s_mul_hi_u32 s16, s0, 0x1388
	s_mul_i32 s17, s1, 0x1388
	v_lshlrev_b32_e32 v0, 4, v0
	v_lshlrev_b32_e32 v14, 3, v16
	s_mul_i32 s19, s0, 0x1388
	s_add_i32 s16, s16, s17
	s_waitcnt lgkmcnt(0)
	v_add_co_u32 v12, s17, s20, v0
	s_delay_alu instid0(VALU_DEP_1)
	v_add_co_ci_u32_e64 v13, null, s21, 0, s17
	s_add_u32 s17, s6, s19
	v_dual_mov_b32 v0, v2 :: v_dual_mov_b32 v1, v3
	s_addc_u32 s16, s7, s16
	s_lshl_b64 s[6:7], s[10:11], 3
	s_lshl_b64 s[10:11], s[14:15], 3
	v_add_co_u32 v14, s15, s17, v14
	s_delay_alu instid0(VALU_DEP_1)
	v_add_co_ci_u32_e64 v15, null, s16, 0, s15
	s_sub_u32 s6, s6, s10
	s_subb_u32 s7, s7, s11
	s_add_u32 s4, s4, s6
	s_addc_u32 s5, s5, s7
	s_set_inst_prefetch_distance 0x1
	s_branch .LBB568_12
	.p2align	6
.LBB568_11:                             ;   in Loop: Header=BB568_12 Depth=1
	s_add_u32 s0, s0, 1
	s_addc_u32 s1, s1, 0
	s_add_u32 s4, s4, 8
	v_cmp_lt_i64_e64 s6, s[0:1], s[2:3]
	s_addc_u32 s5, s5, 0
	s_delay_alu instid0(VALU_DEP_1)
	s_and_b32 vcc_lo, exec_lo, s6
	s_cbranch_vccz .LBB568_14
.LBB568_12:                             ; =>This Inner Loop Header: Depth=1
	v_cmp_ge_i64_e64 s6, s[0:1], s[2:3]
	s_delay_alu instid0(VALU_DEP_1)
	s_and_b32 vcc_lo, exec_lo, s6
	s_cbranch_vccnz .LBB568_11
; %bb.13:                               ;   in Loop: Header=BB568_12 Depth=1
	s_load_b64 s[6:7], s[4:5], 0x0
	global_load_b64 v[23:24], v[14:15], off
	v_add_co_u32 v14, vcc_lo, 0x1388, v14
	v_add_co_ci_u32_e32 v15, vcc_lo, 0, v15, vcc_lo
	s_waitcnt lgkmcnt(0)
	s_sub_u32 s6, s6, s14
	s_delay_alu instid0(SALU_CYCLE_1) | instskip(SKIP_1) | instid1(VALU_DEP_1)
	v_mad_u64_u32 v[19:20], null, 0x190, s6, v[12:13]
	s_subb_u32 s6, s7, 0
	v_mov_b32_e32 v17, v20
	s_delay_alu instid0(VALU_DEP_1)
	v_mad_u64_u32 v[20:21], null, 0x190, s6, v[17:18]
	global_load_b128 v[19:22], v[19:20], off
	s_waitcnt vmcnt(1)
	v_cvt_f64_f32_e32 v[25:26], v23
	v_cvt_f64_f32_e32 v[23:24], v24
	s_waitcnt vmcnt(0)
	s_delay_alu instid0(VALU_DEP_2) | instskip(NEXT) | instid1(VALU_DEP_2)
	v_fma_f64 v[0:1], v[25:26], v[19:20], v[0:1]
	v_fma_f64 v[2:3], v[23:24], v[19:20], v[2:3]
	s_delay_alu instid0(VALU_DEP_2) | instskip(NEXT) | instid1(VALU_DEP_2)
	v_fma_f64 v[0:1], -v[23:24], v[21:22], v[0:1]
	v_fma_f64 v[2:3], v[25:26], v[21:22], v[2:3]
	s_branch .LBB568_11
.LBB568_14:
	s_set_inst_prefetch_distance 0x2
	v_lshlrev_b32_e32 v17, 4, v16
	s_and_b32 vcc_lo, exec_lo, s18
	ds_store_b128 v17, v[0:3]
	s_waitcnt vmcnt(0) lgkmcnt(0)
	s_barrier
	buffer_gl0_inv
	s_cbranch_vccz .LBB568_26
; %bb.15:
	s_mov_b32 s0, exec_lo
	v_cmpx_gt_u16_e32 9, v18
	s_cbranch_execz .LBB568_17
; %bb.16:
	ds_load_b128 v[12:15], v17 offset:256
	ds_load_b128 v[19:22], v17
	s_waitcnt lgkmcnt(0)
	v_add_f64 v[12:13], v[12:13], v[19:20]
	v_add_f64 v[14:15], v[14:15], v[21:22]
	ds_store_b128 v17, v[12:15]
.LBB568_17:
	s_or_b32 exec_lo, exec_lo, s0
	s_delay_alu instid0(SALU_CYCLE_1)
	s_mov_b32 s0, exec_lo
	s_waitcnt lgkmcnt(0)
	s_barrier
	buffer_gl0_inv
	v_cmpx_gt_u16_e32 8, v18
	s_cbranch_execz .LBB568_19
; %bb.18:
	ds_load_b128 v[12:15], v17 offset:128
	ds_load_b128 v[19:22], v17
	s_waitcnt lgkmcnt(0)
	v_add_f64 v[12:13], v[12:13], v[19:20]
	v_add_f64 v[14:15], v[14:15], v[21:22]
	ds_store_b128 v17, v[12:15]
.LBB568_19:
	s_or_b32 exec_lo, exec_lo, s0
	s_delay_alu instid0(SALU_CYCLE_1)
	s_mov_b32 s0, exec_lo
	s_waitcnt lgkmcnt(0)
	s_barrier
	buffer_gl0_inv
	;; [unrolled: 16-line block ×3, first 2 shown]
	v_cmpx_gt_u16_e32 2, v18
	s_cbranch_execz .LBB568_23
; %bb.22:
	ds_load_b128 v[12:15], v17
	ds_load_b128 v[18:21], v17 offset:32
	s_waitcnt lgkmcnt(0)
	v_add_f64 v[12:13], v[18:19], v[12:13]
	v_add_f64 v[14:15], v[20:21], v[14:15]
	ds_store_b128 v17, v[12:15]
.LBB568_23:
	s_or_b32 exec_lo, exec_lo, s0
	v_dual_mov_b32 v15, v3 :: v_dual_mov_b32 v14, v2
	v_dual_mov_b32 v13, v1 :: v_dual_mov_b32 v12, v0
	s_mov_b32 s0, exec_lo
	s_waitcnt lgkmcnt(0)
	s_barrier
	buffer_gl0_inv
	v_cmpx_gt_u32_e32 25, v16
	s_cbranch_execz .LBB568_25
; %bb.24:
	v_mul_u32_u24_e32 v12, 25, v16
	s_delay_alu instid0(VALU_DEP_1)
	v_lshlrev_b32_e32 v18, 4, v12
	ds_load_b128 v[12:15], v18
	ds_load_b128 v[18:21], v18 offset:16
	s_waitcnt lgkmcnt(0)
	v_add_f64 v[12:13], v[18:19], v[12:13]
	v_add_f64 v[14:15], v[20:21], v[14:15]
.LBB568_25:
	s_or_b32 exec_lo, exec_lo, s0
	s_branch .LBB568_38
.LBB568_26:
                                        ; implicit-def: $vgpr14_vgpr15
                                        ; implicit-def: $vgpr12_vgpr13
	s_cbranch_execz .LBB568_38
; %bb.27:
	s_mov_b32 s0, exec_lo
	v_cmpx_gt_u32_e32 0xe1, v16
	s_cbranch_execz .LBB568_29
; %bb.28:
	ds_load_b128 v[12:15], v17 offset:6400
	ds_load_b128 v[18:21], v17
	s_waitcnt lgkmcnt(0)
	v_add_f64 v[12:13], v[12:13], v[18:19]
	v_add_f64 v[14:15], v[14:15], v[20:21]
	ds_store_b128 v17, v[12:15]
.LBB568_29:
	s_or_b32 exec_lo, exec_lo, s0
	s_delay_alu instid0(SALU_CYCLE_1)
	s_mov_b32 s0, exec_lo
	s_waitcnt lgkmcnt(0)
	s_barrier
	buffer_gl0_inv
	v_cmpx_gt_u32_e32 0xc8, v16
	s_cbranch_execz .LBB568_31
; %bb.30:
	ds_load_b128 v[12:15], v17 offset:3200
	ds_load_b128 v[18:21], v17
	s_waitcnt lgkmcnt(0)
	v_add_f64 v[12:13], v[12:13], v[18:19]
	v_add_f64 v[14:15], v[14:15], v[20:21]
	ds_store_b128 v17, v[12:15]
.LBB568_31:
	s_or_b32 exec_lo, exec_lo, s0
	s_delay_alu instid0(SALU_CYCLE_1)
	s_mov_b32 s0, exec_lo
	s_waitcnt lgkmcnt(0)
	s_barrier
	buffer_gl0_inv
	v_cmpx_gt_u32_e32 0x64, v16
	s_cbranch_execz .LBB568_33
; %bb.32:
	ds_load_b128 v[12:15], v17 offset:1600
	ds_load_b128 v[18:21], v17
	s_waitcnt lgkmcnt(0)
	v_add_f64 v[12:13], v[12:13], v[18:19]
	v_add_f64 v[14:15], v[14:15], v[20:21]
	ds_store_b128 v17, v[12:15]
.LBB568_33:
	s_or_b32 exec_lo, exec_lo, s0
	s_delay_alu instid0(SALU_CYCLE_1)
	s_mov_b32 s0, exec_lo
	s_waitcnt lgkmcnt(0)
	s_barrier
	buffer_gl0_inv
	v_cmpx_gt_u32_e32 50, v16
	s_cbranch_execz .LBB568_35
; %bb.34:
	ds_load_b128 v[12:15], v17 offset:800
	ds_load_b128 v[18:21], v17
	s_waitcnt lgkmcnt(0)
	v_add_f64 v[12:13], v[12:13], v[18:19]
	v_add_f64 v[14:15], v[14:15], v[20:21]
	ds_store_b128 v17, v[12:15]
.LBB568_35:
	s_or_b32 exec_lo, exec_lo, s0
	s_delay_alu instid0(SALU_CYCLE_1)
	s_mov_b32 s0, exec_lo
	s_waitcnt lgkmcnt(0)
	buffer_gl0_inv
	v_cmpx_gt_u32_e32 25, v16
	s_cbranch_execz .LBB568_37
; %bb.36:
	ds_load_b128 v[0:3], v17 offset:400
	ds_load_b128 v[12:15], v17
	s_waitcnt lgkmcnt(0)
	v_add_f64 v[0:1], v[0:1], v[12:13]
	v_add_f64 v[2:3], v[2:3], v[14:15]
.LBB568_37:
	s_or_b32 exec_lo, exec_lo, s0
	s_delay_alu instid0(VALU_DEP_1) | instskip(NEXT) | instid1(VALU_DEP_3)
	v_dual_mov_b32 v15, v3 :: v_dual_mov_b32 v14, v2
	v_dual_mov_b32 v13, v1 :: v_dual_mov_b32 v12, v0
.LBB568_38:
	v_cmp_gt_u32_e32 vcc_lo, 25, v16
	s_and_b32 exec_lo, exec_lo, vcc_lo
	s_cbranch_execz .LBB568_43
; %bb.39:
	s_delay_alu instid0(VALU_DEP_2)
	v_mul_f64 v[0:1], v[14:15], -v[10:11]
	v_mul_f64 v[2:3], v[8:9], v[14:15]
	v_cmp_eq_f64_e32 vcc_lo, 0, v[4:5]
	v_cmp_eq_f64_e64 s0, 0, v[6:7]
	s_mul_hi_u32 s1, s12, 0x190
	s_mul_i32 s2, s12, 0x190
	s_delay_alu instid0(VALU_DEP_4) | instskip(NEXT) | instid1(VALU_DEP_4)
	v_fma_f64 v[0:1], v[8:9], v[12:13], v[0:1]
	v_fma_f64 v[2:3], v[10:11], v[12:13], v[2:3]
	s_delay_alu instid0(VALU_DEP_3) | instskip(SKIP_2) | instid1(SALU_CYCLE_1)
	s_and_b32 s3, vcc_lo, s0
	s_mul_i32 s0, s13, 0x190
	s_and_saveexec_b32 s4, s3
	s_xor_b32 s3, exec_lo, s4
	s_cbranch_execz .LBB568_41
; %bb.40:
	s_add_i32 s5, s1, s0
	s_add_u32 s4, s8, s2
	s_addc_u32 s5, s9, s5
                                        ; implicit-def: $vgpr4_vgpr5
                                        ; implicit-def: $vgpr6_vgpr7
	global_store_b128 v17, v[0:3], s[4:5]
                                        ; implicit-def: $vgpr17
                                        ; implicit-def: $vgpr0_vgpr1
.LBB568_41:
	s_and_not1_saveexec_b32 s3, s3
	s_cbranch_execz .LBB568_43
; %bb.42:
	s_add_i32 s1, s1, s0
	s_add_u32 s0, s8, s2
	s_addc_u32 s1, s9, s1
	global_load_b128 v[8:11], v17, s[0:1]
	s_waitcnt vmcnt(0)
	v_fma_f64 v[0:1], v[4:5], v[8:9], v[0:1]
	v_fma_f64 v[2:3], v[6:7], v[8:9], v[2:3]
	s_delay_alu instid0(VALU_DEP_2) | instskip(NEXT) | instid1(VALU_DEP_2)
	v_fma_f64 v[0:1], -v[6:7], v[10:11], v[0:1]
	v_fma_f64 v[2:3], v[4:5], v[10:11], v[2:3]
	global_store_b128 v17, v[0:3], s[0:1]
.LBB568_43:
	s_nop 0
	s_sendmsg sendmsg(MSG_DEALLOC_VGPRS)
	s_endpgm
	.section	.rodata,"a",@progbits
	.p2align	6, 0x0
	.amdhsa_kernel _ZN9rocsparseL20bsrxmvn_17_32_kernelILj25E21rocsparse_complex_numIdEllS1_IfES2_S2_EEvT2_20rocsparse_direction_NS_24const_host_device_scalarIT0_EES4_PKS4_PKT1_SD_SA_PKT3_PKT4_S8_PT5_21rocsparse_index_base_b
		.amdhsa_group_segment_fixed_size 20000
		.amdhsa_private_segment_fixed_size 0
		.amdhsa_kernarg_size 120
		.amdhsa_user_sgpr_count 15
		.amdhsa_user_sgpr_dispatch_ptr 1
		.amdhsa_user_sgpr_queue_ptr 0
		.amdhsa_user_sgpr_kernarg_segment_ptr 1
		.amdhsa_user_sgpr_dispatch_id 0
		.amdhsa_user_sgpr_private_segment_size 0
		.amdhsa_wavefront_size32 1
		.amdhsa_uses_dynamic_stack 0
		.amdhsa_enable_private_segment 0
		.amdhsa_system_sgpr_workgroup_id_x 1
		.amdhsa_system_sgpr_workgroup_id_y 0
		.amdhsa_system_sgpr_workgroup_id_z 0
		.amdhsa_system_sgpr_workgroup_info 0
		.amdhsa_system_vgpr_workitem_id 2
		.amdhsa_next_free_vgpr 27
		.amdhsa_next_free_sgpr 22
		.amdhsa_reserve_vcc 1
		.amdhsa_float_round_mode_32 0
		.amdhsa_float_round_mode_16_64 0
		.amdhsa_float_denorm_mode_32 3
		.amdhsa_float_denorm_mode_16_64 3
		.amdhsa_dx10_clamp 1
		.amdhsa_ieee_mode 1
		.amdhsa_fp16_overflow 0
		.amdhsa_workgroup_processor_mode 1
		.amdhsa_memory_ordered 1
		.amdhsa_forward_progress 0
		.amdhsa_shared_vgpr_count 0
		.amdhsa_exception_fp_ieee_invalid_op 0
		.amdhsa_exception_fp_denorm_src 0
		.amdhsa_exception_fp_ieee_div_zero 0
		.amdhsa_exception_fp_ieee_overflow 0
		.amdhsa_exception_fp_ieee_underflow 0
		.amdhsa_exception_fp_ieee_inexact 0
		.amdhsa_exception_int_div_zero 0
	.end_amdhsa_kernel
	.section	.text._ZN9rocsparseL20bsrxmvn_17_32_kernelILj25E21rocsparse_complex_numIdEllS1_IfES2_S2_EEvT2_20rocsparse_direction_NS_24const_host_device_scalarIT0_EES4_PKS4_PKT1_SD_SA_PKT3_PKT4_S8_PT5_21rocsparse_index_base_b,"axG",@progbits,_ZN9rocsparseL20bsrxmvn_17_32_kernelILj25E21rocsparse_complex_numIdEllS1_IfES2_S2_EEvT2_20rocsparse_direction_NS_24const_host_device_scalarIT0_EES4_PKS4_PKT1_SD_SA_PKT3_PKT4_S8_PT5_21rocsparse_index_base_b,comdat
.Lfunc_end568:
	.size	_ZN9rocsparseL20bsrxmvn_17_32_kernelILj25E21rocsparse_complex_numIdEllS1_IfES2_S2_EEvT2_20rocsparse_direction_NS_24const_host_device_scalarIT0_EES4_PKS4_PKT1_SD_SA_PKT3_PKT4_S8_PT5_21rocsparse_index_base_b, .Lfunc_end568-_ZN9rocsparseL20bsrxmvn_17_32_kernelILj25E21rocsparse_complex_numIdEllS1_IfES2_S2_EEvT2_20rocsparse_direction_NS_24const_host_device_scalarIT0_EES4_PKS4_PKT1_SD_SA_PKT3_PKT4_S8_PT5_21rocsparse_index_base_b
                                        ; -- End function
	.section	.AMDGPU.csdata,"",@progbits
; Kernel info:
; codeLenInByte = 2080
; NumSgprs: 24
; NumVgprs: 27
; ScratchSize: 0
; MemoryBound: 0
; FloatMode: 240
; IeeeMode: 1
; LDSByteSize: 20000 bytes/workgroup (compile time only)
; SGPRBlocks: 2
; VGPRBlocks: 3
; NumSGPRsForWavesPerEU: 24
; NumVGPRsForWavesPerEU: 27
; Occupancy: 15
; WaveLimiterHint : 1
; COMPUTE_PGM_RSRC2:SCRATCH_EN: 0
; COMPUTE_PGM_RSRC2:USER_SGPR: 15
; COMPUTE_PGM_RSRC2:TRAP_HANDLER: 0
; COMPUTE_PGM_RSRC2:TGID_X_EN: 1
; COMPUTE_PGM_RSRC2:TGID_Y_EN: 0
; COMPUTE_PGM_RSRC2:TGID_Z_EN: 0
; COMPUTE_PGM_RSRC2:TIDIG_COMP_CNT: 2
	.section	.text._ZN9rocsparseL20bsrxmvn_17_32_kernelILj26E21rocsparse_complex_numIdEllS1_IfES2_S2_EEvT2_20rocsparse_direction_NS_24const_host_device_scalarIT0_EES4_PKS4_PKT1_SD_SA_PKT3_PKT4_S8_PT5_21rocsparse_index_base_b,"axG",@progbits,_ZN9rocsparseL20bsrxmvn_17_32_kernelILj26E21rocsparse_complex_numIdEllS1_IfES2_S2_EEvT2_20rocsparse_direction_NS_24const_host_device_scalarIT0_EES4_PKS4_PKT1_SD_SA_PKT3_PKT4_S8_PT5_21rocsparse_index_base_b,comdat
	.globl	_ZN9rocsparseL20bsrxmvn_17_32_kernelILj26E21rocsparse_complex_numIdEllS1_IfES2_S2_EEvT2_20rocsparse_direction_NS_24const_host_device_scalarIT0_EES4_PKS4_PKT1_SD_SA_PKT3_PKT4_S8_PT5_21rocsparse_index_base_b ; -- Begin function _ZN9rocsparseL20bsrxmvn_17_32_kernelILj26E21rocsparse_complex_numIdEllS1_IfES2_S2_EEvT2_20rocsparse_direction_NS_24const_host_device_scalarIT0_EES4_PKS4_PKT1_SD_SA_PKT3_PKT4_S8_PT5_21rocsparse_index_base_b
	.p2align	8
	.type	_ZN9rocsparseL20bsrxmvn_17_32_kernelILj26E21rocsparse_complex_numIdEllS1_IfES2_S2_EEvT2_20rocsparse_direction_NS_24const_host_device_scalarIT0_EES4_PKS4_PKT1_SD_SA_PKT3_PKT4_S8_PT5_21rocsparse_index_base_b,@function
_ZN9rocsparseL20bsrxmvn_17_32_kernelILj26E21rocsparse_complex_numIdEllS1_IfES2_S2_EEvT2_20rocsparse_direction_NS_24const_host_device_scalarIT0_EES4_PKS4_PKT1_SD_SA_PKT3_PKT4_S8_PT5_21rocsparse_index_base_b: ; @_ZN9rocsparseL20bsrxmvn_17_32_kernelILj26E21rocsparse_complex_numIdEllS1_IfES2_S2_EEvT2_20rocsparse_direction_NS_24const_host_device_scalarIT0_EES4_PKS4_PKT1_SD_SA_PKT3_PKT4_S8_PT5_21rocsparse_index_base_b
; %bb.0:
	s_mov_b32 s12, s15
	s_clause 0x1
	s_load_b64 s[14:15], s[2:3], 0x70
	s_load_b128 s[4:7], s[2:3], 0x10
	s_load_b64 s[16:17], s[0:1], 0x4
	s_mov_b64 s[0:1], src_shared_base
	v_and_b32_e32 v16, 0x3ff, v0
	s_load_b128 s[8:11], s[2:3], 0x58
	v_bfe_u32 v2, v0, 10, 10
	v_bfe_u32 v0, v0, 20, 10
	s_waitcnt lgkmcnt(0)
	s_bitcmp1_b32 s15, 0
	v_mov_b32_e32 v11, s7
	s_cselect_b32 s0, -1, 0
	v_mov_b32_e32 v10, s6
	s_and_b32 vcc_lo, s0, exec_lo
	s_cselect_b32 s13, s1, s5
	s_lshr_b32 s15, s16, 16
	s_xor_b32 s6, s0, -1
	s_mul_i32 s15, s15, s17
	v_mov_b32_e32 v5, s13
	v_mul_lo_u32 v1, s15, v16
	s_delay_alu instid0(VALU_DEP_1) | instskip(SKIP_1) | instid1(VALU_DEP_2)
	v_mad_u32_u24 v1, v2, s17, v1
	v_dual_mov_b32 v2, s8 :: v_dual_mov_b32 v3, s9
	v_add_lshl_u32 v6, v1, v0, 3
	v_dual_mov_b32 v0, s4 :: v_dual_mov_b32 v1, s5
	ds_store_b64 v6, v[0:1] offset:16224
	ds_store_b64 v6, v[2:3] offset:10816
	v_add_nc_u32_e32 v4, 0x3f60, v6
	v_add_nc_u32_e32 v0, 0x2a40, v6
	s_delay_alu instid0(VALU_DEP_2)
	v_cndmask_b32_e64 v4, s4, v4, s0
	flat_load_b64 v[8:9], v[4:5]
	s_cbranch_vccnz .LBB569_2
; %bb.1:
	v_dual_mov_b32 v1, s4 :: v_dual_mov_b32 v2, s5
	flat_load_b64 v[10:11], v[1:2] offset:8
.LBB569_2:
	s_and_b32 s4, s0, exec_lo
	s_cselect_b32 s1, s1, s9
	v_cndmask_b32_e64 v0, s8, v0, s0
	v_dual_mov_b32 v1, s1 :: v_dual_mov_b32 v6, s10
	v_mov_b32_e32 v7, s11
	s_and_not1_b32 vcc_lo, exec_lo, s6
	flat_load_b64 v[4:5], v[0:1]
	s_cbranch_vccnz .LBB569_4
; %bb.3:
	v_dual_mov_b32 v0, s8 :: v_dual_mov_b32 v1, s9
	flat_load_b64 v[6:7], v[0:1] offset:8
.LBB569_4:
	s_waitcnt vmcnt(1) lgkmcnt(1)
	v_cmp_eq_f64_e32 vcc_lo, 0, v[8:9]
	v_cmp_eq_f64_e64 s0, 0, v[10:11]
	s_delay_alu instid0(VALU_DEP_1)
	s_and_b32 s4, vcc_lo, s0
	s_mov_b32 s0, -1
	s_and_saveexec_b32 s1, s4
	s_cbranch_execz .LBB569_6
; %bb.5:
	s_waitcnt vmcnt(0) lgkmcnt(0)
	v_cmp_neq_f64_e32 vcc_lo, 1.0, v[4:5]
	v_cmp_neq_f64_e64 s0, 0, v[6:7]
	s_delay_alu instid0(VALU_DEP_1) | instskip(NEXT) | instid1(SALU_CYCLE_1)
	s_or_b32 s0, vcc_lo, s0
	s_or_not1_b32 s0, s0, exec_lo
.LBB569_6:
	s_or_b32 exec_lo, exec_lo, s1
	s_and_saveexec_b32 s1, s0
	s_cbranch_execz .LBB569_43
; %bb.7:
	s_clause 0x1
	s_load_b128 s[4:7], s[2:3], 0x28
	s_load_b64 s[8:9], s[2:3], 0x38
	s_mov_b32 s13, 0
	s_delay_alu instid0(SALU_CYCLE_1)
	s_mov_b32 s15, s13
	s_waitcnt lgkmcnt(0)
	s_cmp_eq_u64 s[4:5], 0
	s_cbranch_scc1 .LBB569_9
; %bb.8:
	s_lshl_b64 s[0:1], s[12:13], 3
	s_delay_alu instid0(SALU_CYCLE_1)
	s_add_u32 s0, s4, s0
	s_addc_u32 s1, s5, s1
	s_load_b64 s[0:1], s[0:1], 0x0
	s_waitcnt lgkmcnt(0)
	s_sub_u32 s12, s0, s14
	s_subb_u32 s13, s1, 0
.LBB569_9:
	s_load_b32 s1, s[2:3], 0x8
	v_mul_u32_u24_e32 v0, 0x9d9, v16
	v_mov_b32_e32 v2, 0
	v_mov_b32_e32 v3, 0
	s_delay_alu instid0(VALU_DEP_3) | instskip(NEXT) | instid1(VALU_DEP_1)
	v_lshrrev_b32_e32 v12, 16, v0
	v_mul_lo_u16 v0, v12, 26
	s_delay_alu instid0(VALU_DEP_1) | instskip(NEXT) | instid1(VALU_DEP_4)
	v_sub_nc_u16 v18, v16, v0
	v_dual_mov_b32 v0, v2 :: v_dual_mov_b32 v1, v3
	s_waitcnt lgkmcnt(0)
	s_cmp_eq_u32 s1, 1
	s_cselect_b32 s0, -1, 0
	s_cmp_lg_u32 s1, 1
	s_cselect_b32 s18, -1, 0
	s_lshl_b64 s[4:5], s[12:13], 3
	s_delay_alu instid0(SALU_CYCLE_1)
	s_add_u32 s6, s6, s4
	s_addc_u32 s7, s7, s5
	s_add_u32 s1, s6, 8
	s_addc_u32 s10, s7, 0
	;; [unrolled: 2-line block ×3, first 2 shown]
	s_cmp_eq_u64 s[8:9], 0
	s_load_b64 s[8:9], s[2:3], 0x68
	s_cselect_b32 s5, s10, s5
	s_cselect_b32 s4, s1, s4
	s_load_b64 s[10:11], s[6:7], 0x0
	s_load_b64 s[16:17], s[4:5], 0x0
	s_waitcnt lgkmcnt(0)
	v_cmp_ge_i64_e64 s1, s[10:11], s[16:17]
	s_delay_alu instid0(VALU_DEP_1)
	s_and_b32 vcc_lo, exec_lo, s1
	s_cbranch_vccnz .LBB569_14
; %bb.10:
	s_clause 0x1
	s_load_b64 s[20:21], s[2:3], 0x50
	s_load_b128 s[4:7], s[2:3], 0x40
	v_and_b32_e32 v0, 0xffff, v18
	v_dual_mov_b32 v2, 0 :: v_dual_and_b32 v1, 0xffff, v12
	v_mov_b32_e32 v3, 0
	s_sub_u32 s2, s16, s14
	s_subb_u32 s3, s17, 0
	s_delay_alu instid0(VALU_DEP_2)
	v_cndmask_b32_e64 v0, v0, v1, s0
	s_sub_u32 s0, s10, s14
	s_subb_u32 s1, s11, 0
	s_mul_hi_u32 s16, s0, 0x1520
	s_mul_i32 s17, s1, 0x1520
	v_lshlrev_b32_e32 v0, 4, v0
	v_lshlrev_b32_e32 v14, 3, v16
	s_mul_i32 s19, s0, 0x1520
	s_add_i32 s16, s16, s17
	s_waitcnt lgkmcnt(0)
	v_add_co_u32 v12, s17, s20, v0
	s_delay_alu instid0(VALU_DEP_1)
	v_add_co_ci_u32_e64 v13, null, s21, 0, s17
	s_add_u32 s17, s6, s19
	v_dual_mov_b32 v0, v2 :: v_dual_mov_b32 v1, v3
	s_addc_u32 s16, s7, s16
	s_lshl_b64 s[6:7], s[10:11], 3
	s_lshl_b64 s[10:11], s[14:15], 3
	v_add_co_u32 v14, s15, s17, v14
	s_delay_alu instid0(VALU_DEP_1)
	v_add_co_ci_u32_e64 v15, null, s16, 0, s15
	s_sub_u32 s6, s6, s10
	s_subb_u32 s7, s7, s11
	s_add_u32 s4, s4, s6
	s_addc_u32 s5, s5, s7
	s_set_inst_prefetch_distance 0x1
	s_branch .LBB569_12
	.p2align	6
.LBB569_11:                             ;   in Loop: Header=BB569_12 Depth=1
	s_add_u32 s0, s0, 1
	s_addc_u32 s1, s1, 0
	s_add_u32 s4, s4, 8
	v_cmp_lt_i64_e64 s6, s[0:1], s[2:3]
	s_addc_u32 s5, s5, 0
	s_delay_alu instid0(VALU_DEP_1)
	s_and_b32 vcc_lo, exec_lo, s6
	s_cbranch_vccz .LBB569_14
.LBB569_12:                             ; =>This Inner Loop Header: Depth=1
	v_cmp_ge_i64_e64 s6, s[0:1], s[2:3]
	s_delay_alu instid0(VALU_DEP_1)
	s_and_b32 vcc_lo, exec_lo, s6
	s_cbranch_vccnz .LBB569_11
; %bb.13:                               ;   in Loop: Header=BB569_12 Depth=1
	s_load_b64 s[6:7], s[4:5], 0x0
	global_load_b64 v[23:24], v[14:15], off
	v_add_co_u32 v14, vcc_lo, 0x1520, v14
	v_add_co_ci_u32_e32 v15, vcc_lo, 0, v15, vcc_lo
	s_waitcnt lgkmcnt(0)
	s_sub_u32 s6, s6, s14
	s_delay_alu instid0(SALU_CYCLE_1) | instskip(SKIP_1) | instid1(VALU_DEP_1)
	v_mad_u64_u32 v[19:20], null, 0x1a0, s6, v[12:13]
	s_subb_u32 s6, s7, 0
	v_mov_b32_e32 v17, v20
	s_delay_alu instid0(VALU_DEP_1)
	v_mad_u64_u32 v[20:21], null, 0x1a0, s6, v[17:18]
	global_load_b128 v[19:22], v[19:20], off
	s_waitcnt vmcnt(1)
	v_cvt_f64_f32_e32 v[25:26], v23
	v_cvt_f64_f32_e32 v[23:24], v24
	s_waitcnt vmcnt(0)
	s_delay_alu instid0(VALU_DEP_2) | instskip(NEXT) | instid1(VALU_DEP_2)
	v_fma_f64 v[0:1], v[25:26], v[19:20], v[0:1]
	v_fma_f64 v[2:3], v[23:24], v[19:20], v[2:3]
	s_delay_alu instid0(VALU_DEP_2) | instskip(NEXT) | instid1(VALU_DEP_2)
	v_fma_f64 v[0:1], -v[23:24], v[21:22], v[0:1]
	v_fma_f64 v[2:3], v[25:26], v[21:22], v[2:3]
	s_branch .LBB569_11
.LBB569_14:
	s_set_inst_prefetch_distance 0x2
	v_lshlrev_b32_e32 v17, 4, v16
	s_and_b32 vcc_lo, exec_lo, s18
	ds_store_b128 v17, v[0:3]
	s_waitcnt vmcnt(0) lgkmcnt(0)
	s_barrier
	buffer_gl0_inv
	s_cbranch_vccz .LBB569_26
; %bb.15:
	s_mov_b32 s0, exec_lo
	v_cmpx_gt_u16_e32 10, v18
	s_cbranch_execz .LBB569_17
; %bb.16:
	ds_load_b128 v[12:15], v17 offset:256
	ds_load_b128 v[19:22], v17
	s_waitcnt lgkmcnt(0)
	v_add_f64 v[12:13], v[12:13], v[19:20]
	v_add_f64 v[14:15], v[14:15], v[21:22]
	ds_store_b128 v17, v[12:15]
.LBB569_17:
	s_or_b32 exec_lo, exec_lo, s0
	s_delay_alu instid0(SALU_CYCLE_1)
	s_mov_b32 s0, exec_lo
	s_waitcnt lgkmcnt(0)
	s_barrier
	buffer_gl0_inv
	v_cmpx_gt_u16_e32 8, v18
	s_cbranch_execz .LBB569_19
; %bb.18:
	ds_load_b128 v[12:15], v17 offset:128
	ds_load_b128 v[19:22], v17
	s_waitcnt lgkmcnt(0)
	v_add_f64 v[12:13], v[12:13], v[19:20]
	v_add_f64 v[14:15], v[14:15], v[21:22]
	ds_store_b128 v17, v[12:15]
.LBB569_19:
	s_or_b32 exec_lo, exec_lo, s0
	s_delay_alu instid0(SALU_CYCLE_1)
	s_mov_b32 s0, exec_lo
	s_waitcnt lgkmcnt(0)
	s_barrier
	buffer_gl0_inv
	;; [unrolled: 16-line block ×3, first 2 shown]
	v_cmpx_gt_u16_e32 2, v18
	s_cbranch_execz .LBB569_23
; %bb.22:
	ds_load_b128 v[12:15], v17
	ds_load_b128 v[18:21], v17 offset:32
	s_waitcnt lgkmcnt(0)
	v_add_f64 v[12:13], v[18:19], v[12:13]
	v_add_f64 v[14:15], v[20:21], v[14:15]
	ds_store_b128 v17, v[12:15]
.LBB569_23:
	s_or_b32 exec_lo, exec_lo, s0
	v_dual_mov_b32 v15, v3 :: v_dual_mov_b32 v14, v2
	v_dual_mov_b32 v13, v1 :: v_dual_mov_b32 v12, v0
	s_mov_b32 s0, exec_lo
	s_waitcnt lgkmcnt(0)
	s_barrier
	buffer_gl0_inv
	v_cmpx_gt_u32_e32 26, v16
	s_cbranch_execz .LBB569_25
; %bb.24:
	v_mul_u32_u24_e32 v12, 26, v16
	s_delay_alu instid0(VALU_DEP_1)
	v_lshlrev_b32_e32 v18, 4, v12
	ds_load_b128 v[12:15], v18
	ds_load_b128 v[18:21], v18 offset:16
	s_waitcnt lgkmcnt(0)
	v_add_f64 v[12:13], v[18:19], v[12:13]
	v_add_f64 v[14:15], v[20:21], v[14:15]
.LBB569_25:
	s_or_b32 exec_lo, exec_lo, s0
	s_branch .LBB569_38
.LBB569_26:
                                        ; implicit-def: $vgpr14_vgpr15
                                        ; implicit-def: $vgpr12_vgpr13
	s_cbranch_execz .LBB569_38
; %bb.27:
	s_mov_b32 s0, exec_lo
	v_cmpx_gt_u32_e32 0x104, v16
	s_cbranch_execz .LBB569_29
; %bb.28:
	ds_load_b128 v[12:15], v17 offset:6656
	ds_load_b128 v[18:21], v17
	s_waitcnt lgkmcnt(0)
	v_add_f64 v[12:13], v[12:13], v[18:19]
	v_add_f64 v[14:15], v[14:15], v[20:21]
	ds_store_b128 v17, v[12:15]
.LBB569_29:
	s_or_b32 exec_lo, exec_lo, s0
	s_delay_alu instid0(SALU_CYCLE_1)
	s_mov_b32 s0, exec_lo
	s_waitcnt lgkmcnt(0)
	s_barrier
	buffer_gl0_inv
	v_cmpx_gt_u32_e32 0xd0, v16
	s_cbranch_execz .LBB569_31
; %bb.30:
	ds_load_b128 v[12:15], v17 offset:3328
	ds_load_b128 v[18:21], v17
	s_waitcnt lgkmcnt(0)
	v_add_f64 v[12:13], v[12:13], v[18:19]
	v_add_f64 v[14:15], v[14:15], v[20:21]
	ds_store_b128 v17, v[12:15]
.LBB569_31:
	s_or_b32 exec_lo, exec_lo, s0
	s_delay_alu instid0(SALU_CYCLE_1)
	s_mov_b32 s0, exec_lo
	s_waitcnt lgkmcnt(0)
	s_barrier
	buffer_gl0_inv
	;; [unrolled: 16-line block ×3, first 2 shown]
	v_cmpx_gt_u32_e32 52, v16
	s_cbranch_execz .LBB569_35
; %bb.34:
	ds_load_b128 v[12:15], v17 offset:832
	ds_load_b128 v[18:21], v17
	s_waitcnt lgkmcnt(0)
	v_add_f64 v[12:13], v[12:13], v[18:19]
	v_add_f64 v[14:15], v[14:15], v[20:21]
	ds_store_b128 v17, v[12:15]
.LBB569_35:
	s_or_b32 exec_lo, exec_lo, s0
	s_delay_alu instid0(SALU_CYCLE_1)
	s_mov_b32 s0, exec_lo
	s_waitcnt lgkmcnt(0)
	buffer_gl0_inv
	v_cmpx_gt_u32_e32 26, v16
	s_cbranch_execz .LBB569_37
; %bb.36:
	ds_load_b128 v[0:3], v17 offset:416
	ds_load_b128 v[12:15], v17
	s_waitcnt lgkmcnt(0)
	v_add_f64 v[0:1], v[0:1], v[12:13]
	v_add_f64 v[2:3], v[2:3], v[14:15]
.LBB569_37:
	s_or_b32 exec_lo, exec_lo, s0
	s_delay_alu instid0(VALU_DEP_1) | instskip(NEXT) | instid1(VALU_DEP_3)
	v_dual_mov_b32 v15, v3 :: v_dual_mov_b32 v14, v2
	v_dual_mov_b32 v13, v1 :: v_dual_mov_b32 v12, v0
.LBB569_38:
	v_cmp_gt_u32_e32 vcc_lo, 26, v16
	s_and_b32 exec_lo, exec_lo, vcc_lo
	s_cbranch_execz .LBB569_43
; %bb.39:
	s_delay_alu instid0(VALU_DEP_2)
	v_mul_f64 v[0:1], v[14:15], -v[10:11]
	v_mul_f64 v[2:3], v[8:9], v[14:15]
	v_cmp_eq_f64_e32 vcc_lo, 0, v[4:5]
	v_cmp_eq_f64_e64 s0, 0, v[6:7]
	s_mul_hi_u32 s1, s12, 0x1a0
	s_mul_i32 s2, s12, 0x1a0
	s_delay_alu instid0(VALU_DEP_4) | instskip(NEXT) | instid1(VALU_DEP_4)
	v_fma_f64 v[0:1], v[8:9], v[12:13], v[0:1]
	v_fma_f64 v[2:3], v[10:11], v[12:13], v[2:3]
	s_delay_alu instid0(VALU_DEP_3) | instskip(SKIP_2) | instid1(SALU_CYCLE_1)
	s_and_b32 s3, vcc_lo, s0
	s_mul_i32 s0, s13, 0x1a0
	s_and_saveexec_b32 s4, s3
	s_xor_b32 s3, exec_lo, s4
	s_cbranch_execz .LBB569_41
; %bb.40:
	s_add_i32 s5, s1, s0
	s_add_u32 s4, s8, s2
	s_addc_u32 s5, s9, s5
                                        ; implicit-def: $vgpr4_vgpr5
                                        ; implicit-def: $vgpr6_vgpr7
	global_store_b128 v17, v[0:3], s[4:5]
                                        ; implicit-def: $vgpr17
                                        ; implicit-def: $vgpr0_vgpr1
.LBB569_41:
	s_and_not1_saveexec_b32 s3, s3
	s_cbranch_execz .LBB569_43
; %bb.42:
	s_add_i32 s1, s1, s0
	s_add_u32 s0, s8, s2
	s_addc_u32 s1, s9, s1
	global_load_b128 v[8:11], v17, s[0:1]
	s_waitcnt vmcnt(0)
	v_fma_f64 v[0:1], v[4:5], v[8:9], v[0:1]
	v_fma_f64 v[2:3], v[6:7], v[8:9], v[2:3]
	s_delay_alu instid0(VALU_DEP_2) | instskip(NEXT) | instid1(VALU_DEP_2)
	v_fma_f64 v[0:1], -v[6:7], v[10:11], v[0:1]
	v_fma_f64 v[2:3], v[4:5], v[10:11], v[2:3]
	global_store_b128 v17, v[0:3], s[0:1]
.LBB569_43:
	s_nop 0
	s_sendmsg sendmsg(MSG_DEALLOC_VGPRS)
	s_endpgm
	.section	.rodata,"a",@progbits
	.p2align	6, 0x0
	.amdhsa_kernel _ZN9rocsparseL20bsrxmvn_17_32_kernelILj26E21rocsparse_complex_numIdEllS1_IfES2_S2_EEvT2_20rocsparse_direction_NS_24const_host_device_scalarIT0_EES4_PKS4_PKT1_SD_SA_PKT3_PKT4_S8_PT5_21rocsparse_index_base_b
		.amdhsa_group_segment_fixed_size 21632
		.amdhsa_private_segment_fixed_size 0
		.amdhsa_kernarg_size 120
		.amdhsa_user_sgpr_count 15
		.amdhsa_user_sgpr_dispatch_ptr 1
		.amdhsa_user_sgpr_queue_ptr 0
		.amdhsa_user_sgpr_kernarg_segment_ptr 1
		.amdhsa_user_sgpr_dispatch_id 0
		.amdhsa_user_sgpr_private_segment_size 0
		.amdhsa_wavefront_size32 1
		.amdhsa_uses_dynamic_stack 0
		.amdhsa_enable_private_segment 0
		.amdhsa_system_sgpr_workgroup_id_x 1
		.amdhsa_system_sgpr_workgroup_id_y 0
		.amdhsa_system_sgpr_workgroup_id_z 0
		.amdhsa_system_sgpr_workgroup_info 0
		.amdhsa_system_vgpr_workitem_id 2
		.amdhsa_next_free_vgpr 27
		.amdhsa_next_free_sgpr 22
		.amdhsa_reserve_vcc 1
		.amdhsa_float_round_mode_32 0
		.amdhsa_float_round_mode_16_64 0
		.amdhsa_float_denorm_mode_32 3
		.amdhsa_float_denorm_mode_16_64 3
		.amdhsa_dx10_clamp 1
		.amdhsa_ieee_mode 1
		.amdhsa_fp16_overflow 0
		.amdhsa_workgroup_processor_mode 1
		.amdhsa_memory_ordered 1
		.amdhsa_forward_progress 0
		.amdhsa_shared_vgpr_count 0
		.amdhsa_exception_fp_ieee_invalid_op 0
		.amdhsa_exception_fp_denorm_src 0
		.amdhsa_exception_fp_ieee_div_zero 0
		.amdhsa_exception_fp_ieee_overflow 0
		.amdhsa_exception_fp_ieee_underflow 0
		.amdhsa_exception_fp_ieee_inexact 0
		.amdhsa_exception_int_div_zero 0
	.end_amdhsa_kernel
	.section	.text._ZN9rocsparseL20bsrxmvn_17_32_kernelILj26E21rocsparse_complex_numIdEllS1_IfES2_S2_EEvT2_20rocsparse_direction_NS_24const_host_device_scalarIT0_EES4_PKS4_PKT1_SD_SA_PKT3_PKT4_S8_PT5_21rocsparse_index_base_b,"axG",@progbits,_ZN9rocsparseL20bsrxmvn_17_32_kernelILj26E21rocsparse_complex_numIdEllS1_IfES2_S2_EEvT2_20rocsparse_direction_NS_24const_host_device_scalarIT0_EES4_PKS4_PKT1_SD_SA_PKT3_PKT4_S8_PT5_21rocsparse_index_base_b,comdat
.Lfunc_end569:
	.size	_ZN9rocsparseL20bsrxmvn_17_32_kernelILj26E21rocsparse_complex_numIdEllS1_IfES2_S2_EEvT2_20rocsparse_direction_NS_24const_host_device_scalarIT0_EES4_PKS4_PKT1_SD_SA_PKT3_PKT4_S8_PT5_21rocsparse_index_base_b, .Lfunc_end569-_ZN9rocsparseL20bsrxmvn_17_32_kernelILj26E21rocsparse_complex_numIdEllS1_IfES2_S2_EEvT2_20rocsparse_direction_NS_24const_host_device_scalarIT0_EES4_PKS4_PKT1_SD_SA_PKT3_PKT4_S8_PT5_21rocsparse_index_base_b
                                        ; -- End function
	.section	.AMDGPU.csdata,"",@progbits
; Kernel info:
; codeLenInByte = 2080
; NumSgprs: 24
; NumVgprs: 27
; ScratchSize: 0
; MemoryBound: 0
; FloatMode: 240
; IeeeMode: 1
; LDSByteSize: 21632 bytes/workgroup (compile time only)
; SGPRBlocks: 2
; VGPRBlocks: 3
; NumSGPRsForWavesPerEU: 24
; NumVGPRsForWavesPerEU: 27
; Occupancy: 11
; WaveLimiterHint : 1
; COMPUTE_PGM_RSRC2:SCRATCH_EN: 0
; COMPUTE_PGM_RSRC2:USER_SGPR: 15
; COMPUTE_PGM_RSRC2:TRAP_HANDLER: 0
; COMPUTE_PGM_RSRC2:TGID_X_EN: 1
; COMPUTE_PGM_RSRC2:TGID_Y_EN: 0
; COMPUTE_PGM_RSRC2:TGID_Z_EN: 0
; COMPUTE_PGM_RSRC2:TIDIG_COMP_CNT: 2
	.section	.text._ZN9rocsparseL20bsrxmvn_17_32_kernelILj27E21rocsparse_complex_numIdEllS1_IfES2_S2_EEvT2_20rocsparse_direction_NS_24const_host_device_scalarIT0_EES4_PKS4_PKT1_SD_SA_PKT3_PKT4_S8_PT5_21rocsparse_index_base_b,"axG",@progbits,_ZN9rocsparseL20bsrxmvn_17_32_kernelILj27E21rocsparse_complex_numIdEllS1_IfES2_S2_EEvT2_20rocsparse_direction_NS_24const_host_device_scalarIT0_EES4_PKS4_PKT1_SD_SA_PKT3_PKT4_S8_PT5_21rocsparse_index_base_b,comdat
	.globl	_ZN9rocsparseL20bsrxmvn_17_32_kernelILj27E21rocsparse_complex_numIdEllS1_IfES2_S2_EEvT2_20rocsparse_direction_NS_24const_host_device_scalarIT0_EES4_PKS4_PKT1_SD_SA_PKT3_PKT4_S8_PT5_21rocsparse_index_base_b ; -- Begin function _ZN9rocsparseL20bsrxmvn_17_32_kernelILj27E21rocsparse_complex_numIdEllS1_IfES2_S2_EEvT2_20rocsparse_direction_NS_24const_host_device_scalarIT0_EES4_PKS4_PKT1_SD_SA_PKT3_PKT4_S8_PT5_21rocsparse_index_base_b
	.p2align	8
	.type	_ZN9rocsparseL20bsrxmvn_17_32_kernelILj27E21rocsparse_complex_numIdEllS1_IfES2_S2_EEvT2_20rocsparse_direction_NS_24const_host_device_scalarIT0_EES4_PKS4_PKT1_SD_SA_PKT3_PKT4_S8_PT5_21rocsparse_index_base_b,@function
_ZN9rocsparseL20bsrxmvn_17_32_kernelILj27E21rocsparse_complex_numIdEllS1_IfES2_S2_EEvT2_20rocsparse_direction_NS_24const_host_device_scalarIT0_EES4_PKS4_PKT1_SD_SA_PKT3_PKT4_S8_PT5_21rocsparse_index_base_b: ; @_ZN9rocsparseL20bsrxmvn_17_32_kernelILj27E21rocsparse_complex_numIdEllS1_IfES2_S2_EEvT2_20rocsparse_direction_NS_24const_host_device_scalarIT0_EES4_PKS4_PKT1_SD_SA_PKT3_PKT4_S8_PT5_21rocsparse_index_base_b
; %bb.0:
	s_mov_b32 s12, s15
	s_clause 0x1
	s_load_b64 s[14:15], s[2:3], 0x70
	s_load_b128 s[4:7], s[2:3], 0x10
	s_load_b64 s[16:17], s[0:1], 0x4
	s_mov_b64 s[0:1], src_shared_base
	v_and_b32_e32 v16, 0x3ff, v0
	s_load_b128 s[8:11], s[2:3], 0x58
	v_bfe_u32 v2, v0, 10, 10
	v_bfe_u32 v0, v0, 20, 10
	s_waitcnt lgkmcnt(0)
	s_bitcmp1_b32 s15, 0
	v_mov_b32_e32 v11, s7
	s_cselect_b32 s0, -1, 0
	v_mov_b32_e32 v10, s6
	s_and_b32 vcc_lo, s0, exec_lo
	s_cselect_b32 s13, s1, s5
	s_lshr_b32 s15, s16, 16
	s_xor_b32 s6, s0, -1
	s_mul_i32 s15, s15, s17
	v_mov_b32_e32 v5, s13
	v_mul_lo_u32 v1, s15, v16
	s_delay_alu instid0(VALU_DEP_1) | instskip(SKIP_1) | instid1(VALU_DEP_2)
	v_mad_u32_u24 v1, v2, s17, v1
	v_dual_mov_b32 v2, s8 :: v_dual_mov_b32 v3, s9
	v_add_lshl_u32 v6, v1, v0, 3
	v_dual_mov_b32 v0, s4 :: v_dual_mov_b32 v1, s5
	ds_store_b64 v6, v[0:1] offset:17496
	ds_store_b64 v6, v[2:3] offset:11664
	v_add_nc_u32_e32 v4, 0x4458, v6
	v_add_nc_u32_e32 v0, 0x2d90, v6
	s_delay_alu instid0(VALU_DEP_2)
	v_cndmask_b32_e64 v4, s4, v4, s0
	flat_load_b64 v[8:9], v[4:5]
	s_cbranch_vccnz .LBB570_2
; %bb.1:
	v_dual_mov_b32 v1, s4 :: v_dual_mov_b32 v2, s5
	flat_load_b64 v[10:11], v[1:2] offset:8
.LBB570_2:
	s_and_b32 s4, s0, exec_lo
	s_cselect_b32 s1, s1, s9
	v_cndmask_b32_e64 v0, s8, v0, s0
	v_dual_mov_b32 v1, s1 :: v_dual_mov_b32 v6, s10
	v_mov_b32_e32 v7, s11
	s_and_not1_b32 vcc_lo, exec_lo, s6
	flat_load_b64 v[4:5], v[0:1]
	s_cbranch_vccnz .LBB570_4
; %bb.3:
	v_dual_mov_b32 v0, s8 :: v_dual_mov_b32 v1, s9
	flat_load_b64 v[6:7], v[0:1] offset:8
.LBB570_4:
	s_waitcnt vmcnt(1) lgkmcnt(1)
	v_cmp_eq_f64_e32 vcc_lo, 0, v[8:9]
	v_cmp_eq_f64_e64 s0, 0, v[10:11]
	s_delay_alu instid0(VALU_DEP_1)
	s_and_b32 s4, vcc_lo, s0
	s_mov_b32 s0, -1
	s_and_saveexec_b32 s1, s4
	s_cbranch_execz .LBB570_6
; %bb.5:
	s_waitcnt vmcnt(0) lgkmcnt(0)
	v_cmp_neq_f64_e32 vcc_lo, 1.0, v[4:5]
	v_cmp_neq_f64_e64 s0, 0, v[6:7]
	s_delay_alu instid0(VALU_DEP_1) | instskip(NEXT) | instid1(SALU_CYCLE_1)
	s_or_b32 s0, vcc_lo, s0
	s_or_not1_b32 s0, s0, exec_lo
.LBB570_6:
	s_or_b32 exec_lo, exec_lo, s1
	s_and_saveexec_b32 s1, s0
	s_cbranch_execz .LBB570_43
; %bb.7:
	s_clause 0x1
	s_load_b128 s[4:7], s[2:3], 0x28
	s_load_b64 s[8:9], s[2:3], 0x38
	s_mov_b32 s13, 0
	s_delay_alu instid0(SALU_CYCLE_1)
	s_mov_b32 s15, s13
	s_waitcnt lgkmcnt(0)
	s_cmp_eq_u64 s[4:5], 0
	s_cbranch_scc1 .LBB570_9
; %bb.8:
	s_lshl_b64 s[0:1], s[12:13], 3
	s_delay_alu instid0(SALU_CYCLE_1)
	s_add_u32 s0, s4, s0
	s_addc_u32 s1, s5, s1
	s_load_b64 s[0:1], s[0:1], 0x0
	s_waitcnt lgkmcnt(0)
	s_sub_u32 s12, s0, s14
	s_subb_u32 s13, s1, 0
.LBB570_9:
	s_load_b32 s1, s[2:3], 0x8
	v_mul_u32_u24_e32 v0, 0x97c, v16
	v_mov_b32_e32 v2, 0
	v_mov_b32_e32 v3, 0
	s_delay_alu instid0(VALU_DEP_3) | instskip(NEXT) | instid1(VALU_DEP_1)
	v_lshrrev_b32_e32 v12, 16, v0
	v_mul_lo_u16 v0, v12, 27
	s_delay_alu instid0(VALU_DEP_1) | instskip(NEXT) | instid1(VALU_DEP_4)
	v_sub_nc_u16 v18, v16, v0
	v_dual_mov_b32 v0, v2 :: v_dual_mov_b32 v1, v3
	s_waitcnt lgkmcnt(0)
	s_cmp_eq_u32 s1, 1
	s_cselect_b32 s0, -1, 0
	s_cmp_lg_u32 s1, 1
	s_cselect_b32 s18, -1, 0
	s_lshl_b64 s[4:5], s[12:13], 3
	s_delay_alu instid0(SALU_CYCLE_1)
	s_add_u32 s6, s6, s4
	s_addc_u32 s7, s7, s5
	s_add_u32 s1, s6, 8
	s_addc_u32 s10, s7, 0
	;; [unrolled: 2-line block ×3, first 2 shown]
	s_cmp_eq_u64 s[8:9], 0
	s_load_b64 s[8:9], s[2:3], 0x68
	s_cselect_b32 s5, s10, s5
	s_cselect_b32 s4, s1, s4
	s_load_b64 s[10:11], s[6:7], 0x0
	s_load_b64 s[16:17], s[4:5], 0x0
	s_waitcnt lgkmcnt(0)
	v_cmp_ge_i64_e64 s1, s[10:11], s[16:17]
	s_delay_alu instid0(VALU_DEP_1)
	s_and_b32 vcc_lo, exec_lo, s1
	s_cbranch_vccnz .LBB570_14
; %bb.10:
	s_clause 0x1
	s_load_b64 s[20:21], s[2:3], 0x50
	s_load_b128 s[4:7], s[2:3], 0x40
	v_and_b32_e32 v0, 0xffff, v18
	v_dual_mov_b32 v2, 0 :: v_dual_and_b32 v1, 0xffff, v12
	v_mov_b32_e32 v3, 0
	s_sub_u32 s2, s16, s14
	s_subb_u32 s3, s17, 0
	s_delay_alu instid0(VALU_DEP_2)
	v_cndmask_b32_e64 v0, v0, v1, s0
	s_sub_u32 s0, s10, s14
	s_subb_u32 s1, s11, 0
	s_mul_hi_u32 s16, s0, 0x16c8
	s_mul_i32 s17, s1, 0x16c8
	v_lshlrev_b32_e32 v0, 4, v0
	v_lshlrev_b32_e32 v14, 3, v16
	s_mul_i32 s19, s0, 0x16c8
	s_add_i32 s16, s16, s17
	s_waitcnt lgkmcnt(0)
	v_add_co_u32 v12, s17, s20, v0
	s_delay_alu instid0(VALU_DEP_1)
	v_add_co_ci_u32_e64 v13, null, s21, 0, s17
	s_add_u32 s17, s6, s19
	v_dual_mov_b32 v0, v2 :: v_dual_mov_b32 v1, v3
	s_addc_u32 s16, s7, s16
	s_lshl_b64 s[6:7], s[10:11], 3
	s_lshl_b64 s[10:11], s[14:15], 3
	v_add_co_u32 v14, s15, s17, v14
	s_delay_alu instid0(VALU_DEP_1)
	v_add_co_ci_u32_e64 v15, null, s16, 0, s15
	s_sub_u32 s6, s6, s10
	s_subb_u32 s7, s7, s11
	s_add_u32 s4, s4, s6
	s_addc_u32 s5, s5, s7
	s_set_inst_prefetch_distance 0x1
	s_branch .LBB570_12
	.p2align	6
.LBB570_11:                             ;   in Loop: Header=BB570_12 Depth=1
	s_add_u32 s0, s0, 1
	s_addc_u32 s1, s1, 0
	s_add_u32 s4, s4, 8
	v_cmp_lt_i64_e64 s6, s[0:1], s[2:3]
	s_addc_u32 s5, s5, 0
	s_delay_alu instid0(VALU_DEP_1)
	s_and_b32 vcc_lo, exec_lo, s6
	s_cbranch_vccz .LBB570_14
.LBB570_12:                             ; =>This Inner Loop Header: Depth=1
	v_cmp_ge_i64_e64 s6, s[0:1], s[2:3]
	s_delay_alu instid0(VALU_DEP_1)
	s_and_b32 vcc_lo, exec_lo, s6
	s_cbranch_vccnz .LBB570_11
; %bb.13:                               ;   in Loop: Header=BB570_12 Depth=1
	s_load_b64 s[6:7], s[4:5], 0x0
	global_load_b64 v[23:24], v[14:15], off
	v_add_co_u32 v14, vcc_lo, 0x16c8, v14
	v_add_co_ci_u32_e32 v15, vcc_lo, 0, v15, vcc_lo
	s_waitcnt lgkmcnt(0)
	s_sub_u32 s6, s6, s14
	s_delay_alu instid0(SALU_CYCLE_1) | instskip(SKIP_1) | instid1(VALU_DEP_1)
	v_mad_u64_u32 v[19:20], null, 0x1b0, s6, v[12:13]
	s_subb_u32 s6, s7, 0
	v_mov_b32_e32 v17, v20
	s_delay_alu instid0(VALU_DEP_1)
	v_mad_u64_u32 v[20:21], null, 0x1b0, s6, v[17:18]
	global_load_b128 v[19:22], v[19:20], off
	s_waitcnt vmcnt(1)
	v_cvt_f64_f32_e32 v[25:26], v23
	v_cvt_f64_f32_e32 v[23:24], v24
	s_waitcnt vmcnt(0)
	s_delay_alu instid0(VALU_DEP_2) | instskip(NEXT) | instid1(VALU_DEP_2)
	v_fma_f64 v[0:1], v[25:26], v[19:20], v[0:1]
	v_fma_f64 v[2:3], v[23:24], v[19:20], v[2:3]
	s_delay_alu instid0(VALU_DEP_2) | instskip(NEXT) | instid1(VALU_DEP_2)
	v_fma_f64 v[0:1], -v[23:24], v[21:22], v[0:1]
	v_fma_f64 v[2:3], v[25:26], v[21:22], v[2:3]
	s_branch .LBB570_11
.LBB570_14:
	s_set_inst_prefetch_distance 0x2
	v_lshlrev_b32_e32 v17, 4, v16
	s_and_b32 vcc_lo, exec_lo, s18
	ds_store_b128 v17, v[0:3]
	s_waitcnt vmcnt(0) lgkmcnt(0)
	s_barrier
	buffer_gl0_inv
	s_cbranch_vccz .LBB570_26
; %bb.15:
	s_mov_b32 s0, exec_lo
	v_cmpx_gt_u16_e32 11, v18
	s_cbranch_execz .LBB570_17
; %bb.16:
	ds_load_b128 v[12:15], v17 offset:256
	ds_load_b128 v[19:22], v17
	s_waitcnt lgkmcnt(0)
	v_add_f64 v[12:13], v[12:13], v[19:20]
	v_add_f64 v[14:15], v[14:15], v[21:22]
	ds_store_b128 v17, v[12:15]
.LBB570_17:
	s_or_b32 exec_lo, exec_lo, s0
	s_delay_alu instid0(SALU_CYCLE_1)
	s_mov_b32 s0, exec_lo
	s_waitcnt lgkmcnt(0)
	s_barrier
	buffer_gl0_inv
	v_cmpx_gt_u16_e32 8, v18
	s_cbranch_execz .LBB570_19
; %bb.18:
	ds_load_b128 v[12:15], v17 offset:128
	ds_load_b128 v[19:22], v17
	s_waitcnt lgkmcnt(0)
	v_add_f64 v[12:13], v[12:13], v[19:20]
	v_add_f64 v[14:15], v[14:15], v[21:22]
	ds_store_b128 v17, v[12:15]
.LBB570_19:
	s_or_b32 exec_lo, exec_lo, s0
	s_delay_alu instid0(SALU_CYCLE_1)
	s_mov_b32 s0, exec_lo
	s_waitcnt lgkmcnt(0)
	s_barrier
	buffer_gl0_inv
	;; [unrolled: 16-line block ×3, first 2 shown]
	v_cmpx_gt_u16_e32 2, v18
	s_cbranch_execz .LBB570_23
; %bb.22:
	ds_load_b128 v[12:15], v17
	ds_load_b128 v[18:21], v17 offset:32
	s_waitcnt lgkmcnt(0)
	v_add_f64 v[12:13], v[18:19], v[12:13]
	v_add_f64 v[14:15], v[20:21], v[14:15]
	ds_store_b128 v17, v[12:15]
.LBB570_23:
	s_or_b32 exec_lo, exec_lo, s0
	v_dual_mov_b32 v15, v3 :: v_dual_mov_b32 v14, v2
	v_dual_mov_b32 v13, v1 :: v_dual_mov_b32 v12, v0
	s_mov_b32 s0, exec_lo
	s_waitcnt lgkmcnt(0)
	s_barrier
	buffer_gl0_inv
	v_cmpx_gt_u32_e32 27, v16
	s_cbranch_execz .LBB570_25
; %bb.24:
	v_mul_u32_u24_e32 v12, 27, v16
	s_delay_alu instid0(VALU_DEP_1)
	v_lshlrev_b32_e32 v18, 4, v12
	ds_load_b128 v[12:15], v18
	ds_load_b128 v[18:21], v18 offset:16
	s_waitcnt lgkmcnt(0)
	v_add_f64 v[12:13], v[18:19], v[12:13]
	v_add_f64 v[14:15], v[20:21], v[14:15]
.LBB570_25:
	s_or_b32 exec_lo, exec_lo, s0
	s_branch .LBB570_38
.LBB570_26:
                                        ; implicit-def: $vgpr14_vgpr15
                                        ; implicit-def: $vgpr12_vgpr13
	s_cbranch_execz .LBB570_38
; %bb.27:
	s_mov_b32 s0, exec_lo
	v_cmpx_gt_u32_e32 0x129, v16
	s_cbranch_execz .LBB570_29
; %bb.28:
	ds_load_b128 v[12:15], v17 offset:6912
	ds_load_b128 v[18:21], v17
	s_waitcnt lgkmcnt(0)
	v_add_f64 v[12:13], v[12:13], v[18:19]
	v_add_f64 v[14:15], v[14:15], v[20:21]
	ds_store_b128 v17, v[12:15]
.LBB570_29:
	s_or_b32 exec_lo, exec_lo, s0
	s_delay_alu instid0(SALU_CYCLE_1)
	s_mov_b32 s0, exec_lo
	s_waitcnt lgkmcnt(0)
	s_barrier
	buffer_gl0_inv
	v_cmpx_gt_u32_e32 0xd8, v16
	s_cbranch_execz .LBB570_31
; %bb.30:
	ds_load_b128 v[12:15], v17 offset:3456
	ds_load_b128 v[18:21], v17
	s_waitcnt lgkmcnt(0)
	v_add_f64 v[12:13], v[12:13], v[18:19]
	v_add_f64 v[14:15], v[14:15], v[20:21]
	ds_store_b128 v17, v[12:15]
.LBB570_31:
	s_or_b32 exec_lo, exec_lo, s0
	s_delay_alu instid0(SALU_CYCLE_1)
	s_mov_b32 s0, exec_lo
	s_waitcnt lgkmcnt(0)
	s_barrier
	buffer_gl0_inv
	v_cmpx_gt_u32_e32 0x6c, v16
	s_cbranch_execz .LBB570_33
; %bb.32:
	ds_load_b128 v[12:15], v17 offset:1728
	ds_load_b128 v[18:21], v17
	s_waitcnt lgkmcnt(0)
	v_add_f64 v[12:13], v[12:13], v[18:19]
	v_add_f64 v[14:15], v[14:15], v[20:21]
	ds_store_b128 v17, v[12:15]
.LBB570_33:
	s_or_b32 exec_lo, exec_lo, s0
	s_delay_alu instid0(SALU_CYCLE_1)
	s_mov_b32 s0, exec_lo
	s_waitcnt lgkmcnt(0)
	s_barrier
	buffer_gl0_inv
	v_cmpx_gt_u32_e32 54, v16
	s_cbranch_execz .LBB570_35
; %bb.34:
	ds_load_b128 v[12:15], v17 offset:864
	ds_load_b128 v[18:21], v17
	s_waitcnt lgkmcnt(0)
	v_add_f64 v[12:13], v[12:13], v[18:19]
	v_add_f64 v[14:15], v[14:15], v[20:21]
	ds_store_b128 v17, v[12:15]
.LBB570_35:
	s_or_b32 exec_lo, exec_lo, s0
	s_delay_alu instid0(SALU_CYCLE_1)
	s_mov_b32 s0, exec_lo
	s_waitcnt lgkmcnt(0)
	buffer_gl0_inv
	v_cmpx_gt_u32_e32 27, v16
	s_cbranch_execz .LBB570_37
; %bb.36:
	ds_load_b128 v[0:3], v17 offset:432
	ds_load_b128 v[12:15], v17
	s_waitcnt lgkmcnt(0)
	v_add_f64 v[0:1], v[0:1], v[12:13]
	v_add_f64 v[2:3], v[2:3], v[14:15]
.LBB570_37:
	s_or_b32 exec_lo, exec_lo, s0
	s_delay_alu instid0(VALU_DEP_1) | instskip(NEXT) | instid1(VALU_DEP_3)
	v_dual_mov_b32 v15, v3 :: v_dual_mov_b32 v14, v2
	v_dual_mov_b32 v13, v1 :: v_dual_mov_b32 v12, v0
.LBB570_38:
	v_cmp_gt_u32_e32 vcc_lo, 27, v16
	s_and_b32 exec_lo, exec_lo, vcc_lo
	s_cbranch_execz .LBB570_43
; %bb.39:
	s_delay_alu instid0(VALU_DEP_2)
	v_mul_f64 v[0:1], v[14:15], -v[10:11]
	v_mul_f64 v[2:3], v[8:9], v[14:15]
	v_cmp_eq_f64_e32 vcc_lo, 0, v[4:5]
	v_cmp_eq_f64_e64 s0, 0, v[6:7]
	s_mul_hi_u32 s1, s12, 0x1b0
	s_mul_i32 s2, s12, 0x1b0
	s_delay_alu instid0(VALU_DEP_4) | instskip(NEXT) | instid1(VALU_DEP_4)
	v_fma_f64 v[0:1], v[8:9], v[12:13], v[0:1]
	v_fma_f64 v[2:3], v[10:11], v[12:13], v[2:3]
	s_delay_alu instid0(VALU_DEP_3) | instskip(SKIP_2) | instid1(SALU_CYCLE_1)
	s_and_b32 s3, vcc_lo, s0
	s_mul_i32 s0, s13, 0x1b0
	s_and_saveexec_b32 s4, s3
	s_xor_b32 s3, exec_lo, s4
	s_cbranch_execz .LBB570_41
; %bb.40:
	s_add_i32 s5, s1, s0
	s_add_u32 s4, s8, s2
	s_addc_u32 s5, s9, s5
                                        ; implicit-def: $vgpr4_vgpr5
                                        ; implicit-def: $vgpr6_vgpr7
	global_store_b128 v17, v[0:3], s[4:5]
                                        ; implicit-def: $vgpr17
                                        ; implicit-def: $vgpr0_vgpr1
.LBB570_41:
	s_and_not1_saveexec_b32 s3, s3
	s_cbranch_execz .LBB570_43
; %bb.42:
	s_add_i32 s1, s1, s0
	s_add_u32 s0, s8, s2
	s_addc_u32 s1, s9, s1
	global_load_b128 v[8:11], v17, s[0:1]
	s_waitcnt vmcnt(0)
	v_fma_f64 v[0:1], v[4:5], v[8:9], v[0:1]
	v_fma_f64 v[2:3], v[6:7], v[8:9], v[2:3]
	s_delay_alu instid0(VALU_DEP_2) | instskip(NEXT) | instid1(VALU_DEP_2)
	v_fma_f64 v[0:1], -v[6:7], v[10:11], v[0:1]
	v_fma_f64 v[2:3], v[4:5], v[10:11], v[2:3]
	global_store_b128 v17, v[0:3], s[0:1]
.LBB570_43:
	s_nop 0
	s_sendmsg sendmsg(MSG_DEALLOC_VGPRS)
	s_endpgm
	.section	.rodata,"a",@progbits
	.p2align	6, 0x0
	.amdhsa_kernel _ZN9rocsparseL20bsrxmvn_17_32_kernelILj27E21rocsparse_complex_numIdEllS1_IfES2_S2_EEvT2_20rocsparse_direction_NS_24const_host_device_scalarIT0_EES4_PKS4_PKT1_SD_SA_PKT3_PKT4_S8_PT5_21rocsparse_index_base_b
		.amdhsa_group_segment_fixed_size 23328
		.amdhsa_private_segment_fixed_size 0
		.amdhsa_kernarg_size 120
		.amdhsa_user_sgpr_count 15
		.amdhsa_user_sgpr_dispatch_ptr 1
		.amdhsa_user_sgpr_queue_ptr 0
		.amdhsa_user_sgpr_kernarg_segment_ptr 1
		.amdhsa_user_sgpr_dispatch_id 0
		.amdhsa_user_sgpr_private_segment_size 0
		.amdhsa_wavefront_size32 1
		.amdhsa_uses_dynamic_stack 0
		.amdhsa_enable_private_segment 0
		.amdhsa_system_sgpr_workgroup_id_x 1
		.amdhsa_system_sgpr_workgroup_id_y 0
		.amdhsa_system_sgpr_workgroup_id_z 0
		.amdhsa_system_sgpr_workgroup_info 0
		.amdhsa_system_vgpr_workitem_id 2
		.amdhsa_next_free_vgpr 27
		.amdhsa_next_free_sgpr 22
		.amdhsa_reserve_vcc 1
		.amdhsa_float_round_mode_32 0
		.amdhsa_float_round_mode_16_64 0
		.amdhsa_float_denorm_mode_32 3
		.amdhsa_float_denorm_mode_16_64 3
		.amdhsa_dx10_clamp 1
		.amdhsa_ieee_mode 1
		.amdhsa_fp16_overflow 0
		.amdhsa_workgroup_processor_mode 1
		.amdhsa_memory_ordered 1
		.amdhsa_forward_progress 0
		.amdhsa_shared_vgpr_count 0
		.amdhsa_exception_fp_ieee_invalid_op 0
		.amdhsa_exception_fp_denorm_src 0
		.amdhsa_exception_fp_ieee_div_zero 0
		.amdhsa_exception_fp_ieee_overflow 0
		.amdhsa_exception_fp_ieee_underflow 0
		.amdhsa_exception_fp_ieee_inexact 0
		.amdhsa_exception_int_div_zero 0
	.end_amdhsa_kernel
	.section	.text._ZN9rocsparseL20bsrxmvn_17_32_kernelILj27E21rocsparse_complex_numIdEllS1_IfES2_S2_EEvT2_20rocsparse_direction_NS_24const_host_device_scalarIT0_EES4_PKS4_PKT1_SD_SA_PKT3_PKT4_S8_PT5_21rocsparse_index_base_b,"axG",@progbits,_ZN9rocsparseL20bsrxmvn_17_32_kernelILj27E21rocsparse_complex_numIdEllS1_IfES2_S2_EEvT2_20rocsparse_direction_NS_24const_host_device_scalarIT0_EES4_PKS4_PKT1_SD_SA_PKT3_PKT4_S8_PT5_21rocsparse_index_base_b,comdat
.Lfunc_end570:
	.size	_ZN9rocsparseL20bsrxmvn_17_32_kernelILj27E21rocsparse_complex_numIdEllS1_IfES2_S2_EEvT2_20rocsparse_direction_NS_24const_host_device_scalarIT0_EES4_PKS4_PKT1_SD_SA_PKT3_PKT4_S8_PT5_21rocsparse_index_base_b, .Lfunc_end570-_ZN9rocsparseL20bsrxmvn_17_32_kernelILj27E21rocsparse_complex_numIdEllS1_IfES2_S2_EEvT2_20rocsparse_direction_NS_24const_host_device_scalarIT0_EES4_PKS4_PKT1_SD_SA_PKT3_PKT4_S8_PT5_21rocsparse_index_base_b
                                        ; -- End function
	.section	.AMDGPU.csdata,"",@progbits
; Kernel info:
; codeLenInByte = 2080
; NumSgprs: 24
; NumVgprs: 27
; ScratchSize: 0
; MemoryBound: 0
; FloatMode: 240
; IeeeMode: 1
; LDSByteSize: 23328 bytes/workgroup (compile time only)
; SGPRBlocks: 2
; VGPRBlocks: 3
; NumSGPRsForWavesPerEU: 24
; NumVGPRsForWavesPerEU: 27
; Occupancy: 12
; WaveLimiterHint : 1
; COMPUTE_PGM_RSRC2:SCRATCH_EN: 0
; COMPUTE_PGM_RSRC2:USER_SGPR: 15
; COMPUTE_PGM_RSRC2:TRAP_HANDLER: 0
; COMPUTE_PGM_RSRC2:TGID_X_EN: 1
; COMPUTE_PGM_RSRC2:TGID_Y_EN: 0
; COMPUTE_PGM_RSRC2:TGID_Z_EN: 0
; COMPUTE_PGM_RSRC2:TIDIG_COMP_CNT: 2
	.section	.text._ZN9rocsparseL20bsrxmvn_17_32_kernelILj28E21rocsparse_complex_numIdEllS1_IfES2_S2_EEvT2_20rocsparse_direction_NS_24const_host_device_scalarIT0_EES4_PKS4_PKT1_SD_SA_PKT3_PKT4_S8_PT5_21rocsparse_index_base_b,"axG",@progbits,_ZN9rocsparseL20bsrxmvn_17_32_kernelILj28E21rocsparse_complex_numIdEllS1_IfES2_S2_EEvT2_20rocsparse_direction_NS_24const_host_device_scalarIT0_EES4_PKS4_PKT1_SD_SA_PKT3_PKT4_S8_PT5_21rocsparse_index_base_b,comdat
	.globl	_ZN9rocsparseL20bsrxmvn_17_32_kernelILj28E21rocsparse_complex_numIdEllS1_IfES2_S2_EEvT2_20rocsparse_direction_NS_24const_host_device_scalarIT0_EES4_PKS4_PKT1_SD_SA_PKT3_PKT4_S8_PT5_21rocsparse_index_base_b ; -- Begin function _ZN9rocsparseL20bsrxmvn_17_32_kernelILj28E21rocsparse_complex_numIdEllS1_IfES2_S2_EEvT2_20rocsparse_direction_NS_24const_host_device_scalarIT0_EES4_PKS4_PKT1_SD_SA_PKT3_PKT4_S8_PT5_21rocsparse_index_base_b
	.p2align	8
	.type	_ZN9rocsparseL20bsrxmvn_17_32_kernelILj28E21rocsparse_complex_numIdEllS1_IfES2_S2_EEvT2_20rocsparse_direction_NS_24const_host_device_scalarIT0_EES4_PKS4_PKT1_SD_SA_PKT3_PKT4_S8_PT5_21rocsparse_index_base_b,@function
_ZN9rocsparseL20bsrxmvn_17_32_kernelILj28E21rocsparse_complex_numIdEllS1_IfES2_S2_EEvT2_20rocsparse_direction_NS_24const_host_device_scalarIT0_EES4_PKS4_PKT1_SD_SA_PKT3_PKT4_S8_PT5_21rocsparse_index_base_b: ; @_ZN9rocsparseL20bsrxmvn_17_32_kernelILj28E21rocsparse_complex_numIdEllS1_IfES2_S2_EEvT2_20rocsparse_direction_NS_24const_host_device_scalarIT0_EES4_PKS4_PKT1_SD_SA_PKT3_PKT4_S8_PT5_21rocsparse_index_base_b
; %bb.0:
	s_mov_b32 s12, s15
	s_clause 0x1
	s_load_b64 s[14:15], s[2:3], 0x70
	s_load_b128 s[4:7], s[2:3], 0x10
	s_load_b64 s[16:17], s[0:1], 0x4
	s_mov_b64 s[0:1], src_shared_base
	v_and_b32_e32 v16, 0x3ff, v0
	s_load_b128 s[8:11], s[2:3], 0x58
	v_bfe_u32 v2, v0, 10, 10
	v_bfe_u32 v0, v0, 20, 10
	s_waitcnt lgkmcnt(0)
	s_bitcmp1_b32 s15, 0
	v_mov_b32_e32 v11, s7
	s_cselect_b32 s0, -1, 0
	v_mov_b32_e32 v10, s6
	s_and_b32 vcc_lo, s0, exec_lo
	s_cselect_b32 s13, s1, s5
	s_lshr_b32 s15, s16, 16
	s_xor_b32 s6, s0, -1
	s_mul_i32 s15, s15, s17
	v_mov_b32_e32 v5, s13
	v_mul_lo_u32 v1, s15, v16
	s_delay_alu instid0(VALU_DEP_1) | instskip(SKIP_1) | instid1(VALU_DEP_2)
	v_mad_u32_u24 v1, v2, s17, v1
	v_dual_mov_b32 v2, s8 :: v_dual_mov_b32 v3, s9
	v_add_lshl_u32 v6, v1, v0, 3
	v_dual_mov_b32 v0, s4 :: v_dual_mov_b32 v1, s5
	ds_store_b64 v6, v[0:1] offset:18816
	ds_store_b64 v6, v[2:3] offset:12544
	v_add_nc_u32_e32 v4, 0x4980, v6
	v_add_nc_u32_e32 v0, 0x3100, v6
	s_delay_alu instid0(VALU_DEP_2)
	v_cndmask_b32_e64 v4, s4, v4, s0
	flat_load_b64 v[8:9], v[4:5]
	s_cbranch_vccnz .LBB571_2
; %bb.1:
	v_dual_mov_b32 v1, s4 :: v_dual_mov_b32 v2, s5
	flat_load_b64 v[10:11], v[1:2] offset:8
.LBB571_2:
	s_and_b32 s4, s0, exec_lo
	s_cselect_b32 s1, s1, s9
	v_cndmask_b32_e64 v0, s8, v0, s0
	v_dual_mov_b32 v1, s1 :: v_dual_mov_b32 v6, s10
	v_mov_b32_e32 v7, s11
	s_and_not1_b32 vcc_lo, exec_lo, s6
	flat_load_b64 v[4:5], v[0:1]
	s_cbranch_vccnz .LBB571_4
; %bb.3:
	v_dual_mov_b32 v0, s8 :: v_dual_mov_b32 v1, s9
	flat_load_b64 v[6:7], v[0:1] offset:8
.LBB571_4:
	s_waitcnt vmcnt(1) lgkmcnt(1)
	v_cmp_eq_f64_e32 vcc_lo, 0, v[8:9]
	v_cmp_eq_f64_e64 s0, 0, v[10:11]
	s_delay_alu instid0(VALU_DEP_1)
	s_and_b32 s4, vcc_lo, s0
	s_mov_b32 s0, -1
	s_and_saveexec_b32 s1, s4
	s_cbranch_execz .LBB571_6
; %bb.5:
	s_waitcnt vmcnt(0) lgkmcnt(0)
	v_cmp_neq_f64_e32 vcc_lo, 1.0, v[4:5]
	v_cmp_neq_f64_e64 s0, 0, v[6:7]
	s_delay_alu instid0(VALU_DEP_1) | instskip(NEXT) | instid1(SALU_CYCLE_1)
	s_or_b32 s0, vcc_lo, s0
	s_or_not1_b32 s0, s0, exec_lo
.LBB571_6:
	s_or_b32 exec_lo, exec_lo, s1
	s_and_saveexec_b32 s1, s0
	s_cbranch_execz .LBB571_43
; %bb.7:
	s_clause 0x1
	s_load_b128 s[4:7], s[2:3], 0x28
	s_load_b64 s[8:9], s[2:3], 0x38
	s_mov_b32 s13, 0
	s_delay_alu instid0(SALU_CYCLE_1)
	s_mov_b32 s15, s13
	s_waitcnt lgkmcnt(0)
	s_cmp_eq_u64 s[4:5], 0
	s_cbranch_scc1 .LBB571_9
; %bb.8:
	s_lshl_b64 s[0:1], s[12:13], 3
	s_delay_alu instid0(SALU_CYCLE_1)
	s_add_u32 s0, s4, s0
	s_addc_u32 s1, s5, s1
	s_load_b64 s[0:1], s[0:1], 0x0
	s_waitcnt lgkmcnt(0)
	s_sub_u32 s12, s0, s14
	s_subb_u32 s13, s1, 0
.LBB571_9:
	s_load_b32 s1, s[2:3], 0x8
	v_mul_u32_u24_e32 v0, 0x925, v16
	v_mov_b32_e32 v2, 0
	v_mov_b32_e32 v3, 0
	s_delay_alu instid0(VALU_DEP_3) | instskip(NEXT) | instid1(VALU_DEP_1)
	v_lshrrev_b32_e32 v12, 16, v0
	v_mul_lo_u16 v0, v12, 28
	s_delay_alu instid0(VALU_DEP_1) | instskip(NEXT) | instid1(VALU_DEP_4)
	v_sub_nc_u16 v18, v16, v0
	v_dual_mov_b32 v0, v2 :: v_dual_mov_b32 v1, v3
	s_waitcnt lgkmcnt(0)
	s_cmp_eq_u32 s1, 1
	s_cselect_b32 s0, -1, 0
	s_cmp_lg_u32 s1, 1
	s_cselect_b32 s18, -1, 0
	s_lshl_b64 s[4:5], s[12:13], 3
	s_delay_alu instid0(SALU_CYCLE_1)
	s_add_u32 s6, s6, s4
	s_addc_u32 s7, s7, s5
	s_add_u32 s1, s6, 8
	s_addc_u32 s10, s7, 0
	;; [unrolled: 2-line block ×3, first 2 shown]
	s_cmp_eq_u64 s[8:9], 0
	s_load_b64 s[8:9], s[2:3], 0x68
	s_cselect_b32 s5, s10, s5
	s_cselect_b32 s4, s1, s4
	s_load_b64 s[10:11], s[6:7], 0x0
	s_load_b64 s[16:17], s[4:5], 0x0
	s_waitcnt lgkmcnt(0)
	v_cmp_ge_i64_e64 s1, s[10:11], s[16:17]
	s_delay_alu instid0(VALU_DEP_1)
	s_and_b32 vcc_lo, exec_lo, s1
	s_cbranch_vccnz .LBB571_14
; %bb.10:
	s_clause 0x1
	s_load_b64 s[20:21], s[2:3], 0x50
	s_load_b128 s[4:7], s[2:3], 0x40
	v_and_b32_e32 v0, 0xffff, v18
	v_dual_mov_b32 v2, 0 :: v_dual_and_b32 v1, 0xffff, v12
	v_mov_b32_e32 v3, 0
	s_sub_u32 s2, s16, s14
	s_subb_u32 s3, s17, 0
	s_delay_alu instid0(VALU_DEP_2)
	v_cndmask_b32_e64 v0, v0, v1, s0
	s_sub_u32 s0, s10, s14
	s_subb_u32 s1, s11, 0
	s_mul_hi_u32 s16, s0, 0x1880
	s_mul_i32 s17, s1, 0x1880
	v_lshlrev_b32_e32 v0, 4, v0
	v_lshlrev_b32_e32 v14, 3, v16
	s_mul_i32 s19, s0, 0x1880
	s_add_i32 s16, s16, s17
	s_waitcnt lgkmcnt(0)
	v_add_co_u32 v12, s17, s20, v0
	s_delay_alu instid0(VALU_DEP_1)
	v_add_co_ci_u32_e64 v13, null, s21, 0, s17
	s_add_u32 s17, s6, s19
	v_dual_mov_b32 v0, v2 :: v_dual_mov_b32 v1, v3
	s_addc_u32 s16, s7, s16
	s_lshl_b64 s[6:7], s[10:11], 3
	s_lshl_b64 s[10:11], s[14:15], 3
	v_add_co_u32 v14, s15, s17, v14
	s_delay_alu instid0(VALU_DEP_1)
	v_add_co_ci_u32_e64 v15, null, s16, 0, s15
	s_sub_u32 s6, s6, s10
	s_subb_u32 s7, s7, s11
	s_add_u32 s4, s4, s6
	s_addc_u32 s5, s5, s7
	s_set_inst_prefetch_distance 0x1
	s_branch .LBB571_12
	.p2align	6
.LBB571_11:                             ;   in Loop: Header=BB571_12 Depth=1
	s_add_u32 s0, s0, 1
	s_addc_u32 s1, s1, 0
	s_add_u32 s4, s4, 8
	v_cmp_lt_i64_e64 s6, s[0:1], s[2:3]
	s_addc_u32 s5, s5, 0
	s_delay_alu instid0(VALU_DEP_1)
	s_and_b32 vcc_lo, exec_lo, s6
	s_cbranch_vccz .LBB571_14
.LBB571_12:                             ; =>This Inner Loop Header: Depth=1
	v_cmp_ge_i64_e64 s6, s[0:1], s[2:3]
	s_delay_alu instid0(VALU_DEP_1)
	s_and_b32 vcc_lo, exec_lo, s6
	s_cbranch_vccnz .LBB571_11
; %bb.13:                               ;   in Loop: Header=BB571_12 Depth=1
	s_load_b64 s[6:7], s[4:5], 0x0
	global_load_b64 v[23:24], v[14:15], off
	v_add_co_u32 v14, vcc_lo, 0x1880, v14
	v_add_co_ci_u32_e32 v15, vcc_lo, 0, v15, vcc_lo
	s_waitcnt lgkmcnt(0)
	s_sub_u32 s6, s6, s14
	s_delay_alu instid0(SALU_CYCLE_1) | instskip(SKIP_1) | instid1(VALU_DEP_1)
	v_mad_u64_u32 v[19:20], null, 0x1c0, s6, v[12:13]
	s_subb_u32 s6, s7, 0
	v_mov_b32_e32 v17, v20
	s_delay_alu instid0(VALU_DEP_1)
	v_mad_u64_u32 v[20:21], null, 0x1c0, s6, v[17:18]
	global_load_b128 v[19:22], v[19:20], off
	s_waitcnt vmcnt(1)
	v_cvt_f64_f32_e32 v[25:26], v23
	v_cvt_f64_f32_e32 v[23:24], v24
	s_waitcnt vmcnt(0)
	s_delay_alu instid0(VALU_DEP_2) | instskip(NEXT) | instid1(VALU_DEP_2)
	v_fma_f64 v[0:1], v[25:26], v[19:20], v[0:1]
	v_fma_f64 v[2:3], v[23:24], v[19:20], v[2:3]
	s_delay_alu instid0(VALU_DEP_2) | instskip(NEXT) | instid1(VALU_DEP_2)
	v_fma_f64 v[0:1], -v[23:24], v[21:22], v[0:1]
	v_fma_f64 v[2:3], v[25:26], v[21:22], v[2:3]
	s_branch .LBB571_11
.LBB571_14:
	s_set_inst_prefetch_distance 0x2
	v_lshlrev_b32_e32 v17, 4, v16
	s_and_b32 vcc_lo, exec_lo, s18
	ds_store_b128 v17, v[0:3]
	s_waitcnt vmcnt(0) lgkmcnt(0)
	s_barrier
	buffer_gl0_inv
	s_cbranch_vccz .LBB571_26
; %bb.15:
	s_mov_b32 s0, exec_lo
	v_cmpx_gt_u16_e32 12, v18
	s_cbranch_execz .LBB571_17
; %bb.16:
	ds_load_b128 v[12:15], v17 offset:256
	ds_load_b128 v[19:22], v17
	s_waitcnt lgkmcnt(0)
	v_add_f64 v[12:13], v[12:13], v[19:20]
	v_add_f64 v[14:15], v[14:15], v[21:22]
	ds_store_b128 v17, v[12:15]
.LBB571_17:
	s_or_b32 exec_lo, exec_lo, s0
	s_delay_alu instid0(SALU_CYCLE_1)
	s_mov_b32 s0, exec_lo
	s_waitcnt lgkmcnt(0)
	s_barrier
	buffer_gl0_inv
	v_cmpx_gt_u16_e32 8, v18
	s_cbranch_execz .LBB571_19
; %bb.18:
	ds_load_b128 v[12:15], v17 offset:128
	ds_load_b128 v[19:22], v17
	s_waitcnt lgkmcnt(0)
	v_add_f64 v[12:13], v[12:13], v[19:20]
	v_add_f64 v[14:15], v[14:15], v[21:22]
	ds_store_b128 v17, v[12:15]
.LBB571_19:
	s_or_b32 exec_lo, exec_lo, s0
	s_delay_alu instid0(SALU_CYCLE_1)
	s_mov_b32 s0, exec_lo
	s_waitcnt lgkmcnt(0)
	s_barrier
	buffer_gl0_inv
	v_cmpx_gt_u16_e32 4, v18
	s_cbranch_execz .LBB571_21
; %bb.20:
	ds_load_b128 v[12:15], v17 offset:64
	ds_load_b128 v[19:22], v17
	s_waitcnt lgkmcnt(0)
	v_add_f64 v[12:13], v[12:13], v[19:20]
	v_add_f64 v[14:15], v[14:15], v[21:22]
	ds_store_b128 v17, v[12:15]
.LBB571_21:
	s_or_b32 exec_lo, exec_lo, s0
	s_delay_alu instid0(SALU_CYCLE_1)
	s_mov_b32 s0, exec_lo
	s_waitcnt lgkmcnt(0)
	s_barrier
	buffer_gl0_inv
	v_cmpx_gt_u16_e32 2, v18
	s_cbranch_execz .LBB571_23
; %bb.22:
	ds_load_b128 v[12:15], v17
	ds_load_b128 v[18:21], v17 offset:32
	s_waitcnt lgkmcnt(0)
	v_add_f64 v[12:13], v[18:19], v[12:13]
	v_add_f64 v[14:15], v[20:21], v[14:15]
	ds_store_b128 v17, v[12:15]
.LBB571_23:
	s_or_b32 exec_lo, exec_lo, s0
	v_dual_mov_b32 v15, v3 :: v_dual_mov_b32 v14, v2
	v_dual_mov_b32 v13, v1 :: v_dual_mov_b32 v12, v0
	s_mov_b32 s0, exec_lo
	s_waitcnt lgkmcnt(0)
	s_barrier
	buffer_gl0_inv
	v_cmpx_gt_u32_e32 28, v16
	s_cbranch_execz .LBB571_25
; %bb.24:
	v_mul_u32_u24_e32 v12, 28, v16
	s_delay_alu instid0(VALU_DEP_1)
	v_lshlrev_b32_e32 v18, 4, v12
	ds_load_b128 v[12:15], v18
	ds_load_b128 v[18:21], v18 offset:16
	s_waitcnt lgkmcnt(0)
	v_add_f64 v[12:13], v[18:19], v[12:13]
	v_add_f64 v[14:15], v[20:21], v[14:15]
.LBB571_25:
	s_or_b32 exec_lo, exec_lo, s0
	s_branch .LBB571_38
.LBB571_26:
                                        ; implicit-def: $vgpr14_vgpr15
                                        ; implicit-def: $vgpr12_vgpr13
	s_cbranch_execz .LBB571_38
; %bb.27:
	s_mov_b32 s0, exec_lo
	v_cmpx_gt_u32_e32 0x150, v16
	s_cbranch_execz .LBB571_29
; %bb.28:
	ds_load_b128 v[12:15], v17 offset:7168
	ds_load_b128 v[18:21], v17
	s_waitcnt lgkmcnt(0)
	v_add_f64 v[12:13], v[12:13], v[18:19]
	v_add_f64 v[14:15], v[14:15], v[20:21]
	ds_store_b128 v17, v[12:15]
.LBB571_29:
	s_or_b32 exec_lo, exec_lo, s0
	s_delay_alu instid0(SALU_CYCLE_1)
	s_mov_b32 s0, exec_lo
	s_waitcnt lgkmcnt(0)
	s_barrier
	buffer_gl0_inv
	v_cmpx_gt_u32_e32 0xe0, v16
	s_cbranch_execz .LBB571_31
; %bb.30:
	ds_load_b128 v[12:15], v17 offset:3584
	ds_load_b128 v[18:21], v17
	s_waitcnt lgkmcnt(0)
	v_add_f64 v[12:13], v[12:13], v[18:19]
	v_add_f64 v[14:15], v[14:15], v[20:21]
	ds_store_b128 v17, v[12:15]
.LBB571_31:
	s_or_b32 exec_lo, exec_lo, s0
	s_delay_alu instid0(SALU_CYCLE_1)
	s_mov_b32 s0, exec_lo
	s_waitcnt lgkmcnt(0)
	s_barrier
	buffer_gl0_inv
	;; [unrolled: 16-line block ×3, first 2 shown]
	v_cmpx_gt_u32_e32 56, v16
	s_cbranch_execz .LBB571_35
; %bb.34:
	ds_load_b128 v[12:15], v17 offset:896
	ds_load_b128 v[18:21], v17
	s_waitcnt lgkmcnt(0)
	v_add_f64 v[12:13], v[12:13], v[18:19]
	v_add_f64 v[14:15], v[14:15], v[20:21]
	ds_store_b128 v17, v[12:15]
.LBB571_35:
	s_or_b32 exec_lo, exec_lo, s0
	s_delay_alu instid0(SALU_CYCLE_1)
	s_mov_b32 s0, exec_lo
	s_waitcnt lgkmcnt(0)
	buffer_gl0_inv
	v_cmpx_gt_u32_e32 28, v16
	s_cbranch_execz .LBB571_37
; %bb.36:
	ds_load_b128 v[0:3], v17 offset:448
	ds_load_b128 v[12:15], v17
	s_waitcnt lgkmcnt(0)
	v_add_f64 v[0:1], v[0:1], v[12:13]
	v_add_f64 v[2:3], v[2:3], v[14:15]
.LBB571_37:
	s_or_b32 exec_lo, exec_lo, s0
	s_delay_alu instid0(VALU_DEP_1) | instskip(NEXT) | instid1(VALU_DEP_3)
	v_dual_mov_b32 v15, v3 :: v_dual_mov_b32 v14, v2
	v_dual_mov_b32 v13, v1 :: v_dual_mov_b32 v12, v0
.LBB571_38:
	v_cmp_gt_u32_e32 vcc_lo, 28, v16
	s_and_b32 exec_lo, exec_lo, vcc_lo
	s_cbranch_execz .LBB571_43
; %bb.39:
	s_delay_alu instid0(VALU_DEP_2)
	v_mul_f64 v[0:1], v[14:15], -v[10:11]
	v_mul_f64 v[2:3], v[8:9], v[14:15]
	v_cmp_eq_f64_e32 vcc_lo, 0, v[4:5]
	v_cmp_eq_f64_e64 s0, 0, v[6:7]
	s_mul_hi_u32 s1, s12, 0x1c0
	s_mul_i32 s2, s12, 0x1c0
	s_delay_alu instid0(VALU_DEP_4) | instskip(NEXT) | instid1(VALU_DEP_4)
	v_fma_f64 v[0:1], v[8:9], v[12:13], v[0:1]
	v_fma_f64 v[2:3], v[10:11], v[12:13], v[2:3]
	s_delay_alu instid0(VALU_DEP_3) | instskip(SKIP_2) | instid1(SALU_CYCLE_1)
	s_and_b32 s3, vcc_lo, s0
	s_mul_i32 s0, s13, 0x1c0
	s_and_saveexec_b32 s4, s3
	s_xor_b32 s3, exec_lo, s4
	s_cbranch_execz .LBB571_41
; %bb.40:
	s_add_i32 s5, s1, s0
	s_add_u32 s4, s8, s2
	s_addc_u32 s5, s9, s5
                                        ; implicit-def: $vgpr4_vgpr5
                                        ; implicit-def: $vgpr6_vgpr7
	global_store_b128 v17, v[0:3], s[4:5]
                                        ; implicit-def: $vgpr17
                                        ; implicit-def: $vgpr0_vgpr1
.LBB571_41:
	s_and_not1_saveexec_b32 s3, s3
	s_cbranch_execz .LBB571_43
; %bb.42:
	s_add_i32 s1, s1, s0
	s_add_u32 s0, s8, s2
	s_addc_u32 s1, s9, s1
	global_load_b128 v[8:11], v17, s[0:1]
	s_waitcnt vmcnt(0)
	v_fma_f64 v[0:1], v[4:5], v[8:9], v[0:1]
	v_fma_f64 v[2:3], v[6:7], v[8:9], v[2:3]
	s_delay_alu instid0(VALU_DEP_2) | instskip(NEXT) | instid1(VALU_DEP_2)
	v_fma_f64 v[0:1], -v[6:7], v[10:11], v[0:1]
	v_fma_f64 v[2:3], v[4:5], v[10:11], v[2:3]
	global_store_b128 v17, v[0:3], s[0:1]
.LBB571_43:
	s_nop 0
	s_sendmsg sendmsg(MSG_DEALLOC_VGPRS)
	s_endpgm
	.section	.rodata,"a",@progbits
	.p2align	6, 0x0
	.amdhsa_kernel _ZN9rocsparseL20bsrxmvn_17_32_kernelILj28E21rocsparse_complex_numIdEllS1_IfES2_S2_EEvT2_20rocsparse_direction_NS_24const_host_device_scalarIT0_EES4_PKS4_PKT1_SD_SA_PKT3_PKT4_S8_PT5_21rocsparse_index_base_b
		.amdhsa_group_segment_fixed_size 25088
		.amdhsa_private_segment_fixed_size 0
		.amdhsa_kernarg_size 120
		.amdhsa_user_sgpr_count 15
		.amdhsa_user_sgpr_dispatch_ptr 1
		.amdhsa_user_sgpr_queue_ptr 0
		.amdhsa_user_sgpr_kernarg_segment_ptr 1
		.amdhsa_user_sgpr_dispatch_id 0
		.amdhsa_user_sgpr_private_segment_size 0
		.amdhsa_wavefront_size32 1
		.amdhsa_uses_dynamic_stack 0
		.amdhsa_enable_private_segment 0
		.amdhsa_system_sgpr_workgroup_id_x 1
		.amdhsa_system_sgpr_workgroup_id_y 0
		.amdhsa_system_sgpr_workgroup_id_z 0
		.amdhsa_system_sgpr_workgroup_info 0
		.amdhsa_system_vgpr_workitem_id 2
		.amdhsa_next_free_vgpr 27
		.amdhsa_next_free_sgpr 22
		.amdhsa_reserve_vcc 1
		.amdhsa_float_round_mode_32 0
		.amdhsa_float_round_mode_16_64 0
		.amdhsa_float_denorm_mode_32 3
		.amdhsa_float_denorm_mode_16_64 3
		.amdhsa_dx10_clamp 1
		.amdhsa_ieee_mode 1
		.amdhsa_fp16_overflow 0
		.amdhsa_workgroup_processor_mode 1
		.amdhsa_memory_ordered 1
		.amdhsa_forward_progress 0
		.amdhsa_shared_vgpr_count 0
		.amdhsa_exception_fp_ieee_invalid_op 0
		.amdhsa_exception_fp_denorm_src 0
		.amdhsa_exception_fp_ieee_div_zero 0
		.amdhsa_exception_fp_ieee_overflow 0
		.amdhsa_exception_fp_ieee_underflow 0
		.amdhsa_exception_fp_ieee_inexact 0
		.amdhsa_exception_int_div_zero 0
	.end_amdhsa_kernel
	.section	.text._ZN9rocsparseL20bsrxmvn_17_32_kernelILj28E21rocsparse_complex_numIdEllS1_IfES2_S2_EEvT2_20rocsparse_direction_NS_24const_host_device_scalarIT0_EES4_PKS4_PKT1_SD_SA_PKT3_PKT4_S8_PT5_21rocsparse_index_base_b,"axG",@progbits,_ZN9rocsparseL20bsrxmvn_17_32_kernelILj28E21rocsparse_complex_numIdEllS1_IfES2_S2_EEvT2_20rocsparse_direction_NS_24const_host_device_scalarIT0_EES4_PKS4_PKT1_SD_SA_PKT3_PKT4_S8_PT5_21rocsparse_index_base_b,comdat
.Lfunc_end571:
	.size	_ZN9rocsparseL20bsrxmvn_17_32_kernelILj28E21rocsparse_complex_numIdEllS1_IfES2_S2_EEvT2_20rocsparse_direction_NS_24const_host_device_scalarIT0_EES4_PKS4_PKT1_SD_SA_PKT3_PKT4_S8_PT5_21rocsparse_index_base_b, .Lfunc_end571-_ZN9rocsparseL20bsrxmvn_17_32_kernelILj28E21rocsparse_complex_numIdEllS1_IfES2_S2_EEvT2_20rocsparse_direction_NS_24const_host_device_scalarIT0_EES4_PKS4_PKT1_SD_SA_PKT3_PKT4_S8_PT5_21rocsparse_index_base_b
                                        ; -- End function
	.section	.AMDGPU.csdata,"",@progbits
; Kernel info:
; codeLenInByte = 2080
; NumSgprs: 24
; NumVgprs: 27
; ScratchSize: 0
; MemoryBound: 0
; FloatMode: 240
; IeeeMode: 1
; LDSByteSize: 25088 bytes/workgroup (compile time only)
; SGPRBlocks: 2
; VGPRBlocks: 3
; NumSGPRsForWavesPerEU: 24
; NumVGPRsForWavesPerEU: 27
; Occupancy: 13
; WaveLimiterHint : 1
; COMPUTE_PGM_RSRC2:SCRATCH_EN: 0
; COMPUTE_PGM_RSRC2:USER_SGPR: 15
; COMPUTE_PGM_RSRC2:TRAP_HANDLER: 0
; COMPUTE_PGM_RSRC2:TGID_X_EN: 1
; COMPUTE_PGM_RSRC2:TGID_Y_EN: 0
; COMPUTE_PGM_RSRC2:TGID_Z_EN: 0
; COMPUTE_PGM_RSRC2:TIDIG_COMP_CNT: 2
	.section	.text._ZN9rocsparseL20bsrxmvn_17_32_kernelILj29E21rocsparse_complex_numIdEllS1_IfES2_S2_EEvT2_20rocsparse_direction_NS_24const_host_device_scalarIT0_EES4_PKS4_PKT1_SD_SA_PKT3_PKT4_S8_PT5_21rocsparse_index_base_b,"axG",@progbits,_ZN9rocsparseL20bsrxmvn_17_32_kernelILj29E21rocsparse_complex_numIdEllS1_IfES2_S2_EEvT2_20rocsparse_direction_NS_24const_host_device_scalarIT0_EES4_PKS4_PKT1_SD_SA_PKT3_PKT4_S8_PT5_21rocsparse_index_base_b,comdat
	.globl	_ZN9rocsparseL20bsrxmvn_17_32_kernelILj29E21rocsparse_complex_numIdEllS1_IfES2_S2_EEvT2_20rocsparse_direction_NS_24const_host_device_scalarIT0_EES4_PKS4_PKT1_SD_SA_PKT3_PKT4_S8_PT5_21rocsparse_index_base_b ; -- Begin function _ZN9rocsparseL20bsrxmvn_17_32_kernelILj29E21rocsparse_complex_numIdEllS1_IfES2_S2_EEvT2_20rocsparse_direction_NS_24const_host_device_scalarIT0_EES4_PKS4_PKT1_SD_SA_PKT3_PKT4_S8_PT5_21rocsparse_index_base_b
	.p2align	8
	.type	_ZN9rocsparseL20bsrxmvn_17_32_kernelILj29E21rocsparse_complex_numIdEllS1_IfES2_S2_EEvT2_20rocsparse_direction_NS_24const_host_device_scalarIT0_EES4_PKS4_PKT1_SD_SA_PKT3_PKT4_S8_PT5_21rocsparse_index_base_b,@function
_ZN9rocsparseL20bsrxmvn_17_32_kernelILj29E21rocsparse_complex_numIdEllS1_IfES2_S2_EEvT2_20rocsparse_direction_NS_24const_host_device_scalarIT0_EES4_PKS4_PKT1_SD_SA_PKT3_PKT4_S8_PT5_21rocsparse_index_base_b: ; @_ZN9rocsparseL20bsrxmvn_17_32_kernelILj29E21rocsparse_complex_numIdEllS1_IfES2_S2_EEvT2_20rocsparse_direction_NS_24const_host_device_scalarIT0_EES4_PKS4_PKT1_SD_SA_PKT3_PKT4_S8_PT5_21rocsparse_index_base_b
; %bb.0:
	s_mov_b32 s12, s15
	s_clause 0x1
	s_load_b64 s[14:15], s[2:3], 0x70
	s_load_b128 s[4:7], s[2:3], 0x10
	s_load_b64 s[16:17], s[0:1], 0x4
	s_mov_b64 s[0:1], src_shared_base
	v_and_b32_e32 v16, 0x3ff, v0
	s_load_b128 s[8:11], s[2:3], 0x58
	v_bfe_u32 v2, v0, 10, 10
	v_bfe_u32 v0, v0, 20, 10
	s_waitcnt lgkmcnt(0)
	s_bitcmp1_b32 s15, 0
	v_mov_b32_e32 v11, s7
	s_cselect_b32 s0, -1, 0
	v_mov_b32_e32 v10, s6
	s_and_b32 vcc_lo, s0, exec_lo
	s_cselect_b32 s13, s1, s5
	s_lshr_b32 s15, s16, 16
	s_xor_b32 s6, s0, -1
	s_mul_i32 s15, s15, s17
	v_mov_b32_e32 v5, s13
	v_mul_lo_u32 v1, s15, v16
	s_delay_alu instid0(VALU_DEP_1) | instskip(SKIP_1) | instid1(VALU_DEP_2)
	v_mad_u32_u24 v1, v2, s17, v1
	v_dual_mov_b32 v2, s8 :: v_dual_mov_b32 v3, s9
	v_add_lshl_u32 v6, v1, v0, 3
	v_dual_mov_b32 v0, s4 :: v_dual_mov_b32 v1, s5
	ds_store_b64 v6, v[0:1] offset:20184
	ds_store_b64 v6, v[2:3] offset:13456
	v_add_nc_u32_e32 v4, 0x4ed8, v6
	v_add_nc_u32_e32 v0, 0x3490, v6
	s_delay_alu instid0(VALU_DEP_2)
	v_cndmask_b32_e64 v4, s4, v4, s0
	flat_load_b64 v[8:9], v[4:5]
	s_cbranch_vccnz .LBB572_2
; %bb.1:
	v_dual_mov_b32 v1, s4 :: v_dual_mov_b32 v2, s5
	flat_load_b64 v[10:11], v[1:2] offset:8
.LBB572_2:
	s_and_b32 s4, s0, exec_lo
	s_cselect_b32 s1, s1, s9
	v_cndmask_b32_e64 v0, s8, v0, s0
	v_dual_mov_b32 v1, s1 :: v_dual_mov_b32 v6, s10
	v_mov_b32_e32 v7, s11
	s_and_not1_b32 vcc_lo, exec_lo, s6
	flat_load_b64 v[4:5], v[0:1]
	s_cbranch_vccnz .LBB572_4
; %bb.3:
	v_dual_mov_b32 v0, s8 :: v_dual_mov_b32 v1, s9
	flat_load_b64 v[6:7], v[0:1] offset:8
.LBB572_4:
	s_waitcnt vmcnt(1) lgkmcnt(1)
	v_cmp_eq_f64_e32 vcc_lo, 0, v[8:9]
	v_cmp_eq_f64_e64 s0, 0, v[10:11]
	s_delay_alu instid0(VALU_DEP_1)
	s_and_b32 s4, vcc_lo, s0
	s_mov_b32 s0, -1
	s_and_saveexec_b32 s1, s4
	s_cbranch_execz .LBB572_6
; %bb.5:
	s_waitcnt vmcnt(0) lgkmcnt(0)
	v_cmp_neq_f64_e32 vcc_lo, 1.0, v[4:5]
	v_cmp_neq_f64_e64 s0, 0, v[6:7]
	s_delay_alu instid0(VALU_DEP_1) | instskip(NEXT) | instid1(SALU_CYCLE_1)
	s_or_b32 s0, vcc_lo, s0
	s_or_not1_b32 s0, s0, exec_lo
.LBB572_6:
	s_or_b32 exec_lo, exec_lo, s1
	s_and_saveexec_b32 s1, s0
	s_cbranch_execz .LBB572_43
; %bb.7:
	s_clause 0x1
	s_load_b128 s[4:7], s[2:3], 0x28
	s_load_b64 s[8:9], s[2:3], 0x38
	s_mov_b32 s13, 0
	s_delay_alu instid0(SALU_CYCLE_1)
	s_mov_b32 s15, s13
	s_waitcnt lgkmcnt(0)
	s_cmp_eq_u64 s[4:5], 0
	s_cbranch_scc1 .LBB572_9
; %bb.8:
	s_lshl_b64 s[0:1], s[12:13], 3
	s_delay_alu instid0(SALU_CYCLE_1)
	s_add_u32 s0, s4, s0
	s_addc_u32 s1, s5, s1
	s_load_b64 s[0:1], s[0:1], 0x0
	s_waitcnt lgkmcnt(0)
	s_sub_u32 s12, s0, s14
	s_subb_u32 s13, s1, 0
.LBB572_9:
	s_load_b32 s1, s[2:3], 0x8
	v_mul_u32_u24_e32 v0, 0x8d4, v16
	v_mov_b32_e32 v2, 0
	v_mov_b32_e32 v3, 0
	s_delay_alu instid0(VALU_DEP_3) | instskip(NEXT) | instid1(VALU_DEP_1)
	v_lshrrev_b32_e32 v12, 16, v0
	v_mul_lo_u16 v0, v12, 29
	s_delay_alu instid0(VALU_DEP_1) | instskip(NEXT) | instid1(VALU_DEP_4)
	v_sub_nc_u16 v18, v16, v0
	v_dual_mov_b32 v0, v2 :: v_dual_mov_b32 v1, v3
	s_waitcnt lgkmcnt(0)
	s_cmp_eq_u32 s1, 1
	s_cselect_b32 s0, -1, 0
	s_cmp_lg_u32 s1, 1
	s_cselect_b32 s18, -1, 0
	s_lshl_b64 s[4:5], s[12:13], 3
	s_delay_alu instid0(SALU_CYCLE_1)
	s_add_u32 s6, s6, s4
	s_addc_u32 s7, s7, s5
	s_add_u32 s1, s6, 8
	s_addc_u32 s10, s7, 0
	;; [unrolled: 2-line block ×3, first 2 shown]
	s_cmp_eq_u64 s[8:9], 0
	s_load_b64 s[8:9], s[2:3], 0x68
	s_cselect_b32 s5, s10, s5
	s_cselect_b32 s4, s1, s4
	s_load_b64 s[10:11], s[6:7], 0x0
	s_load_b64 s[16:17], s[4:5], 0x0
	s_waitcnt lgkmcnt(0)
	v_cmp_ge_i64_e64 s1, s[10:11], s[16:17]
	s_delay_alu instid0(VALU_DEP_1)
	s_and_b32 vcc_lo, exec_lo, s1
	s_cbranch_vccnz .LBB572_14
; %bb.10:
	s_clause 0x1
	s_load_b64 s[20:21], s[2:3], 0x50
	s_load_b128 s[4:7], s[2:3], 0x40
	v_and_b32_e32 v0, 0xffff, v18
	v_dual_mov_b32 v2, 0 :: v_dual_and_b32 v1, 0xffff, v12
	v_mov_b32_e32 v3, 0
	s_sub_u32 s2, s16, s14
	s_subb_u32 s3, s17, 0
	s_delay_alu instid0(VALU_DEP_2)
	v_cndmask_b32_e64 v0, v0, v1, s0
	s_sub_u32 s0, s10, s14
	s_subb_u32 s1, s11, 0
	s_mul_hi_u32 s16, s0, 0x1a48
	s_mul_i32 s17, s1, 0x1a48
	v_lshlrev_b32_e32 v0, 4, v0
	v_lshlrev_b32_e32 v14, 3, v16
	s_mul_i32 s19, s0, 0x1a48
	s_add_i32 s16, s16, s17
	s_waitcnt lgkmcnt(0)
	v_add_co_u32 v12, s17, s20, v0
	s_delay_alu instid0(VALU_DEP_1)
	v_add_co_ci_u32_e64 v13, null, s21, 0, s17
	s_add_u32 s17, s6, s19
	v_dual_mov_b32 v0, v2 :: v_dual_mov_b32 v1, v3
	s_addc_u32 s16, s7, s16
	s_lshl_b64 s[6:7], s[10:11], 3
	s_lshl_b64 s[10:11], s[14:15], 3
	v_add_co_u32 v14, s15, s17, v14
	s_delay_alu instid0(VALU_DEP_1)
	v_add_co_ci_u32_e64 v15, null, s16, 0, s15
	s_sub_u32 s6, s6, s10
	s_subb_u32 s7, s7, s11
	s_add_u32 s4, s4, s6
	s_addc_u32 s5, s5, s7
	s_set_inst_prefetch_distance 0x1
	s_branch .LBB572_12
	.p2align	6
.LBB572_11:                             ;   in Loop: Header=BB572_12 Depth=1
	s_add_u32 s0, s0, 1
	s_addc_u32 s1, s1, 0
	s_add_u32 s4, s4, 8
	v_cmp_lt_i64_e64 s6, s[0:1], s[2:3]
	s_addc_u32 s5, s5, 0
	s_delay_alu instid0(VALU_DEP_1)
	s_and_b32 vcc_lo, exec_lo, s6
	s_cbranch_vccz .LBB572_14
.LBB572_12:                             ; =>This Inner Loop Header: Depth=1
	v_cmp_ge_i64_e64 s6, s[0:1], s[2:3]
	s_delay_alu instid0(VALU_DEP_1)
	s_and_b32 vcc_lo, exec_lo, s6
	s_cbranch_vccnz .LBB572_11
; %bb.13:                               ;   in Loop: Header=BB572_12 Depth=1
	s_load_b64 s[6:7], s[4:5], 0x0
	global_load_b64 v[23:24], v[14:15], off
	v_add_co_u32 v14, vcc_lo, 0x1a48, v14
	v_add_co_ci_u32_e32 v15, vcc_lo, 0, v15, vcc_lo
	s_waitcnt lgkmcnt(0)
	s_sub_u32 s6, s6, s14
	s_delay_alu instid0(SALU_CYCLE_1) | instskip(SKIP_1) | instid1(VALU_DEP_1)
	v_mad_u64_u32 v[19:20], null, 0x1d0, s6, v[12:13]
	s_subb_u32 s6, s7, 0
	v_mov_b32_e32 v17, v20
	s_delay_alu instid0(VALU_DEP_1)
	v_mad_u64_u32 v[20:21], null, 0x1d0, s6, v[17:18]
	global_load_b128 v[19:22], v[19:20], off
	s_waitcnt vmcnt(1)
	v_cvt_f64_f32_e32 v[25:26], v23
	v_cvt_f64_f32_e32 v[23:24], v24
	s_waitcnt vmcnt(0)
	s_delay_alu instid0(VALU_DEP_2) | instskip(NEXT) | instid1(VALU_DEP_2)
	v_fma_f64 v[0:1], v[25:26], v[19:20], v[0:1]
	v_fma_f64 v[2:3], v[23:24], v[19:20], v[2:3]
	s_delay_alu instid0(VALU_DEP_2) | instskip(NEXT) | instid1(VALU_DEP_2)
	v_fma_f64 v[0:1], -v[23:24], v[21:22], v[0:1]
	v_fma_f64 v[2:3], v[25:26], v[21:22], v[2:3]
	s_branch .LBB572_11
.LBB572_14:
	s_set_inst_prefetch_distance 0x2
	v_lshlrev_b32_e32 v17, 4, v16
	s_and_b32 vcc_lo, exec_lo, s18
	ds_store_b128 v17, v[0:3]
	s_waitcnt vmcnt(0) lgkmcnt(0)
	s_barrier
	buffer_gl0_inv
	s_cbranch_vccz .LBB572_26
; %bb.15:
	s_mov_b32 s0, exec_lo
	v_cmpx_gt_u16_e32 13, v18
	s_cbranch_execz .LBB572_17
; %bb.16:
	ds_load_b128 v[12:15], v17 offset:256
	ds_load_b128 v[19:22], v17
	s_waitcnt lgkmcnt(0)
	v_add_f64 v[12:13], v[12:13], v[19:20]
	v_add_f64 v[14:15], v[14:15], v[21:22]
	ds_store_b128 v17, v[12:15]
.LBB572_17:
	s_or_b32 exec_lo, exec_lo, s0
	s_delay_alu instid0(SALU_CYCLE_1)
	s_mov_b32 s0, exec_lo
	s_waitcnt lgkmcnt(0)
	s_barrier
	buffer_gl0_inv
	v_cmpx_gt_u16_e32 8, v18
	s_cbranch_execz .LBB572_19
; %bb.18:
	ds_load_b128 v[12:15], v17 offset:128
	ds_load_b128 v[19:22], v17
	s_waitcnt lgkmcnt(0)
	v_add_f64 v[12:13], v[12:13], v[19:20]
	v_add_f64 v[14:15], v[14:15], v[21:22]
	ds_store_b128 v17, v[12:15]
.LBB572_19:
	s_or_b32 exec_lo, exec_lo, s0
	s_delay_alu instid0(SALU_CYCLE_1)
	s_mov_b32 s0, exec_lo
	s_waitcnt lgkmcnt(0)
	s_barrier
	buffer_gl0_inv
	;; [unrolled: 16-line block ×3, first 2 shown]
	v_cmpx_gt_u16_e32 2, v18
	s_cbranch_execz .LBB572_23
; %bb.22:
	ds_load_b128 v[12:15], v17
	ds_load_b128 v[18:21], v17 offset:32
	s_waitcnt lgkmcnt(0)
	v_add_f64 v[12:13], v[18:19], v[12:13]
	v_add_f64 v[14:15], v[20:21], v[14:15]
	ds_store_b128 v17, v[12:15]
.LBB572_23:
	s_or_b32 exec_lo, exec_lo, s0
	v_dual_mov_b32 v15, v3 :: v_dual_mov_b32 v14, v2
	v_dual_mov_b32 v13, v1 :: v_dual_mov_b32 v12, v0
	s_mov_b32 s0, exec_lo
	s_waitcnt lgkmcnt(0)
	s_barrier
	buffer_gl0_inv
	v_cmpx_gt_u32_e32 29, v16
	s_cbranch_execz .LBB572_25
; %bb.24:
	v_mul_u32_u24_e32 v12, 29, v16
	s_delay_alu instid0(VALU_DEP_1)
	v_lshlrev_b32_e32 v18, 4, v12
	ds_load_b128 v[12:15], v18
	ds_load_b128 v[18:21], v18 offset:16
	s_waitcnt lgkmcnt(0)
	v_add_f64 v[12:13], v[18:19], v[12:13]
	v_add_f64 v[14:15], v[20:21], v[14:15]
.LBB572_25:
	s_or_b32 exec_lo, exec_lo, s0
	s_branch .LBB572_38
.LBB572_26:
                                        ; implicit-def: $vgpr14_vgpr15
                                        ; implicit-def: $vgpr12_vgpr13
	s_cbranch_execz .LBB572_38
; %bb.27:
	s_mov_b32 s0, exec_lo
	v_cmpx_gt_u32_e32 0x179, v16
	s_cbranch_execz .LBB572_29
; %bb.28:
	ds_load_b128 v[12:15], v17 offset:7424
	ds_load_b128 v[18:21], v17
	s_waitcnt lgkmcnt(0)
	v_add_f64 v[12:13], v[12:13], v[18:19]
	v_add_f64 v[14:15], v[14:15], v[20:21]
	ds_store_b128 v17, v[12:15]
.LBB572_29:
	s_or_b32 exec_lo, exec_lo, s0
	s_delay_alu instid0(SALU_CYCLE_1)
	s_mov_b32 s0, exec_lo
	s_waitcnt lgkmcnt(0)
	s_barrier
	buffer_gl0_inv
	v_cmpx_gt_u32_e32 0xe8, v16
	s_cbranch_execz .LBB572_31
; %bb.30:
	ds_load_b128 v[12:15], v17 offset:3712
	ds_load_b128 v[18:21], v17
	s_waitcnt lgkmcnt(0)
	v_add_f64 v[12:13], v[12:13], v[18:19]
	v_add_f64 v[14:15], v[14:15], v[20:21]
	ds_store_b128 v17, v[12:15]
.LBB572_31:
	s_or_b32 exec_lo, exec_lo, s0
	s_delay_alu instid0(SALU_CYCLE_1)
	s_mov_b32 s0, exec_lo
	s_waitcnt lgkmcnt(0)
	s_barrier
	buffer_gl0_inv
	;; [unrolled: 16-line block ×3, first 2 shown]
	v_cmpx_gt_u32_e32 58, v16
	s_cbranch_execz .LBB572_35
; %bb.34:
	ds_load_b128 v[12:15], v17 offset:928
	ds_load_b128 v[18:21], v17
	s_waitcnt lgkmcnt(0)
	v_add_f64 v[12:13], v[12:13], v[18:19]
	v_add_f64 v[14:15], v[14:15], v[20:21]
	ds_store_b128 v17, v[12:15]
.LBB572_35:
	s_or_b32 exec_lo, exec_lo, s0
	s_delay_alu instid0(SALU_CYCLE_1)
	s_mov_b32 s0, exec_lo
	s_waitcnt lgkmcnt(0)
	buffer_gl0_inv
	v_cmpx_gt_u32_e32 29, v16
	s_cbranch_execz .LBB572_37
; %bb.36:
	ds_load_b128 v[0:3], v17 offset:464
	ds_load_b128 v[12:15], v17
	s_waitcnt lgkmcnt(0)
	v_add_f64 v[0:1], v[0:1], v[12:13]
	v_add_f64 v[2:3], v[2:3], v[14:15]
.LBB572_37:
	s_or_b32 exec_lo, exec_lo, s0
	s_delay_alu instid0(VALU_DEP_1) | instskip(NEXT) | instid1(VALU_DEP_3)
	v_dual_mov_b32 v15, v3 :: v_dual_mov_b32 v14, v2
	v_dual_mov_b32 v13, v1 :: v_dual_mov_b32 v12, v0
.LBB572_38:
	v_cmp_gt_u32_e32 vcc_lo, 29, v16
	s_and_b32 exec_lo, exec_lo, vcc_lo
	s_cbranch_execz .LBB572_43
; %bb.39:
	s_delay_alu instid0(VALU_DEP_2)
	v_mul_f64 v[0:1], v[14:15], -v[10:11]
	v_mul_f64 v[2:3], v[8:9], v[14:15]
	v_cmp_eq_f64_e32 vcc_lo, 0, v[4:5]
	v_cmp_eq_f64_e64 s0, 0, v[6:7]
	s_mul_hi_u32 s1, s12, 0x1d0
	s_mul_i32 s2, s12, 0x1d0
	s_delay_alu instid0(VALU_DEP_4) | instskip(NEXT) | instid1(VALU_DEP_4)
	v_fma_f64 v[0:1], v[8:9], v[12:13], v[0:1]
	v_fma_f64 v[2:3], v[10:11], v[12:13], v[2:3]
	s_delay_alu instid0(VALU_DEP_3) | instskip(SKIP_2) | instid1(SALU_CYCLE_1)
	s_and_b32 s3, vcc_lo, s0
	s_mul_i32 s0, s13, 0x1d0
	s_and_saveexec_b32 s4, s3
	s_xor_b32 s3, exec_lo, s4
	s_cbranch_execz .LBB572_41
; %bb.40:
	s_add_i32 s5, s1, s0
	s_add_u32 s4, s8, s2
	s_addc_u32 s5, s9, s5
                                        ; implicit-def: $vgpr4_vgpr5
                                        ; implicit-def: $vgpr6_vgpr7
	global_store_b128 v17, v[0:3], s[4:5]
                                        ; implicit-def: $vgpr17
                                        ; implicit-def: $vgpr0_vgpr1
.LBB572_41:
	s_and_not1_saveexec_b32 s3, s3
	s_cbranch_execz .LBB572_43
; %bb.42:
	s_add_i32 s1, s1, s0
	s_add_u32 s0, s8, s2
	s_addc_u32 s1, s9, s1
	global_load_b128 v[8:11], v17, s[0:1]
	s_waitcnt vmcnt(0)
	v_fma_f64 v[0:1], v[4:5], v[8:9], v[0:1]
	v_fma_f64 v[2:3], v[6:7], v[8:9], v[2:3]
	s_delay_alu instid0(VALU_DEP_2) | instskip(NEXT) | instid1(VALU_DEP_2)
	v_fma_f64 v[0:1], -v[6:7], v[10:11], v[0:1]
	v_fma_f64 v[2:3], v[4:5], v[10:11], v[2:3]
	global_store_b128 v17, v[0:3], s[0:1]
.LBB572_43:
	s_nop 0
	s_sendmsg sendmsg(MSG_DEALLOC_VGPRS)
	s_endpgm
	.section	.rodata,"a",@progbits
	.p2align	6, 0x0
	.amdhsa_kernel _ZN9rocsparseL20bsrxmvn_17_32_kernelILj29E21rocsparse_complex_numIdEllS1_IfES2_S2_EEvT2_20rocsparse_direction_NS_24const_host_device_scalarIT0_EES4_PKS4_PKT1_SD_SA_PKT3_PKT4_S8_PT5_21rocsparse_index_base_b
		.amdhsa_group_segment_fixed_size 26912
		.amdhsa_private_segment_fixed_size 0
		.amdhsa_kernarg_size 120
		.amdhsa_user_sgpr_count 15
		.amdhsa_user_sgpr_dispatch_ptr 1
		.amdhsa_user_sgpr_queue_ptr 0
		.amdhsa_user_sgpr_kernarg_segment_ptr 1
		.amdhsa_user_sgpr_dispatch_id 0
		.amdhsa_user_sgpr_private_segment_size 0
		.amdhsa_wavefront_size32 1
		.amdhsa_uses_dynamic_stack 0
		.amdhsa_enable_private_segment 0
		.amdhsa_system_sgpr_workgroup_id_x 1
		.amdhsa_system_sgpr_workgroup_id_y 0
		.amdhsa_system_sgpr_workgroup_id_z 0
		.amdhsa_system_sgpr_workgroup_info 0
		.amdhsa_system_vgpr_workitem_id 2
		.amdhsa_next_free_vgpr 27
		.amdhsa_next_free_sgpr 22
		.amdhsa_reserve_vcc 1
		.amdhsa_float_round_mode_32 0
		.amdhsa_float_round_mode_16_64 0
		.amdhsa_float_denorm_mode_32 3
		.amdhsa_float_denorm_mode_16_64 3
		.amdhsa_dx10_clamp 1
		.amdhsa_ieee_mode 1
		.amdhsa_fp16_overflow 0
		.amdhsa_workgroup_processor_mode 1
		.amdhsa_memory_ordered 1
		.amdhsa_forward_progress 0
		.amdhsa_shared_vgpr_count 0
		.amdhsa_exception_fp_ieee_invalid_op 0
		.amdhsa_exception_fp_denorm_src 0
		.amdhsa_exception_fp_ieee_div_zero 0
		.amdhsa_exception_fp_ieee_overflow 0
		.amdhsa_exception_fp_ieee_underflow 0
		.amdhsa_exception_fp_ieee_inexact 0
		.amdhsa_exception_int_div_zero 0
	.end_amdhsa_kernel
	.section	.text._ZN9rocsparseL20bsrxmvn_17_32_kernelILj29E21rocsparse_complex_numIdEllS1_IfES2_S2_EEvT2_20rocsparse_direction_NS_24const_host_device_scalarIT0_EES4_PKS4_PKT1_SD_SA_PKT3_PKT4_S8_PT5_21rocsparse_index_base_b,"axG",@progbits,_ZN9rocsparseL20bsrxmvn_17_32_kernelILj29E21rocsparse_complex_numIdEllS1_IfES2_S2_EEvT2_20rocsparse_direction_NS_24const_host_device_scalarIT0_EES4_PKS4_PKT1_SD_SA_PKT3_PKT4_S8_PT5_21rocsparse_index_base_b,comdat
.Lfunc_end572:
	.size	_ZN9rocsparseL20bsrxmvn_17_32_kernelILj29E21rocsparse_complex_numIdEllS1_IfES2_S2_EEvT2_20rocsparse_direction_NS_24const_host_device_scalarIT0_EES4_PKS4_PKT1_SD_SA_PKT3_PKT4_S8_PT5_21rocsparse_index_base_b, .Lfunc_end572-_ZN9rocsparseL20bsrxmvn_17_32_kernelILj29E21rocsparse_complex_numIdEllS1_IfES2_S2_EEvT2_20rocsparse_direction_NS_24const_host_device_scalarIT0_EES4_PKS4_PKT1_SD_SA_PKT3_PKT4_S8_PT5_21rocsparse_index_base_b
                                        ; -- End function
	.section	.AMDGPU.csdata,"",@progbits
; Kernel info:
; codeLenInByte = 2080
; NumSgprs: 24
; NumVgprs: 27
; ScratchSize: 0
; MemoryBound: 0
; FloatMode: 240
; IeeeMode: 1
; LDSByteSize: 26912 bytes/workgroup (compile time only)
; SGPRBlocks: 2
; VGPRBlocks: 3
; NumSGPRsForWavesPerEU: 24
; NumVGPRsForWavesPerEU: 27
; Occupancy: 14
; WaveLimiterHint : 1
; COMPUTE_PGM_RSRC2:SCRATCH_EN: 0
; COMPUTE_PGM_RSRC2:USER_SGPR: 15
; COMPUTE_PGM_RSRC2:TRAP_HANDLER: 0
; COMPUTE_PGM_RSRC2:TGID_X_EN: 1
; COMPUTE_PGM_RSRC2:TGID_Y_EN: 0
; COMPUTE_PGM_RSRC2:TGID_Z_EN: 0
; COMPUTE_PGM_RSRC2:TIDIG_COMP_CNT: 2
	.section	.text._ZN9rocsparseL20bsrxmvn_17_32_kernelILj30E21rocsparse_complex_numIdEllS1_IfES2_S2_EEvT2_20rocsparse_direction_NS_24const_host_device_scalarIT0_EES4_PKS4_PKT1_SD_SA_PKT3_PKT4_S8_PT5_21rocsparse_index_base_b,"axG",@progbits,_ZN9rocsparseL20bsrxmvn_17_32_kernelILj30E21rocsparse_complex_numIdEllS1_IfES2_S2_EEvT2_20rocsparse_direction_NS_24const_host_device_scalarIT0_EES4_PKS4_PKT1_SD_SA_PKT3_PKT4_S8_PT5_21rocsparse_index_base_b,comdat
	.globl	_ZN9rocsparseL20bsrxmvn_17_32_kernelILj30E21rocsparse_complex_numIdEllS1_IfES2_S2_EEvT2_20rocsparse_direction_NS_24const_host_device_scalarIT0_EES4_PKS4_PKT1_SD_SA_PKT3_PKT4_S8_PT5_21rocsparse_index_base_b ; -- Begin function _ZN9rocsparseL20bsrxmvn_17_32_kernelILj30E21rocsparse_complex_numIdEllS1_IfES2_S2_EEvT2_20rocsparse_direction_NS_24const_host_device_scalarIT0_EES4_PKS4_PKT1_SD_SA_PKT3_PKT4_S8_PT5_21rocsparse_index_base_b
	.p2align	8
	.type	_ZN9rocsparseL20bsrxmvn_17_32_kernelILj30E21rocsparse_complex_numIdEllS1_IfES2_S2_EEvT2_20rocsparse_direction_NS_24const_host_device_scalarIT0_EES4_PKS4_PKT1_SD_SA_PKT3_PKT4_S8_PT5_21rocsparse_index_base_b,@function
_ZN9rocsparseL20bsrxmvn_17_32_kernelILj30E21rocsparse_complex_numIdEllS1_IfES2_S2_EEvT2_20rocsparse_direction_NS_24const_host_device_scalarIT0_EES4_PKS4_PKT1_SD_SA_PKT3_PKT4_S8_PT5_21rocsparse_index_base_b: ; @_ZN9rocsparseL20bsrxmvn_17_32_kernelILj30E21rocsparse_complex_numIdEllS1_IfES2_S2_EEvT2_20rocsparse_direction_NS_24const_host_device_scalarIT0_EES4_PKS4_PKT1_SD_SA_PKT3_PKT4_S8_PT5_21rocsparse_index_base_b
; %bb.0:
	s_mov_b32 s12, s15
	s_clause 0x1
	s_load_b64 s[14:15], s[2:3], 0x70
	s_load_b128 s[4:7], s[2:3], 0x10
	s_load_b64 s[16:17], s[0:1], 0x4
	s_mov_b64 s[0:1], src_shared_base
	v_and_b32_e32 v16, 0x3ff, v0
	s_load_b128 s[8:11], s[2:3], 0x58
	v_bfe_u32 v2, v0, 10, 10
	v_bfe_u32 v0, v0, 20, 10
	s_waitcnt lgkmcnt(0)
	s_bitcmp1_b32 s15, 0
	v_mov_b32_e32 v11, s7
	s_cselect_b32 s0, -1, 0
	v_mov_b32_e32 v10, s6
	s_and_b32 vcc_lo, s0, exec_lo
	s_cselect_b32 s13, s1, s5
	s_lshr_b32 s15, s16, 16
	s_xor_b32 s6, s0, -1
	s_mul_i32 s15, s15, s17
	v_mov_b32_e32 v5, s13
	v_mul_lo_u32 v1, s15, v16
	s_delay_alu instid0(VALU_DEP_1) | instskip(SKIP_1) | instid1(VALU_DEP_2)
	v_mad_u32_u24 v1, v2, s17, v1
	v_dual_mov_b32 v2, s8 :: v_dual_mov_b32 v3, s9
	v_add_lshl_u32 v6, v1, v0, 3
	v_dual_mov_b32 v0, s4 :: v_dual_mov_b32 v1, s5
	ds_store_b64 v6, v[0:1] offset:21600
	ds_store_b64 v6, v[2:3] offset:14400
	v_add_nc_u32_e32 v4, 0x5460, v6
	v_add_nc_u32_e32 v0, 0x3840, v6
	s_delay_alu instid0(VALU_DEP_2)
	v_cndmask_b32_e64 v4, s4, v4, s0
	flat_load_b64 v[8:9], v[4:5]
	s_cbranch_vccnz .LBB573_2
; %bb.1:
	v_dual_mov_b32 v1, s4 :: v_dual_mov_b32 v2, s5
	flat_load_b64 v[10:11], v[1:2] offset:8
.LBB573_2:
	s_and_b32 s4, s0, exec_lo
	s_cselect_b32 s1, s1, s9
	v_cndmask_b32_e64 v0, s8, v0, s0
	v_dual_mov_b32 v1, s1 :: v_dual_mov_b32 v6, s10
	v_mov_b32_e32 v7, s11
	s_and_not1_b32 vcc_lo, exec_lo, s6
	flat_load_b64 v[4:5], v[0:1]
	s_cbranch_vccnz .LBB573_4
; %bb.3:
	v_dual_mov_b32 v0, s8 :: v_dual_mov_b32 v1, s9
	flat_load_b64 v[6:7], v[0:1] offset:8
.LBB573_4:
	s_waitcnt vmcnt(1) lgkmcnt(1)
	v_cmp_eq_f64_e32 vcc_lo, 0, v[8:9]
	v_cmp_eq_f64_e64 s0, 0, v[10:11]
	s_delay_alu instid0(VALU_DEP_1)
	s_and_b32 s4, vcc_lo, s0
	s_mov_b32 s0, -1
	s_and_saveexec_b32 s1, s4
	s_cbranch_execz .LBB573_6
; %bb.5:
	s_waitcnt vmcnt(0) lgkmcnt(0)
	v_cmp_neq_f64_e32 vcc_lo, 1.0, v[4:5]
	v_cmp_neq_f64_e64 s0, 0, v[6:7]
	s_delay_alu instid0(VALU_DEP_1) | instskip(NEXT) | instid1(SALU_CYCLE_1)
	s_or_b32 s0, vcc_lo, s0
	s_or_not1_b32 s0, s0, exec_lo
.LBB573_6:
	s_or_b32 exec_lo, exec_lo, s1
	s_and_saveexec_b32 s1, s0
	s_cbranch_execz .LBB573_43
; %bb.7:
	s_clause 0x1
	s_load_b128 s[4:7], s[2:3], 0x28
	s_load_b64 s[8:9], s[2:3], 0x38
	s_mov_b32 s13, 0
	s_delay_alu instid0(SALU_CYCLE_1)
	s_mov_b32 s15, s13
	s_waitcnt lgkmcnt(0)
	s_cmp_eq_u64 s[4:5], 0
	s_cbranch_scc1 .LBB573_9
; %bb.8:
	s_lshl_b64 s[0:1], s[12:13], 3
	s_delay_alu instid0(SALU_CYCLE_1)
	s_add_u32 s0, s4, s0
	s_addc_u32 s1, s5, s1
	s_load_b64 s[0:1], s[0:1], 0x0
	s_waitcnt lgkmcnt(0)
	s_sub_u32 s12, s0, s14
	s_subb_u32 s13, s1, 0
.LBB573_9:
	s_load_b32 s1, s[2:3], 0x8
	v_mul_u32_u24_e32 v0, 0x889, v16
	v_mov_b32_e32 v2, 0
	v_mov_b32_e32 v3, 0
	s_delay_alu instid0(VALU_DEP_3) | instskip(NEXT) | instid1(VALU_DEP_1)
	v_lshrrev_b32_e32 v12, 16, v0
	v_mul_lo_u16 v0, v12, 30
	s_delay_alu instid0(VALU_DEP_1) | instskip(NEXT) | instid1(VALU_DEP_4)
	v_sub_nc_u16 v18, v16, v0
	v_dual_mov_b32 v0, v2 :: v_dual_mov_b32 v1, v3
	s_waitcnt lgkmcnt(0)
	s_cmp_eq_u32 s1, 1
	s_cselect_b32 s0, -1, 0
	s_cmp_lg_u32 s1, 1
	s_cselect_b32 s18, -1, 0
	s_lshl_b64 s[4:5], s[12:13], 3
	s_delay_alu instid0(SALU_CYCLE_1)
	s_add_u32 s6, s6, s4
	s_addc_u32 s7, s7, s5
	s_add_u32 s1, s6, 8
	s_addc_u32 s10, s7, 0
	;; [unrolled: 2-line block ×3, first 2 shown]
	s_cmp_eq_u64 s[8:9], 0
	s_load_b64 s[8:9], s[2:3], 0x68
	s_cselect_b32 s5, s10, s5
	s_cselect_b32 s4, s1, s4
	s_load_b64 s[10:11], s[6:7], 0x0
	s_load_b64 s[16:17], s[4:5], 0x0
	s_waitcnt lgkmcnt(0)
	v_cmp_ge_i64_e64 s1, s[10:11], s[16:17]
	s_delay_alu instid0(VALU_DEP_1)
	s_and_b32 vcc_lo, exec_lo, s1
	s_cbranch_vccnz .LBB573_14
; %bb.10:
	s_clause 0x1
	s_load_b64 s[20:21], s[2:3], 0x50
	s_load_b128 s[4:7], s[2:3], 0x40
	v_and_b32_e32 v0, 0xffff, v18
	v_dual_mov_b32 v2, 0 :: v_dual_and_b32 v1, 0xffff, v12
	v_mov_b32_e32 v3, 0
	s_sub_u32 s2, s16, s14
	s_subb_u32 s3, s17, 0
	s_delay_alu instid0(VALU_DEP_2)
	v_cndmask_b32_e64 v0, v0, v1, s0
	s_sub_u32 s0, s10, s14
	s_subb_u32 s1, s11, 0
	s_mul_hi_u32 s16, s0, 0x1c20
	s_mul_i32 s17, s1, 0x1c20
	v_lshlrev_b32_e32 v0, 4, v0
	v_lshlrev_b32_e32 v14, 3, v16
	s_mul_i32 s19, s0, 0x1c20
	s_add_i32 s16, s16, s17
	s_waitcnt lgkmcnt(0)
	v_add_co_u32 v12, s17, s20, v0
	s_delay_alu instid0(VALU_DEP_1)
	v_add_co_ci_u32_e64 v13, null, s21, 0, s17
	s_add_u32 s17, s6, s19
	v_dual_mov_b32 v0, v2 :: v_dual_mov_b32 v1, v3
	s_addc_u32 s16, s7, s16
	s_lshl_b64 s[6:7], s[10:11], 3
	s_lshl_b64 s[10:11], s[14:15], 3
	v_add_co_u32 v14, s15, s17, v14
	s_delay_alu instid0(VALU_DEP_1)
	v_add_co_ci_u32_e64 v15, null, s16, 0, s15
	s_sub_u32 s6, s6, s10
	s_subb_u32 s7, s7, s11
	s_add_u32 s4, s4, s6
	s_addc_u32 s5, s5, s7
	s_set_inst_prefetch_distance 0x1
	s_branch .LBB573_12
	.p2align	6
.LBB573_11:                             ;   in Loop: Header=BB573_12 Depth=1
	s_add_u32 s0, s0, 1
	s_addc_u32 s1, s1, 0
	s_add_u32 s4, s4, 8
	v_cmp_lt_i64_e64 s6, s[0:1], s[2:3]
	s_addc_u32 s5, s5, 0
	s_delay_alu instid0(VALU_DEP_1)
	s_and_b32 vcc_lo, exec_lo, s6
	s_cbranch_vccz .LBB573_14
.LBB573_12:                             ; =>This Inner Loop Header: Depth=1
	v_cmp_ge_i64_e64 s6, s[0:1], s[2:3]
	s_delay_alu instid0(VALU_DEP_1)
	s_and_b32 vcc_lo, exec_lo, s6
	s_cbranch_vccnz .LBB573_11
; %bb.13:                               ;   in Loop: Header=BB573_12 Depth=1
	s_load_b64 s[6:7], s[4:5], 0x0
	global_load_b64 v[23:24], v[14:15], off
	v_add_co_u32 v14, vcc_lo, 0x1c20, v14
	v_add_co_ci_u32_e32 v15, vcc_lo, 0, v15, vcc_lo
	s_waitcnt lgkmcnt(0)
	s_sub_u32 s6, s6, s14
	s_delay_alu instid0(SALU_CYCLE_1) | instskip(SKIP_1) | instid1(VALU_DEP_1)
	v_mad_u64_u32 v[19:20], null, 0x1e0, s6, v[12:13]
	s_subb_u32 s6, s7, 0
	v_mov_b32_e32 v17, v20
	s_delay_alu instid0(VALU_DEP_1)
	v_mad_u64_u32 v[20:21], null, 0x1e0, s6, v[17:18]
	global_load_b128 v[19:22], v[19:20], off
	s_waitcnt vmcnt(1)
	v_cvt_f64_f32_e32 v[25:26], v23
	v_cvt_f64_f32_e32 v[23:24], v24
	s_waitcnt vmcnt(0)
	s_delay_alu instid0(VALU_DEP_2) | instskip(NEXT) | instid1(VALU_DEP_2)
	v_fma_f64 v[0:1], v[25:26], v[19:20], v[0:1]
	v_fma_f64 v[2:3], v[23:24], v[19:20], v[2:3]
	s_delay_alu instid0(VALU_DEP_2) | instskip(NEXT) | instid1(VALU_DEP_2)
	v_fma_f64 v[0:1], -v[23:24], v[21:22], v[0:1]
	v_fma_f64 v[2:3], v[25:26], v[21:22], v[2:3]
	s_branch .LBB573_11
.LBB573_14:
	s_set_inst_prefetch_distance 0x2
	v_lshlrev_b32_e32 v17, 4, v16
	s_and_b32 vcc_lo, exec_lo, s18
	ds_store_b128 v17, v[0:3]
	s_waitcnt vmcnt(0) lgkmcnt(0)
	s_barrier
	buffer_gl0_inv
	s_cbranch_vccz .LBB573_26
; %bb.15:
	s_mov_b32 s0, exec_lo
	v_cmpx_gt_u16_e32 14, v18
	s_cbranch_execz .LBB573_17
; %bb.16:
	ds_load_b128 v[12:15], v17 offset:256
	ds_load_b128 v[19:22], v17
	s_waitcnt lgkmcnt(0)
	v_add_f64 v[12:13], v[12:13], v[19:20]
	v_add_f64 v[14:15], v[14:15], v[21:22]
	ds_store_b128 v17, v[12:15]
.LBB573_17:
	s_or_b32 exec_lo, exec_lo, s0
	s_delay_alu instid0(SALU_CYCLE_1)
	s_mov_b32 s0, exec_lo
	s_waitcnt lgkmcnt(0)
	s_barrier
	buffer_gl0_inv
	v_cmpx_gt_u16_e32 8, v18
	s_cbranch_execz .LBB573_19
; %bb.18:
	ds_load_b128 v[12:15], v17 offset:128
	ds_load_b128 v[19:22], v17
	s_waitcnt lgkmcnt(0)
	v_add_f64 v[12:13], v[12:13], v[19:20]
	v_add_f64 v[14:15], v[14:15], v[21:22]
	ds_store_b128 v17, v[12:15]
.LBB573_19:
	s_or_b32 exec_lo, exec_lo, s0
	s_delay_alu instid0(SALU_CYCLE_1)
	s_mov_b32 s0, exec_lo
	s_waitcnt lgkmcnt(0)
	s_barrier
	buffer_gl0_inv
	;; [unrolled: 16-line block ×3, first 2 shown]
	v_cmpx_gt_u16_e32 2, v18
	s_cbranch_execz .LBB573_23
; %bb.22:
	ds_load_b128 v[12:15], v17
	ds_load_b128 v[18:21], v17 offset:32
	s_waitcnt lgkmcnt(0)
	v_add_f64 v[12:13], v[18:19], v[12:13]
	v_add_f64 v[14:15], v[20:21], v[14:15]
	ds_store_b128 v17, v[12:15]
.LBB573_23:
	s_or_b32 exec_lo, exec_lo, s0
	v_dual_mov_b32 v15, v3 :: v_dual_mov_b32 v14, v2
	v_dual_mov_b32 v13, v1 :: v_dual_mov_b32 v12, v0
	s_mov_b32 s0, exec_lo
	s_waitcnt lgkmcnt(0)
	s_barrier
	buffer_gl0_inv
	v_cmpx_gt_u32_e32 30, v16
	s_cbranch_execz .LBB573_25
; %bb.24:
	v_mul_u32_u24_e32 v12, 30, v16
	s_delay_alu instid0(VALU_DEP_1)
	v_lshlrev_b32_e32 v18, 4, v12
	ds_load_b128 v[12:15], v18
	ds_load_b128 v[18:21], v18 offset:16
	s_waitcnt lgkmcnt(0)
	v_add_f64 v[12:13], v[18:19], v[12:13]
	v_add_f64 v[14:15], v[20:21], v[14:15]
.LBB573_25:
	s_or_b32 exec_lo, exec_lo, s0
	s_branch .LBB573_38
.LBB573_26:
                                        ; implicit-def: $vgpr14_vgpr15
                                        ; implicit-def: $vgpr12_vgpr13
	s_cbranch_execz .LBB573_38
; %bb.27:
	s_mov_b32 s0, exec_lo
	v_cmpx_gt_u32_e32 0x1a4, v16
	s_cbranch_execz .LBB573_29
; %bb.28:
	ds_load_b128 v[12:15], v17 offset:7680
	ds_load_b128 v[18:21], v17
	s_waitcnt lgkmcnt(0)
	v_add_f64 v[12:13], v[12:13], v[18:19]
	v_add_f64 v[14:15], v[14:15], v[20:21]
	ds_store_b128 v17, v[12:15]
.LBB573_29:
	s_or_b32 exec_lo, exec_lo, s0
	s_delay_alu instid0(SALU_CYCLE_1)
	s_mov_b32 s0, exec_lo
	s_waitcnt lgkmcnt(0)
	s_barrier
	buffer_gl0_inv
	v_cmpx_gt_u32_e32 0xf0, v16
	s_cbranch_execz .LBB573_31
; %bb.30:
	ds_load_b128 v[12:15], v17 offset:3840
	ds_load_b128 v[18:21], v17
	s_waitcnt lgkmcnt(0)
	v_add_f64 v[12:13], v[12:13], v[18:19]
	v_add_f64 v[14:15], v[14:15], v[20:21]
	ds_store_b128 v17, v[12:15]
.LBB573_31:
	s_or_b32 exec_lo, exec_lo, s0
	s_delay_alu instid0(SALU_CYCLE_1)
	s_mov_b32 s0, exec_lo
	s_waitcnt lgkmcnt(0)
	s_barrier
	buffer_gl0_inv
	;; [unrolled: 16-line block ×3, first 2 shown]
	v_cmpx_gt_u32_e32 60, v16
	s_cbranch_execz .LBB573_35
; %bb.34:
	ds_load_b128 v[12:15], v17 offset:960
	ds_load_b128 v[18:21], v17
	s_waitcnt lgkmcnt(0)
	v_add_f64 v[12:13], v[12:13], v[18:19]
	v_add_f64 v[14:15], v[14:15], v[20:21]
	ds_store_b128 v17, v[12:15]
.LBB573_35:
	s_or_b32 exec_lo, exec_lo, s0
	s_delay_alu instid0(SALU_CYCLE_1)
	s_mov_b32 s0, exec_lo
	s_waitcnt lgkmcnt(0)
	buffer_gl0_inv
	v_cmpx_gt_u32_e32 30, v16
	s_cbranch_execz .LBB573_37
; %bb.36:
	ds_load_b128 v[0:3], v17 offset:480
	ds_load_b128 v[12:15], v17
	s_waitcnt lgkmcnt(0)
	v_add_f64 v[0:1], v[0:1], v[12:13]
	v_add_f64 v[2:3], v[2:3], v[14:15]
.LBB573_37:
	s_or_b32 exec_lo, exec_lo, s0
	s_delay_alu instid0(VALU_DEP_1) | instskip(NEXT) | instid1(VALU_DEP_3)
	v_dual_mov_b32 v15, v3 :: v_dual_mov_b32 v14, v2
	v_dual_mov_b32 v13, v1 :: v_dual_mov_b32 v12, v0
.LBB573_38:
	v_cmp_gt_u32_e32 vcc_lo, 30, v16
	s_and_b32 exec_lo, exec_lo, vcc_lo
	s_cbranch_execz .LBB573_43
; %bb.39:
	s_delay_alu instid0(VALU_DEP_2)
	v_mul_f64 v[0:1], v[14:15], -v[10:11]
	v_mul_f64 v[2:3], v[8:9], v[14:15]
	v_cmp_eq_f64_e32 vcc_lo, 0, v[4:5]
	v_cmp_eq_f64_e64 s0, 0, v[6:7]
	s_mul_hi_u32 s1, s12, 0x1e0
	s_mul_i32 s2, s12, 0x1e0
	s_delay_alu instid0(VALU_DEP_4) | instskip(NEXT) | instid1(VALU_DEP_4)
	v_fma_f64 v[0:1], v[8:9], v[12:13], v[0:1]
	v_fma_f64 v[2:3], v[10:11], v[12:13], v[2:3]
	s_delay_alu instid0(VALU_DEP_3) | instskip(SKIP_2) | instid1(SALU_CYCLE_1)
	s_and_b32 s3, vcc_lo, s0
	s_mul_i32 s0, s13, 0x1e0
	s_and_saveexec_b32 s4, s3
	s_xor_b32 s3, exec_lo, s4
	s_cbranch_execz .LBB573_41
; %bb.40:
	s_add_i32 s5, s1, s0
	s_add_u32 s4, s8, s2
	s_addc_u32 s5, s9, s5
                                        ; implicit-def: $vgpr4_vgpr5
                                        ; implicit-def: $vgpr6_vgpr7
	global_store_b128 v17, v[0:3], s[4:5]
                                        ; implicit-def: $vgpr17
                                        ; implicit-def: $vgpr0_vgpr1
.LBB573_41:
	s_and_not1_saveexec_b32 s3, s3
	s_cbranch_execz .LBB573_43
; %bb.42:
	s_add_i32 s1, s1, s0
	s_add_u32 s0, s8, s2
	s_addc_u32 s1, s9, s1
	global_load_b128 v[8:11], v17, s[0:1]
	s_waitcnt vmcnt(0)
	v_fma_f64 v[0:1], v[4:5], v[8:9], v[0:1]
	v_fma_f64 v[2:3], v[6:7], v[8:9], v[2:3]
	s_delay_alu instid0(VALU_DEP_2) | instskip(NEXT) | instid1(VALU_DEP_2)
	v_fma_f64 v[0:1], -v[6:7], v[10:11], v[0:1]
	v_fma_f64 v[2:3], v[4:5], v[10:11], v[2:3]
	global_store_b128 v17, v[0:3], s[0:1]
.LBB573_43:
	s_nop 0
	s_sendmsg sendmsg(MSG_DEALLOC_VGPRS)
	s_endpgm
	.section	.rodata,"a",@progbits
	.p2align	6, 0x0
	.amdhsa_kernel _ZN9rocsparseL20bsrxmvn_17_32_kernelILj30E21rocsparse_complex_numIdEllS1_IfES2_S2_EEvT2_20rocsparse_direction_NS_24const_host_device_scalarIT0_EES4_PKS4_PKT1_SD_SA_PKT3_PKT4_S8_PT5_21rocsparse_index_base_b
		.amdhsa_group_segment_fixed_size 28800
		.amdhsa_private_segment_fixed_size 0
		.amdhsa_kernarg_size 120
		.amdhsa_user_sgpr_count 15
		.amdhsa_user_sgpr_dispatch_ptr 1
		.amdhsa_user_sgpr_queue_ptr 0
		.amdhsa_user_sgpr_kernarg_segment_ptr 1
		.amdhsa_user_sgpr_dispatch_id 0
		.amdhsa_user_sgpr_private_segment_size 0
		.amdhsa_wavefront_size32 1
		.amdhsa_uses_dynamic_stack 0
		.amdhsa_enable_private_segment 0
		.amdhsa_system_sgpr_workgroup_id_x 1
		.amdhsa_system_sgpr_workgroup_id_y 0
		.amdhsa_system_sgpr_workgroup_id_z 0
		.amdhsa_system_sgpr_workgroup_info 0
		.amdhsa_system_vgpr_workitem_id 2
		.amdhsa_next_free_vgpr 27
		.amdhsa_next_free_sgpr 22
		.amdhsa_reserve_vcc 1
		.amdhsa_float_round_mode_32 0
		.amdhsa_float_round_mode_16_64 0
		.amdhsa_float_denorm_mode_32 3
		.amdhsa_float_denorm_mode_16_64 3
		.amdhsa_dx10_clamp 1
		.amdhsa_ieee_mode 1
		.amdhsa_fp16_overflow 0
		.amdhsa_workgroup_processor_mode 1
		.amdhsa_memory_ordered 1
		.amdhsa_forward_progress 0
		.amdhsa_shared_vgpr_count 0
		.amdhsa_exception_fp_ieee_invalid_op 0
		.amdhsa_exception_fp_denorm_src 0
		.amdhsa_exception_fp_ieee_div_zero 0
		.amdhsa_exception_fp_ieee_overflow 0
		.amdhsa_exception_fp_ieee_underflow 0
		.amdhsa_exception_fp_ieee_inexact 0
		.amdhsa_exception_int_div_zero 0
	.end_amdhsa_kernel
	.section	.text._ZN9rocsparseL20bsrxmvn_17_32_kernelILj30E21rocsparse_complex_numIdEllS1_IfES2_S2_EEvT2_20rocsparse_direction_NS_24const_host_device_scalarIT0_EES4_PKS4_PKT1_SD_SA_PKT3_PKT4_S8_PT5_21rocsparse_index_base_b,"axG",@progbits,_ZN9rocsparseL20bsrxmvn_17_32_kernelILj30E21rocsparse_complex_numIdEllS1_IfES2_S2_EEvT2_20rocsparse_direction_NS_24const_host_device_scalarIT0_EES4_PKS4_PKT1_SD_SA_PKT3_PKT4_S8_PT5_21rocsparse_index_base_b,comdat
.Lfunc_end573:
	.size	_ZN9rocsparseL20bsrxmvn_17_32_kernelILj30E21rocsparse_complex_numIdEllS1_IfES2_S2_EEvT2_20rocsparse_direction_NS_24const_host_device_scalarIT0_EES4_PKS4_PKT1_SD_SA_PKT3_PKT4_S8_PT5_21rocsparse_index_base_b, .Lfunc_end573-_ZN9rocsparseL20bsrxmvn_17_32_kernelILj30E21rocsparse_complex_numIdEllS1_IfES2_S2_EEvT2_20rocsparse_direction_NS_24const_host_device_scalarIT0_EES4_PKS4_PKT1_SD_SA_PKT3_PKT4_S8_PT5_21rocsparse_index_base_b
                                        ; -- End function
	.section	.AMDGPU.csdata,"",@progbits
; Kernel info:
; codeLenInByte = 2080
; NumSgprs: 24
; NumVgprs: 27
; ScratchSize: 0
; MemoryBound: 0
; FloatMode: 240
; IeeeMode: 1
; LDSByteSize: 28800 bytes/workgroup (compile time only)
; SGPRBlocks: 2
; VGPRBlocks: 3
; NumSGPRsForWavesPerEU: 24
; NumVGPRsForWavesPerEU: 27
; Occupancy: 15
; WaveLimiterHint : 1
; COMPUTE_PGM_RSRC2:SCRATCH_EN: 0
; COMPUTE_PGM_RSRC2:USER_SGPR: 15
; COMPUTE_PGM_RSRC2:TRAP_HANDLER: 0
; COMPUTE_PGM_RSRC2:TGID_X_EN: 1
; COMPUTE_PGM_RSRC2:TGID_Y_EN: 0
; COMPUTE_PGM_RSRC2:TGID_Z_EN: 0
; COMPUTE_PGM_RSRC2:TIDIG_COMP_CNT: 2
	.section	.text._ZN9rocsparseL20bsrxmvn_17_32_kernelILj31E21rocsparse_complex_numIdEllS1_IfES2_S2_EEvT2_20rocsparse_direction_NS_24const_host_device_scalarIT0_EES4_PKS4_PKT1_SD_SA_PKT3_PKT4_S8_PT5_21rocsparse_index_base_b,"axG",@progbits,_ZN9rocsparseL20bsrxmvn_17_32_kernelILj31E21rocsparse_complex_numIdEllS1_IfES2_S2_EEvT2_20rocsparse_direction_NS_24const_host_device_scalarIT0_EES4_PKS4_PKT1_SD_SA_PKT3_PKT4_S8_PT5_21rocsparse_index_base_b,comdat
	.globl	_ZN9rocsparseL20bsrxmvn_17_32_kernelILj31E21rocsparse_complex_numIdEllS1_IfES2_S2_EEvT2_20rocsparse_direction_NS_24const_host_device_scalarIT0_EES4_PKS4_PKT1_SD_SA_PKT3_PKT4_S8_PT5_21rocsparse_index_base_b ; -- Begin function _ZN9rocsparseL20bsrxmvn_17_32_kernelILj31E21rocsparse_complex_numIdEllS1_IfES2_S2_EEvT2_20rocsparse_direction_NS_24const_host_device_scalarIT0_EES4_PKS4_PKT1_SD_SA_PKT3_PKT4_S8_PT5_21rocsparse_index_base_b
	.p2align	8
	.type	_ZN9rocsparseL20bsrxmvn_17_32_kernelILj31E21rocsparse_complex_numIdEllS1_IfES2_S2_EEvT2_20rocsparse_direction_NS_24const_host_device_scalarIT0_EES4_PKS4_PKT1_SD_SA_PKT3_PKT4_S8_PT5_21rocsparse_index_base_b,@function
_ZN9rocsparseL20bsrxmvn_17_32_kernelILj31E21rocsparse_complex_numIdEllS1_IfES2_S2_EEvT2_20rocsparse_direction_NS_24const_host_device_scalarIT0_EES4_PKS4_PKT1_SD_SA_PKT3_PKT4_S8_PT5_21rocsparse_index_base_b: ; @_ZN9rocsparseL20bsrxmvn_17_32_kernelILj31E21rocsparse_complex_numIdEllS1_IfES2_S2_EEvT2_20rocsparse_direction_NS_24const_host_device_scalarIT0_EES4_PKS4_PKT1_SD_SA_PKT3_PKT4_S8_PT5_21rocsparse_index_base_b
; %bb.0:
	s_mov_b32 s12, s15
	s_clause 0x1
	s_load_b64 s[14:15], s[2:3], 0x70
	s_load_b128 s[4:7], s[2:3], 0x10
	s_load_b64 s[16:17], s[0:1], 0x4
	s_mov_b64 s[0:1], src_shared_base
	v_and_b32_e32 v16, 0x3ff, v0
	s_load_b128 s[8:11], s[2:3], 0x58
	v_bfe_u32 v2, v0, 10, 10
	v_bfe_u32 v0, v0, 20, 10
	s_waitcnt lgkmcnt(0)
	s_bitcmp1_b32 s15, 0
	v_mov_b32_e32 v11, s7
	s_cselect_b32 s0, -1, 0
	v_mov_b32_e32 v10, s6
	s_and_b32 vcc_lo, s0, exec_lo
	s_cselect_b32 s13, s1, s5
	s_lshr_b32 s15, s16, 16
	s_xor_b32 s6, s0, -1
	s_mul_i32 s15, s15, s17
	v_mov_b32_e32 v5, s13
	v_mul_lo_u32 v1, s15, v16
	s_delay_alu instid0(VALU_DEP_1) | instskip(SKIP_1) | instid1(VALU_DEP_2)
	v_mad_u32_u24 v1, v2, s17, v1
	v_dual_mov_b32 v2, s8 :: v_dual_mov_b32 v3, s9
	v_add_lshl_u32 v6, v1, v0, 3
	v_dual_mov_b32 v0, s4 :: v_dual_mov_b32 v1, s5
	ds_store_b64 v6, v[0:1] offset:23064
	ds_store_b64 v6, v[2:3] offset:15376
	v_add_nc_u32_e32 v4, 0x5a18, v6
	v_add_nc_u32_e32 v0, 0x3c10, v6
	s_delay_alu instid0(VALU_DEP_2)
	v_cndmask_b32_e64 v4, s4, v4, s0
	flat_load_b64 v[8:9], v[4:5]
	s_cbranch_vccnz .LBB574_2
; %bb.1:
	v_dual_mov_b32 v1, s4 :: v_dual_mov_b32 v2, s5
	flat_load_b64 v[10:11], v[1:2] offset:8
.LBB574_2:
	s_and_b32 s4, s0, exec_lo
	s_cselect_b32 s1, s1, s9
	v_cndmask_b32_e64 v0, s8, v0, s0
	v_dual_mov_b32 v1, s1 :: v_dual_mov_b32 v6, s10
	v_mov_b32_e32 v7, s11
	s_and_not1_b32 vcc_lo, exec_lo, s6
	flat_load_b64 v[4:5], v[0:1]
	s_cbranch_vccnz .LBB574_4
; %bb.3:
	v_dual_mov_b32 v0, s8 :: v_dual_mov_b32 v1, s9
	flat_load_b64 v[6:7], v[0:1] offset:8
.LBB574_4:
	s_waitcnt vmcnt(1) lgkmcnt(1)
	v_cmp_eq_f64_e32 vcc_lo, 0, v[8:9]
	v_cmp_eq_f64_e64 s0, 0, v[10:11]
	s_delay_alu instid0(VALU_DEP_1)
	s_and_b32 s4, vcc_lo, s0
	s_mov_b32 s0, -1
	s_and_saveexec_b32 s1, s4
	s_cbranch_execz .LBB574_6
; %bb.5:
	s_waitcnt vmcnt(0) lgkmcnt(0)
	v_cmp_neq_f64_e32 vcc_lo, 1.0, v[4:5]
	v_cmp_neq_f64_e64 s0, 0, v[6:7]
	s_delay_alu instid0(VALU_DEP_1) | instskip(NEXT) | instid1(SALU_CYCLE_1)
	s_or_b32 s0, vcc_lo, s0
	s_or_not1_b32 s0, s0, exec_lo
.LBB574_6:
	s_or_b32 exec_lo, exec_lo, s1
	s_and_saveexec_b32 s1, s0
	s_cbranch_execz .LBB574_43
; %bb.7:
	s_clause 0x1
	s_load_b128 s[4:7], s[2:3], 0x28
	s_load_b64 s[8:9], s[2:3], 0x38
	s_mov_b32 s13, 0
	s_delay_alu instid0(SALU_CYCLE_1)
	s_mov_b32 s15, s13
	s_waitcnt lgkmcnt(0)
	s_cmp_eq_u64 s[4:5], 0
	s_cbranch_scc1 .LBB574_9
; %bb.8:
	s_lshl_b64 s[0:1], s[12:13], 3
	s_delay_alu instid0(SALU_CYCLE_1)
	s_add_u32 s0, s4, s0
	s_addc_u32 s1, s5, s1
	s_load_b64 s[0:1], s[0:1], 0x0
	s_waitcnt lgkmcnt(0)
	s_sub_u32 s12, s0, s14
	s_subb_u32 s13, s1, 0
.LBB574_9:
	s_load_b32 s1, s[2:3], 0x8
	v_mul_u32_u24_e32 v0, 0x843, v16
	v_mov_b32_e32 v2, 0
	v_mov_b32_e32 v3, 0
	s_delay_alu instid0(VALU_DEP_3) | instskip(NEXT) | instid1(VALU_DEP_1)
	v_lshrrev_b32_e32 v12, 16, v0
	v_mul_lo_u16 v0, v12, 31
	s_delay_alu instid0(VALU_DEP_1) | instskip(NEXT) | instid1(VALU_DEP_4)
	v_sub_nc_u16 v18, v16, v0
	v_dual_mov_b32 v0, v2 :: v_dual_mov_b32 v1, v3
	s_waitcnt lgkmcnt(0)
	s_cmp_eq_u32 s1, 1
	s_cselect_b32 s0, -1, 0
	s_cmp_lg_u32 s1, 1
	s_cselect_b32 s18, -1, 0
	s_lshl_b64 s[4:5], s[12:13], 3
	s_delay_alu instid0(SALU_CYCLE_1)
	s_add_u32 s6, s6, s4
	s_addc_u32 s7, s7, s5
	s_add_u32 s1, s6, 8
	s_addc_u32 s10, s7, 0
	;; [unrolled: 2-line block ×3, first 2 shown]
	s_cmp_eq_u64 s[8:9], 0
	s_load_b64 s[8:9], s[2:3], 0x68
	s_cselect_b32 s5, s10, s5
	s_cselect_b32 s4, s1, s4
	s_load_b64 s[10:11], s[6:7], 0x0
	s_load_b64 s[16:17], s[4:5], 0x0
	s_waitcnt lgkmcnt(0)
	v_cmp_ge_i64_e64 s1, s[10:11], s[16:17]
	s_delay_alu instid0(VALU_DEP_1)
	s_and_b32 vcc_lo, exec_lo, s1
	s_cbranch_vccnz .LBB574_14
; %bb.10:
	s_clause 0x1
	s_load_b64 s[20:21], s[2:3], 0x50
	s_load_b128 s[4:7], s[2:3], 0x40
	v_and_b32_e32 v0, 0xffff, v18
	v_dual_mov_b32 v2, 0 :: v_dual_and_b32 v1, 0xffff, v12
	v_mov_b32_e32 v3, 0
	s_sub_u32 s2, s16, s14
	s_subb_u32 s3, s17, 0
	s_delay_alu instid0(VALU_DEP_2)
	v_cndmask_b32_e64 v0, v0, v1, s0
	s_sub_u32 s0, s10, s14
	s_subb_u32 s1, s11, 0
	s_mul_hi_u32 s16, s0, 0x1e08
	s_mul_i32 s17, s1, 0x1e08
	v_lshlrev_b32_e32 v0, 4, v0
	v_lshlrev_b32_e32 v14, 3, v16
	s_mul_i32 s19, s0, 0x1e08
	s_add_i32 s16, s16, s17
	s_waitcnt lgkmcnt(0)
	v_add_co_u32 v12, s17, s20, v0
	s_delay_alu instid0(VALU_DEP_1)
	v_add_co_ci_u32_e64 v13, null, s21, 0, s17
	s_add_u32 s17, s6, s19
	v_dual_mov_b32 v0, v2 :: v_dual_mov_b32 v1, v3
	s_addc_u32 s16, s7, s16
	s_lshl_b64 s[6:7], s[10:11], 3
	s_lshl_b64 s[10:11], s[14:15], 3
	v_add_co_u32 v14, s15, s17, v14
	s_delay_alu instid0(VALU_DEP_1)
	v_add_co_ci_u32_e64 v15, null, s16, 0, s15
	s_sub_u32 s6, s6, s10
	s_subb_u32 s7, s7, s11
	s_add_u32 s4, s4, s6
	s_addc_u32 s5, s5, s7
	s_set_inst_prefetch_distance 0x1
	s_branch .LBB574_12
	.p2align	6
.LBB574_11:                             ;   in Loop: Header=BB574_12 Depth=1
	s_add_u32 s0, s0, 1
	s_addc_u32 s1, s1, 0
	s_add_u32 s4, s4, 8
	v_cmp_lt_i64_e64 s6, s[0:1], s[2:3]
	s_addc_u32 s5, s5, 0
	s_delay_alu instid0(VALU_DEP_1)
	s_and_b32 vcc_lo, exec_lo, s6
	s_cbranch_vccz .LBB574_14
.LBB574_12:                             ; =>This Inner Loop Header: Depth=1
	v_cmp_ge_i64_e64 s6, s[0:1], s[2:3]
	s_delay_alu instid0(VALU_DEP_1)
	s_and_b32 vcc_lo, exec_lo, s6
	s_cbranch_vccnz .LBB574_11
; %bb.13:                               ;   in Loop: Header=BB574_12 Depth=1
	s_load_b64 s[6:7], s[4:5], 0x0
	global_load_b64 v[23:24], v[14:15], off
	v_add_co_u32 v14, vcc_lo, 0x1e08, v14
	v_add_co_ci_u32_e32 v15, vcc_lo, 0, v15, vcc_lo
	s_waitcnt lgkmcnt(0)
	s_sub_u32 s6, s6, s14
	s_delay_alu instid0(SALU_CYCLE_1) | instskip(SKIP_1) | instid1(VALU_DEP_1)
	v_mad_u64_u32 v[19:20], null, 0x1f0, s6, v[12:13]
	s_subb_u32 s6, s7, 0
	v_mov_b32_e32 v17, v20
	s_delay_alu instid0(VALU_DEP_1)
	v_mad_u64_u32 v[20:21], null, 0x1f0, s6, v[17:18]
	global_load_b128 v[19:22], v[19:20], off
	s_waitcnt vmcnt(1)
	v_cvt_f64_f32_e32 v[25:26], v23
	v_cvt_f64_f32_e32 v[23:24], v24
	s_waitcnt vmcnt(0)
	s_delay_alu instid0(VALU_DEP_2) | instskip(NEXT) | instid1(VALU_DEP_2)
	v_fma_f64 v[0:1], v[25:26], v[19:20], v[0:1]
	v_fma_f64 v[2:3], v[23:24], v[19:20], v[2:3]
	s_delay_alu instid0(VALU_DEP_2) | instskip(NEXT) | instid1(VALU_DEP_2)
	v_fma_f64 v[0:1], -v[23:24], v[21:22], v[0:1]
	v_fma_f64 v[2:3], v[25:26], v[21:22], v[2:3]
	s_branch .LBB574_11
.LBB574_14:
	s_set_inst_prefetch_distance 0x2
	v_lshlrev_b32_e32 v17, 4, v16
	s_and_b32 vcc_lo, exec_lo, s18
	ds_store_b128 v17, v[0:3]
	s_waitcnt vmcnt(0) lgkmcnt(0)
	s_barrier
	buffer_gl0_inv
	s_cbranch_vccz .LBB574_26
; %bb.15:
	s_mov_b32 s0, exec_lo
	v_cmpx_gt_u16_e32 15, v18
	s_cbranch_execz .LBB574_17
; %bb.16:
	ds_load_b128 v[12:15], v17 offset:256
	ds_load_b128 v[19:22], v17
	s_waitcnt lgkmcnt(0)
	v_add_f64 v[12:13], v[12:13], v[19:20]
	v_add_f64 v[14:15], v[14:15], v[21:22]
	ds_store_b128 v17, v[12:15]
.LBB574_17:
	s_or_b32 exec_lo, exec_lo, s0
	s_delay_alu instid0(SALU_CYCLE_1)
	s_mov_b32 s0, exec_lo
	s_waitcnt lgkmcnt(0)
	s_barrier
	buffer_gl0_inv
	v_cmpx_gt_u16_e32 8, v18
	s_cbranch_execz .LBB574_19
; %bb.18:
	ds_load_b128 v[12:15], v17 offset:128
	ds_load_b128 v[19:22], v17
	s_waitcnt lgkmcnt(0)
	v_add_f64 v[12:13], v[12:13], v[19:20]
	v_add_f64 v[14:15], v[14:15], v[21:22]
	ds_store_b128 v17, v[12:15]
.LBB574_19:
	s_or_b32 exec_lo, exec_lo, s0
	s_delay_alu instid0(SALU_CYCLE_1)
	s_mov_b32 s0, exec_lo
	s_waitcnt lgkmcnt(0)
	s_barrier
	buffer_gl0_inv
	;; [unrolled: 16-line block ×3, first 2 shown]
	v_cmpx_gt_u16_e32 2, v18
	s_cbranch_execz .LBB574_23
; %bb.22:
	ds_load_b128 v[12:15], v17
	ds_load_b128 v[18:21], v17 offset:32
	s_waitcnt lgkmcnt(0)
	v_add_f64 v[12:13], v[18:19], v[12:13]
	v_add_f64 v[14:15], v[20:21], v[14:15]
	ds_store_b128 v17, v[12:15]
.LBB574_23:
	s_or_b32 exec_lo, exec_lo, s0
	v_dual_mov_b32 v15, v3 :: v_dual_mov_b32 v14, v2
	v_dual_mov_b32 v13, v1 :: v_dual_mov_b32 v12, v0
	s_mov_b32 s0, exec_lo
	s_waitcnt lgkmcnt(0)
	s_barrier
	buffer_gl0_inv
	v_cmpx_gt_u32_e32 31, v16
	s_cbranch_execz .LBB574_25
; %bb.24:
	v_mul_u32_u24_e32 v12, 31, v16
	s_delay_alu instid0(VALU_DEP_1)
	v_lshlrev_b32_e32 v18, 4, v12
	ds_load_b128 v[12:15], v18
	ds_load_b128 v[18:21], v18 offset:16
	s_waitcnt lgkmcnt(0)
	v_add_f64 v[12:13], v[18:19], v[12:13]
	v_add_f64 v[14:15], v[20:21], v[14:15]
.LBB574_25:
	s_or_b32 exec_lo, exec_lo, s0
	s_branch .LBB574_38
.LBB574_26:
                                        ; implicit-def: $vgpr14_vgpr15
                                        ; implicit-def: $vgpr12_vgpr13
	s_cbranch_execz .LBB574_38
; %bb.27:
	s_mov_b32 s0, exec_lo
	v_cmpx_gt_u32_e32 0x1d1, v16
	s_cbranch_execz .LBB574_29
; %bb.28:
	ds_load_b128 v[12:15], v17 offset:7936
	ds_load_b128 v[18:21], v17
	s_waitcnt lgkmcnt(0)
	v_add_f64 v[12:13], v[12:13], v[18:19]
	v_add_f64 v[14:15], v[14:15], v[20:21]
	ds_store_b128 v17, v[12:15]
.LBB574_29:
	s_or_b32 exec_lo, exec_lo, s0
	s_delay_alu instid0(SALU_CYCLE_1)
	s_mov_b32 s0, exec_lo
	s_waitcnt lgkmcnt(0)
	s_barrier
	buffer_gl0_inv
	v_cmpx_gt_u32_e32 0xf8, v16
	s_cbranch_execz .LBB574_31
; %bb.30:
	ds_load_b128 v[12:15], v17 offset:3968
	ds_load_b128 v[18:21], v17
	s_waitcnt lgkmcnt(0)
	v_add_f64 v[12:13], v[12:13], v[18:19]
	v_add_f64 v[14:15], v[14:15], v[20:21]
	ds_store_b128 v17, v[12:15]
.LBB574_31:
	s_or_b32 exec_lo, exec_lo, s0
	s_delay_alu instid0(SALU_CYCLE_1)
	s_mov_b32 s0, exec_lo
	s_waitcnt lgkmcnt(0)
	s_barrier
	buffer_gl0_inv
	;; [unrolled: 16-line block ×3, first 2 shown]
	v_cmpx_gt_u32_e32 62, v16
	s_cbranch_execz .LBB574_35
; %bb.34:
	ds_load_b128 v[12:15], v17 offset:992
	ds_load_b128 v[18:21], v17
	s_waitcnt lgkmcnt(0)
	v_add_f64 v[12:13], v[12:13], v[18:19]
	v_add_f64 v[14:15], v[14:15], v[20:21]
	ds_store_b128 v17, v[12:15]
.LBB574_35:
	s_or_b32 exec_lo, exec_lo, s0
	s_delay_alu instid0(SALU_CYCLE_1)
	s_mov_b32 s0, exec_lo
	s_waitcnt lgkmcnt(0)
	buffer_gl0_inv
	v_cmpx_gt_u32_e32 31, v16
	s_cbranch_execz .LBB574_37
; %bb.36:
	ds_load_b128 v[0:3], v17 offset:496
	ds_load_b128 v[12:15], v17
	s_waitcnt lgkmcnt(0)
	v_add_f64 v[0:1], v[0:1], v[12:13]
	v_add_f64 v[2:3], v[2:3], v[14:15]
.LBB574_37:
	s_or_b32 exec_lo, exec_lo, s0
	s_delay_alu instid0(VALU_DEP_1) | instskip(NEXT) | instid1(VALU_DEP_3)
	v_dual_mov_b32 v15, v3 :: v_dual_mov_b32 v14, v2
	v_dual_mov_b32 v13, v1 :: v_dual_mov_b32 v12, v0
.LBB574_38:
	v_cmp_gt_u32_e32 vcc_lo, 31, v16
	s_and_b32 exec_lo, exec_lo, vcc_lo
	s_cbranch_execz .LBB574_43
; %bb.39:
	s_delay_alu instid0(VALU_DEP_2)
	v_mul_f64 v[0:1], v[14:15], -v[10:11]
	v_mul_f64 v[2:3], v[8:9], v[14:15]
	v_cmp_eq_f64_e32 vcc_lo, 0, v[4:5]
	v_cmp_eq_f64_e64 s0, 0, v[6:7]
	s_mul_hi_u32 s1, s12, 0x1f0
	s_mul_i32 s2, s12, 0x1f0
	s_delay_alu instid0(VALU_DEP_4) | instskip(NEXT) | instid1(VALU_DEP_4)
	v_fma_f64 v[0:1], v[8:9], v[12:13], v[0:1]
	v_fma_f64 v[2:3], v[10:11], v[12:13], v[2:3]
	s_delay_alu instid0(VALU_DEP_3) | instskip(SKIP_2) | instid1(SALU_CYCLE_1)
	s_and_b32 s3, vcc_lo, s0
	s_mul_i32 s0, s13, 0x1f0
	s_and_saveexec_b32 s4, s3
	s_xor_b32 s3, exec_lo, s4
	s_cbranch_execz .LBB574_41
; %bb.40:
	s_add_i32 s5, s1, s0
	s_add_u32 s4, s8, s2
	s_addc_u32 s5, s9, s5
                                        ; implicit-def: $vgpr4_vgpr5
                                        ; implicit-def: $vgpr6_vgpr7
	global_store_b128 v17, v[0:3], s[4:5]
                                        ; implicit-def: $vgpr17
                                        ; implicit-def: $vgpr0_vgpr1
.LBB574_41:
	s_and_not1_saveexec_b32 s3, s3
	s_cbranch_execz .LBB574_43
; %bb.42:
	s_add_i32 s1, s1, s0
	s_add_u32 s0, s8, s2
	s_addc_u32 s1, s9, s1
	global_load_b128 v[8:11], v17, s[0:1]
	s_waitcnt vmcnt(0)
	v_fma_f64 v[0:1], v[4:5], v[8:9], v[0:1]
	v_fma_f64 v[2:3], v[6:7], v[8:9], v[2:3]
	s_delay_alu instid0(VALU_DEP_2) | instskip(NEXT) | instid1(VALU_DEP_2)
	v_fma_f64 v[0:1], -v[6:7], v[10:11], v[0:1]
	v_fma_f64 v[2:3], v[4:5], v[10:11], v[2:3]
	global_store_b128 v17, v[0:3], s[0:1]
.LBB574_43:
	s_nop 0
	s_sendmsg sendmsg(MSG_DEALLOC_VGPRS)
	s_endpgm
	.section	.rodata,"a",@progbits
	.p2align	6, 0x0
	.amdhsa_kernel _ZN9rocsparseL20bsrxmvn_17_32_kernelILj31E21rocsparse_complex_numIdEllS1_IfES2_S2_EEvT2_20rocsparse_direction_NS_24const_host_device_scalarIT0_EES4_PKS4_PKT1_SD_SA_PKT3_PKT4_S8_PT5_21rocsparse_index_base_b
		.amdhsa_group_segment_fixed_size 30752
		.amdhsa_private_segment_fixed_size 0
		.amdhsa_kernarg_size 120
		.amdhsa_user_sgpr_count 15
		.amdhsa_user_sgpr_dispatch_ptr 1
		.amdhsa_user_sgpr_queue_ptr 0
		.amdhsa_user_sgpr_kernarg_segment_ptr 1
		.amdhsa_user_sgpr_dispatch_id 0
		.amdhsa_user_sgpr_private_segment_size 0
		.amdhsa_wavefront_size32 1
		.amdhsa_uses_dynamic_stack 0
		.amdhsa_enable_private_segment 0
		.amdhsa_system_sgpr_workgroup_id_x 1
		.amdhsa_system_sgpr_workgroup_id_y 0
		.amdhsa_system_sgpr_workgroup_id_z 0
		.amdhsa_system_sgpr_workgroup_info 0
		.amdhsa_system_vgpr_workitem_id 2
		.amdhsa_next_free_vgpr 27
		.amdhsa_next_free_sgpr 22
		.amdhsa_reserve_vcc 1
		.amdhsa_float_round_mode_32 0
		.amdhsa_float_round_mode_16_64 0
		.amdhsa_float_denorm_mode_32 3
		.amdhsa_float_denorm_mode_16_64 3
		.amdhsa_dx10_clamp 1
		.amdhsa_ieee_mode 1
		.amdhsa_fp16_overflow 0
		.amdhsa_workgroup_processor_mode 1
		.amdhsa_memory_ordered 1
		.amdhsa_forward_progress 0
		.amdhsa_shared_vgpr_count 0
		.amdhsa_exception_fp_ieee_invalid_op 0
		.amdhsa_exception_fp_denorm_src 0
		.amdhsa_exception_fp_ieee_div_zero 0
		.amdhsa_exception_fp_ieee_overflow 0
		.amdhsa_exception_fp_ieee_underflow 0
		.amdhsa_exception_fp_ieee_inexact 0
		.amdhsa_exception_int_div_zero 0
	.end_amdhsa_kernel
	.section	.text._ZN9rocsparseL20bsrxmvn_17_32_kernelILj31E21rocsparse_complex_numIdEllS1_IfES2_S2_EEvT2_20rocsparse_direction_NS_24const_host_device_scalarIT0_EES4_PKS4_PKT1_SD_SA_PKT3_PKT4_S8_PT5_21rocsparse_index_base_b,"axG",@progbits,_ZN9rocsparseL20bsrxmvn_17_32_kernelILj31E21rocsparse_complex_numIdEllS1_IfES2_S2_EEvT2_20rocsparse_direction_NS_24const_host_device_scalarIT0_EES4_PKS4_PKT1_SD_SA_PKT3_PKT4_S8_PT5_21rocsparse_index_base_b,comdat
.Lfunc_end574:
	.size	_ZN9rocsparseL20bsrxmvn_17_32_kernelILj31E21rocsparse_complex_numIdEllS1_IfES2_S2_EEvT2_20rocsparse_direction_NS_24const_host_device_scalarIT0_EES4_PKS4_PKT1_SD_SA_PKT3_PKT4_S8_PT5_21rocsparse_index_base_b, .Lfunc_end574-_ZN9rocsparseL20bsrxmvn_17_32_kernelILj31E21rocsparse_complex_numIdEllS1_IfES2_S2_EEvT2_20rocsparse_direction_NS_24const_host_device_scalarIT0_EES4_PKS4_PKT1_SD_SA_PKT3_PKT4_S8_PT5_21rocsparse_index_base_b
                                        ; -- End function
	.section	.AMDGPU.csdata,"",@progbits
; Kernel info:
; codeLenInByte = 2080
; NumSgprs: 24
; NumVgprs: 27
; ScratchSize: 0
; MemoryBound: 0
; FloatMode: 240
; IeeeMode: 1
; LDSByteSize: 30752 bytes/workgroup (compile time only)
; SGPRBlocks: 2
; VGPRBlocks: 3
; NumSGPRsForWavesPerEU: 24
; NumVGPRsForWavesPerEU: 27
; Occupancy: 16
; WaveLimiterHint : 1
; COMPUTE_PGM_RSRC2:SCRATCH_EN: 0
; COMPUTE_PGM_RSRC2:USER_SGPR: 15
; COMPUTE_PGM_RSRC2:TRAP_HANDLER: 0
; COMPUTE_PGM_RSRC2:TGID_X_EN: 1
; COMPUTE_PGM_RSRC2:TGID_Y_EN: 0
; COMPUTE_PGM_RSRC2:TGID_Z_EN: 0
; COMPUTE_PGM_RSRC2:TIDIG_COMP_CNT: 2
	.section	.text._ZN9rocsparseL20bsrxmvn_17_32_kernelILj32E21rocsparse_complex_numIdEllS1_IfES2_S2_EEvT2_20rocsparse_direction_NS_24const_host_device_scalarIT0_EES4_PKS4_PKT1_SD_SA_PKT3_PKT4_S8_PT5_21rocsparse_index_base_b,"axG",@progbits,_ZN9rocsparseL20bsrxmvn_17_32_kernelILj32E21rocsparse_complex_numIdEllS1_IfES2_S2_EEvT2_20rocsparse_direction_NS_24const_host_device_scalarIT0_EES4_PKS4_PKT1_SD_SA_PKT3_PKT4_S8_PT5_21rocsparse_index_base_b,comdat
	.globl	_ZN9rocsparseL20bsrxmvn_17_32_kernelILj32E21rocsparse_complex_numIdEllS1_IfES2_S2_EEvT2_20rocsparse_direction_NS_24const_host_device_scalarIT0_EES4_PKS4_PKT1_SD_SA_PKT3_PKT4_S8_PT5_21rocsparse_index_base_b ; -- Begin function _ZN9rocsparseL20bsrxmvn_17_32_kernelILj32E21rocsparse_complex_numIdEllS1_IfES2_S2_EEvT2_20rocsparse_direction_NS_24const_host_device_scalarIT0_EES4_PKS4_PKT1_SD_SA_PKT3_PKT4_S8_PT5_21rocsparse_index_base_b
	.p2align	8
	.type	_ZN9rocsparseL20bsrxmvn_17_32_kernelILj32E21rocsparse_complex_numIdEllS1_IfES2_S2_EEvT2_20rocsparse_direction_NS_24const_host_device_scalarIT0_EES4_PKS4_PKT1_SD_SA_PKT3_PKT4_S8_PT5_21rocsparse_index_base_b,@function
_ZN9rocsparseL20bsrxmvn_17_32_kernelILj32E21rocsparse_complex_numIdEllS1_IfES2_S2_EEvT2_20rocsparse_direction_NS_24const_host_device_scalarIT0_EES4_PKS4_PKT1_SD_SA_PKT3_PKT4_S8_PT5_21rocsparse_index_base_b: ; @_ZN9rocsparseL20bsrxmvn_17_32_kernelILj32E21rocsparse_complex_numIdEllS1_IfES2_S2_EEvT2_20rocsparse_direction_NS_24const_host_device_scalarIT0_EES4_PKS4_PKT1_SD_SA_PKT3_PKT4_S8_PT5_21rocsparse_index_base_b
; %bb.0:
	s_mov_b32 s12, s15
	s_clause 0x1
	s_load_b64 s[14:15], s[2:3], 0x70
	s_load_b128 s[4:7], s[2:3], 0x10
	s_load_b64 s[16:17], s[0:1], 0x4
	s_mov_b64 s[0:1], src_shared_base
	v_and_b32_e32 v16, 0x3ff, v0
	s_load_b128 s[8:11], s[2:3], 0x58
	v_bfe_u32 v2, v0, 10, 10
	v_bfe_u32 v0, v0, 20, 10
	s_waitcnt lgkmcnt(0)
	s_bitcmp1_b32 s15, 0
	v_mov_b32_e32 v11, s7
	s_cselect_b32 s0, -1, 0
	v_mov_b32_e32 v10, s6
	s_and_b32 vcc_lo, s0, exec_lo
	s_cselect_b32 s13, s1, s5
	s_lshr_b32 s15, s16, 16
	s_xor_b32 s6, s0, -1
	s_mul_i32 s15, s15, s17
	v_mov_b32_e32 v5, s13
	v_mul_lo_u32 v1, s15, v16
	s_delay_alu instid0(VALU_DEP_1) | instskip(SKIP_1) | instid1(VALU_DEP_2)
	v_mad_u32_u24 v1, v2, s17, v1
	v_dual_mov_b32 v2, s8 :: v_dual_mov_b32 v3, s9
	v_add_lshl_u32 v6, v1, v0, 3
	v_dual_mov_b32 v0, s4 :: v_dual_mov_b32 v1, s5
	s_delay_alu instid0(VALU_DEP_2)
	v_add_nc_u32_e32 v4, 0x6000, v6
	ds_store_2addr_stride64_b64 v6, v[2:3], v[0:1] offset0:32 offset1:48
	v_add_nc_u32_e32 v0, 0x4000, v6
	v_cndmask_b32_e64 v4, s4, v4, s0
	flat_load_b64 v[8:9], v[4:5]
	s_cbranch_vccnz .LBB575_2
; %bb.1:
	v_dual_mov_b32 v1, s4 :: v_dual_mov_b32 v2, s5
	flat_load_b64 v[10:11], v[1:2] offset:8
.LBB575_2:
	s_and_b32 s4, s0, exec_lo
	s_cselect_b32 s1, s1, s9
	v_cndmask_b32_e64 v0, s8, v0, s0
	v_dual_mov_b32 v1, s1 :: v_dual_mov_b32 v6, s10
	v_mov_b32_e32 v7, s11
	s_and_not1_b32 vcc_lo, exec_lo, s6
	flat_load_b64 v[4:5], v[0:1]
	s_cbranch_vccnz .LBB575_4
; %bb.3:
	v_dual_mov_b32 v0, s8 :: v_dual_mov_b32 v1, s9
	flat_load_b64 v[6:7], v[0:1] offset:8
.LBB575_4:
	s_waitcnt vmcnt(1) lgkmcnt(1)
	v_cmp_eq_f64_e32 vcc_lo, 0, v[8:9]
	v_cmp_eq_f64_e64 s0, 0, v[10:11]
	s_delay_alu instid0(VALU_DEP_1)
	s_and_b32 s4, vcc_lo, s0
	s_mov_b32 s0, -1
	s_and_saveexec_b32 s1, s4
	s_cbranch_execz .LBB575_6
; %bb.5:
	s_waitcnt vmcnt(0) lgkmcnt(0)
	v_cmp_neq_f64_e32 vcc_lo, 1.0, v[4:5]
	v_cmp_neq_f64_e64 s0, 0, v[6:7]
	s_delay_alu instid0(VALU_DEP_1) | instskip(NEXT) | instid1(SALU_CYCLE_1)
	s_or_b32 s0, vcc_lo, s0
	s_or_not1_b32 s0, s0, exec_lo
.LBB575_6:
	s_or_b32 exec_lo, exec_lo, s1
	s_and_saveexec_b32 s1, s0
	s_cbranch_execz .LBB575_41
; %bb.7:
	s_clause 0x1
	s_load_b128 s[4:7], s[2:3], 0x28
	s_load_b64 s[8:9], s[2:3], 0x38
	s_mov_b32 s13, 0
	s_delay_alu instid0(SALU_CYCLE_1)
	s_mov_b32 s15, s13
	s_waitcnt lgkmcnt(0)
	s_cmp_eq_u64 s[4:5], 0
	s_cbranch_scc1 .LBB575_9
; %bb.8:
	s_lshl_b64 s[0:1], s[12:13], 3
	s_delay_alu instid0(SALU_CYCLE_1)
	s_add_u32 s0, s4, s0
	s_addc_u32 s1, s5, s1
	s_load_b64 s[0:1], s[0:1], 0x0
	s_waitcnt lgkmcnt(0)
	s_sub_u32 s12, s0, s14
	s_subb_u32 s13, s1, 0
.LBB575_9:
	s_load_b32 s1, s[2:3], 0x8
	v_mov_b32_e32 v2, 0
	v_dual_mov_b32 v3, 0 :: v_dual_and_b32 v14, 31, v16
	s_delay_alu instid0(VALU_DEP_1)
	v_dual_mov_b32 v0, v2 :: v_dual_mov_b32 v1, v3
	s_waitcnt lgkmcnt(0)
	s_cmp_eq_u32 s1, 1
	s_cselect_b32 s0, -1, 0
	s_cmp_lg_u32 s1, 1
	s_cselect_b32 s18, -1, 0
	s_lshl_b64 s[4:5], s[12:13], 3
	s_delay_alu instid0(SALU_CYCLE_1)
	s_add_u32 s6, s6, s4
	s_addc_u32 s7, s7, s5
	s_add_u32 s1, s6, 8
	s_addc_u32 s10, s7, 0
	;; [unrolled: 2-line block ×3, first 2 shown]
	s_cmp_eq_u64 s[8:9], 0
	s_cselect_b32 s5, s10, s5
	s_cselect_b32 s4, s1, s4
	s_load_b64 s[10:11], s[6:7], 0x0
	s_load_b64 s[16:17], s[4:5], 0x0
	;; [unrolled: 1-line block ×3, first 2 shown]
	s_waitcnt lgkmcnt(0)
	v_cmp_ge_i64_e64 s1, s[10:11], s[16:17]
	s_delay_alu instid0(VALU_DEP_1)
	s_and_b32 vcc_lo, exec_lo, s1
	s_cbranch_vccnz .LBB575_12
; %bb.10:
	s_clause 0x1
	s_load_b64 s[20:21], s[2:3], 0x50
	s_load_b128 s[4:7], s[2:3], 0x40
	v_lshrrev_b32_e32 v0, 5, v16
	s_sub_u32 s2, s16, s14
	s_subb_u32 s3, s17, 0
	s_delay_alu instid0(VALU_DEP_1) | instskip(SKIP_4) | instid1(SALU_CYCLE_1)
	v_cndmask_b32_e64 v0, v14, v0, s0
	s_sub_u32 s0, s10, s14
	s_subb_u32 s1, s11, 0
	s_lshl_b64 s[10:11], s[10:11], 3
	s_lshl_b64 s[16:17], s[0:1], 13
	v_dual_mov_b32 v2, 0 :: v_dual_mov_b32 v13, s17
	v_dual_mov_b32 v3, 0 :: v_dual_lshlrev_b32 v0, 4, v0
	v_lshl_or_b32 v1, v16, 3, s16
	s_lshl_b64 s[22:23], s[14:15], 3
	s_waitcnt lgkmcnt(0)
	s_delay_alu instid0(VALU_DEP_2) | instskip(NEXT) | instid1(VALU_DEP_2)
	v_add_co_u32 v15, s15, s20, v0
	v_add_co_u32 v12, vcc_lo, s6, v1
	v_add_co_ci_u32_e64 v17, null, s21, 0, s15
	v_add_co_ci_u32_e32 v13, vcc_lo, s7, v13, vcc_lo
	s_sub_u32 s6, s10, s22
	v_dual_mov_b32 v0, v2 :: v_dual_mov_b32 v1, v3
	s_subb_u32 s7, s11, s23
	s_add_u32 s4, s4, s6
	s_addc_u32 s5, s5, s7
	s_set_inst_prefetch_distance 0x1
	.p2align	6
.LBB575_11:                             ; =>This Inner Loop Header: Depth=1
	global_load_b64 v[22:23], v[12:13], off
	s_load_b64 s[6:7], s[4:5], 0x0
	s_waitcnt lgkmcnt(0)
	s_sub_u32 s6, s6, s14
	s_subb_u32 s7, s7, 0
	s_delay_alu instid0(SALU_CYCLE_1)
	s_lshl_b64 s[6:7], s[6:7], 9
	s_add_u32 s0, s0, 1
	v_add_co_u32 v18, vcc_lo, v15, s6
	v_add_co_ci_u32_e32 v19, vcc_lo, s7, v17, vcc_lo
	s_addc_u32 s1, s1, 0
	v_add_co_u32 v12, vcc_lo, 0x2000, v12
	global_load_b128 v[18:21], v[18:19], off
	v_cmp_lt_i64_e64 s6, s[0:1], s[2:3]
	v_add_co_ci_u32_e32 v13, vcc_lo, 0, v13, vcc_lo
	s_add_u32 s4, s4, 8
	s_addc_u32 s5, s5, 0
	s_delay_alu instid0(VALU_DEP_2) | instskip(SKIP_4) | instid1(VALU_DEP_2)
	s_and_b32 vcc_lo, exec_lo, s6
	s_waitcnt vmcnt(1)
	v_cvt_f64_f32_e32 v[24:25], v22
	v_cvt_f64_f32_e32 v[22:23], v23
	s_waitcnt vmcnt(0)
	v_fma_f64 v[0:1], v[24:25], v[18:19], v[0:1]
	s_delay_alu instid0(VALU_DEP_2) | instskip(NEXT) | instid1(VALU_DEP_2)
	v_fma_f64 v[2:3], v[22:23], v[18:19], v[2:3]
	v_fma_f64 v[0:1], -v[22:23], v[20:21], v[0:1]
	s_delay_alu instid0(VALU_DEP_2)
	v_fma_f64 v[2:3], v[24:25], v[20:21], v[2:3]
	s_cbranch_vccnz .LBB575_11
.LBB575_12:
	s_set_inst_prefetch_distance 0x2
	v_lshlrev_b32_e32 v17, 4, v16
	s_and_b32 vcc_lo, exec_lo, s18
	ds_store_b128 v17, v[0:3]
	s_waitcnt vmcnt(0) lgkmcnt(0)
	s_barrier
	buffer_gl0_inv
	s_cbranch_vccz .LBB575_24
; %bb.13:
	s_mov_b32 s0, exec_lo
	v_cmpx_gt_u32_e32 16, v14
	s_cbranch_execz .LBB575_15
; %bb.14:
	ds_load_b128 v[18:21], v17 offset:256
	ds_load_b128 v[22:25], v17
	s_waitcnt lgkmcnt(0)
	v_add_f64 v[18:19], v[18:19], v[22:23]
	v_add_f64 v[20:21], v[20:21], v[24:25]
	ds_store_b128 v17, v[18:21]
.LBB575_15:
	s_or_b32 exec_lo, exec_lo, s0
	s_delay_alu instid0(SALU_CYCLE_1)
	s_mov_b32 s0, exec_lo
	s_waitcnt lgkmcnt(0)
	s_barrier
	buffer_gl0_inv
	v_cmpx_gt_u32_e32 8, v14
	s_cbranch_execz .LBB575_17
; %bb.16:
	ds_load_b128 v[18:21], v17 offset:128
	ds_load_b128 v[22:25], v17
	s_waitcnt lgkmcnt(0)
	v_add_f64 v[18:19], v[18:19], v[22:23]
	v_add_f64 v[20:21], v[20:21], v[24:25]
	ds_store_b128 v17, v[18:21]
.LBB575_17:
	s_or_b32 exec_lo, exec_lo, s0
	s_delay_alu instid0(SALU_CYCLE_1)
	s_mov_b32 s0, exec_lo
	s_waitcnt lgkmcnt(0)
	s_barrier
	buffer_gl0_inv
	;; [unrolled: 16-line block ×3, first 2 shown]
	v_cmpx_gt_u32_e32 2, v14
	s_cbranch_execz .LBB575_21
; %bb.20:
	ds_load_b128 v[12:15], v17
	ds_load_b128 v[18:21], v17 offset:32
	s_waitcnt lgkmcnt(0)
	v_add_f64 v[12:13], v[18:19], v[12:13]
	v_add_f64 v[14:15], v[20:21], v[14:15]
	ds_store_b128 v17, v[12:15]
.LBB575_21:
	s_or_b32 exec_lo, exec_lo, s0
	v_dual_mov_b32 v15, v3 :: v_dual_mov_b32 v14, v2
	v_dual_mov_b32 v13, v1 :: v_dual_mov_b32 v12, v0
	s_mov_b32 s0, exec_lo
	s_waitcnt lgkmcnt(0)
	s_barrier
	buffer_gl0_inv
	v_cmpx_gt_u32_e32 32, v16
	s_cbranch_execz .LBB575_23
; %bb.22:
	v_mad_u32_u24 v18, 0x1f0, v16, v17
	ds_load_b128 v[12:15], v18
	ds_load_b128 v[18:21], v18 offset:16
	s_waitcnt lgkmcnt(0)
	v_add_f64 v[12:13], v[18:19], v[12:13]
	v_add_f64 v[14:15], v[20:21], v[14:15]
.LBB575_23:
	s_or_b32 exec_lo, exec_lo, s0
	s_branch .LBB575_36
.LBB575_24:
                                        ; implicit-def: $vgpr14_vgpr15
                                        ; implicit-def: $vgpr12_vgpr13
	s_cbranch_execz .LBB575_36
; %bb.25:
	s_mov_b32 s0, exec_lo
	v_cmpx_gt_u32_e32 0x200, v16
	s_cbranch_execz .LBB575_27
; %bb.26:
	ds_load_b128 v[12:15], v17 offset:8192
	ds_load_b128 v[18:21], v17
	s_waitcnt lgkmcnt(0)
	v_add_f64 v[12:13], v[12:13], v[18:19]
	v_add_f64 v[14:15], v[14:15], v[20:21]
	ds_store_b128 v17, v[12:15]
.LBB575_27:
	s_or_b32 exec_lo, exec_lo, s0
	s_delay_alu instid0(SALU_CYCLE_1)
	s_mov_b32 s0, exec_lo
	s_waitcnt lgkmcnt(0)
	s_barrier
	buffer_gl0_inv
	v_cmpx_gt_u32_e32 0x100, v16
	s_cbranch_execz .LBB575_29
; %bb.28:
	ds_load_b128 v[12:15], v17 offset:4096
	ds_load_b128 v[18:21], v17
	s_waitcnt lgkmcnt(0)
	v_add_f64 v[12:13], v[12:13], v[18:19]
	v_add_f64 v[14:15], v[14:15], v[20:21]
	ds_store_b128 v17, v[12:15]
.LBB575_29:
	s_or_b32 exec_lo, exec_lo, s0
	s_delay_alu instid0(SALU_CYCLE_1)
	s_mov_b32 s0, exec_lo
	s_waitcnt lgkmcnt(0)
	s_barrier
	buffer_gl0_inv
	;; [unrolled: 16-line block ×3, first 2 shown]
	v_cmpx_gt_u32_e32 64, v16
	s_cbranch_execz .LBB575_33
; %bb.32:
	ds_load_b128 v[12:15], v17 offset:1024
	ds_load_b128 v[18:21], v17
	s_waitcnt lgkmcnt(0)
	v_add_f64 v[12:13], v[12:13], v[18:19]
	v_add_f64 v[14:15], v[14:15], v[20:21]
	ds_store_b128 v17, v[12:15]
.LBB575_33:
	s_or_b32 exec_lo, exec_lo, s0
	s_delay_alu instid0(SALU_CYCLE_1)
	s_mov_b32 s0, exec_lo
	s_waitcnt lgkmcnt(0)
	buffer_gl0_inv
	v_cmpx_gt_u32_e32 32, v16
	s_cbranch_execz .LBB575_35
; %bb.34:
	ds_load_b128 v[0:3], v17 offset:512
	ds_load_b128 v[12:15], v17
	s_waitcnt lgkmcnt(0)
	v_add_f64 v[0:1], v[0:1], v[12:13]
	v_add_f64 v[2:3], v[2:3], v[14:15]
.LBB575_35:
	s_or_b32 exec_lo, exec_lo, s0
	s_delay_alu instid0(VALU_DEP_1) | instskip(NEXT) | instid1(VALU_DEP_3)
	v_dual_mov_b32 v15, v3 :: v_dual_mov_b32 v14, v2
	v_dual_mov_b32 v13, v1 :: v_dual_mov_b32 v12, v0
.LBB575_36:
	v_cmp_gt_u32_e32 vcc_lo, 32, v16
	s_and_b32 exec_lo, exec_lo, vcc_lo
	s_cbranch_execz .LBB575_41
; %bb.37:
	s_delay_alu instid0(VALU_DEP_2) | instskip(SKIP_3) | instid1(VALU_DEP_4)
	v_mul_f64 v[0:1], v[14:15], -v[10:11]
	v_mul_f64 v[2:3], v[8:9], v[14:15]
	v_cmp_eq_f64_e32 vcc_lo, 0, v[4:5]
	v_cmp_eq_f64_e64 s0, 0, v[6:7]
	v_fma_f64 v[0:1], v[8:9], v[12:13], v[0:1]
	s_delay_alu instid0(VALU_DEP_4) | instskip(NEXT) | instid1(VALU_DEP_3)
	v_fma_f64 v[2:3], v[10:11], v[12:13], v[2:3]
	s_and_b32 s0, vcc_lo, s0
	s_delay_alu instid0(SALU_CYCLE_1) | instskip(NEXT) | instid1(SALU_CYCLE_1)
	s_and_saveexec_b32 s1, s0
	s_xor_b32 s0, exec_lo, s1
	s_cbranch_execz .LBB575_39
; %bb.38:
	s_lshl_b64 s[2:3], s[12:13], 9
                                        ; implicit-def: $vgpr4_vgpr5
                                        ; implicit-def: $vgpr6_vgpr7
	s_delay_alu instid0(SALU_CYCLE_1)
	s_add_u32 s2, s8, s2
	s_addc_u32 s3, s9, s3
	global_store_b128 v17, v[0:3], s[2:3]
                                        ; implicit-def: $vgpr17
                                        ; implicit-def: $vgpr0_vgpr1
.LBB575_39:
	s_and_not1_saveexec_b32 s0, s0
	s_cbranch_execz .LBB575_41
; %bb.40:
	s_lshl_b64 s[0:1], s[12:13], 9
	s_delay_alu instid0(SALU_CYCLE_1)
	s_add_u32 s0, s8, s0
	s_addc_u32 s1, s9, s1
	global_load_b128 v[8:11], v17, s[0:1]
	s_waitcnt vmcnt(0)
	v_fma_f64 v[0:1], v[4:5], v[8:9], v[0:1]
	v_fma_f64 v[2:3], v[6:7], v[8:9], v[2:3]
	s_delay_alu instid0(VALU_DEP_2) | instskip(NEXT) | instid1(VALU_DEP_2)
	v_fma_f64 v[0:1], -v[6:7], v[10:11], v[0:1]
	v_fma_f64 v[2:3], v[4:5], v[10:11], v[2:3]
	global_store_b128 v17, v[0:3], s[0:1]
.LBB575_41:
	s_nop 0
	s_sendmsg sendmsg(MSG_DEALLOC_VGPRS)
	s_endpgm
	.section	.rodata,"a",@progbits
	.p2align	6, 0x0
	.amdhsa_kernel _ZN9rocsparseL20bsrxmvn_17_32_kernelILj32E21rocsparse_complex_numIdEllS1_IfES2_S2_EEvT2_20rocsparse_direction_NS_24const_host_device_scalarIT0_EES4_PKS4_PKT1_SD_SA_PKT3_PKT4_S8_PT5_21rocsparse_index_base_b
		.amdhsa_group_segment_fixed_size 32768
		.amdhsa_private_segment_fixed_size 0
		.amdhsa_kernarg_size 120
		.amdhsa_user_sgpr_count 15
		.amdhsa_user_sgpr_dispatch_ptr 1
		.amdhsa_user_sgpr_queue_ptr 0
		.amdhsa_user_sgpr_kernarg_segment_ptr 1
		.amdhsa_user_sgpr_dispatch_id 0
		.amdhsa_user_sgpr_private_segment_size 0
		.amdhsa_wavefront_size32 1
		.amdhsa_uses_dynamic_stack 0
		.amdhsa_enable_private_segment 0
		.amdhsa_system_sgpr_workgroup_id_x 1
		.amdhsa_system_sgpr_workgroup_id_y 0
		.amdhsa_system_sgpr_workgroup_id_z 0
		.amdhsa_system_sgpr_workgroup_info 0
		.amdhsa_system_vgpr_workitem_id 2
		.amdhsa_next_free_vgpr 26
		.amdhsa_next_free_sgpr 24
		.amdhsa_reserve_vcc 1
		.amdhsa_float_round_mode_32 0
		.amdhsa_float_round_mode_16_64 0
		.amdhsa_float_denorm_mode_32 3
		.amdhsa_float_denorm_mode_16_64 3
		.amdhsa_dx10_clamp 1
		.amdhsa_ieee_mode 1
		.amdhsa_fp16_overflow 0
		.amdhsa_workgroup_processor_mode 1
		.amdhsa_memory_ordered 1
		.amdhsa_forward_progress 0
		.amdhsa_shared_vgpr_count 0
		.amdhsa_exception_fp_ieee_invalid_op 0
		.amdhsa_exception_fp_denorm_src 0
		.amdhsa_exception_fp_ieee_div_zero 0
		.amdhsa_exception_fp_ieee_overflow 0
		.amdhsa_exception_fp_ieee_underflow 0
		.amdhsa_exception_fp_ieee_inexact 0
		.amdhsa_exception_int_div_zero 0
	.end_amdhsa_kernel
	.section	.text._ZN9rocsparseL20bsrxmvn_17_32_kernelILj32E21rocsparse_complex_numIdEllS1_IfES2_S2_EEvT2_20rocsparse_direction_NS_24const_host_device_scalarIT0_EES4_PKS4_PKT1_SD_SA_PKT3_PKT4_S8_PT5_21rocsparse_index_base_b,"axG",@progbits,_ZN9rocsparseL20bsrxmvn_17_32_kernelILj32E21rocsparse_complex_numIdEllS1_IfES2_S2_EEvT2_20rocsparse_direction_NS_24const_host_device_scalarIT0_EES4_PKS4_PKT1_SD_SA_PKT3_PKT4_S8_PT5_21rocsparse_index_base_b,comdat
.Lfunc_end575:
	.size	_ZN9rocsparseL20bsrxmvn_17_32_kernelILj32E21rocsparse_complex_numIdEllS1_IfES2_S2_EEvT2_20rocsparse_direction_NS_24const_host_device_scalarIT0_EES4_PKS4_PKT1_SD_SA_PKT3_PKT4_S8_PT5_21rocsparse_index_base_b, .Lfunc_end575-_ZN9rocsparseL20bsrxmvn_17_32_kernelILj32E21rocsparse_complex_numIdEllS1_IfES2_S2_EEvT2_20rocsparse_direction_NS_24const_host_device_scalarIT0_EES4_PKS4_PKT1_SD_SA_PKT3_PKT4_S8_PT5_21rocsparse_index_base_b
                                        ; -- End function
	.section	.AMDGPU.csdata,"",@progbits
; Kernel info:
; codeLenInByte = 1940
; NumSgprs: 26
; NumVgprs: 26
; ScratchSize: 0
; MemoryBound: 0
; FloatMode: 240
; IeeeMode: 1
; LDSByteSize: 32768 bytes/workgroup (compile time only)
; SGPRBlocks: 3
; VGPRBlocks: 3
; NumSGPRsForWavesPerEU: 26
; NumVGPRsForWavesPerEU: 26
; Occupancy: 16
; WaveLimiterHint : 1
; COMPUTE_PGM_RSRC2:SCRATCH_EN: 0
; COMPUTE_PGM_RSRC2:USER_SGPR: 15
; COMPUTE_PGM_RSRC2:TRAP_HANDLER: 0
; COMPUTE_PGM_RSRC2:TGID_X_EN: 1
; COMPUTE_PGM_RSRC2:TGID_Y_EN: 0
; COMPUTE_PGM_RSRC2:TGID_Z_EN: 0
; COMPUTE_PGM_RSRC2:TIDIG_COMP_CNT: 2
	.text
	.p2alignl 7, 3214868480
	.fill 96, 4, 3214868480
	.type	__hip_cuid_a3ddeeb3fdd74257,@object ; @__hip_cuid_a3ddeeb3fdd74257
	.section	.bss,"aw",@nobits
	.globl	__hip_cuid_a3ddeeb3fdd74257
__hip_cuid_a3ddeeb3fdd74257:
	.byte	0                               ; 0x0
	.size	__hip_cuid_a3ddeeb3fdd74257, 1

	.ident	"AMD clang version 19.0.0git (https://github.com/RadeonOpenCompute/llvm-project roc-6.4.0 25133 c7fe45cf4b819c5991fe208aaa96edf142730f1d)"
	.section	".note.GNU-stack","",@progbits
	.addrsig
	.addrsig_sym __hip_cuid_a3ddeeb3fdd74257
	.amdgpu_metadata
---
amdhsa.kernels:
  - .args:
      - .offset:         0
        .size:           4
        .value_kind:     by_value
      - .offset:         4
        .size:           4
        .value_kind:     by_value
      - .offset:         8
        .size:           8
        .value_kind:     by_value
      - .offset:         16
        .size:           4
        .value_kind:     by_value
      - .actual_access:  read_only
        .address_space:  global
        .offset:         24
        .size:           8
        .value_kind:     global_buffer
      - .actual_access:  read_only
        .address_space:  global
        .offset:         32
        .size:           8
        .value_kind:     global_buffer
      - .actual_access:  read_only
        .address_space:  global
        .offset:         40
        .size:           8
        .value_kind:     global_buffer
      - .actual_access:  read_only
        .address_space:  global
        .offset:         48
        .size:           8
        .value_kind:     global_buffer
      - .actual_access:  read_only
        .address_space:  global
        .offset:         56
        .size:           8
        .value_kind:     global_buffer
      - .actual_access:  read_only
        .address_space:  global
        .offset:         64
        .size:           8
        .value_kind:     global_buffer
      - .offset:         72
        .size:           8
        .value_kind:     by_value
      - .address_space:  global
        .offset:         80
        .size:           8
        .value_kind:     global_buffer
      - .offset:         88
        .size:           4
        .value_kind:     by_value
      - .offset:         92
        .size:           1
        .value_kind:     by_value
    .group_segment_fixed_size: 1156
    .kernarg_segment_align: 8
    .kernarg_segment_size: 96
    .language:       OpenCL C
    .language_version:
      - 2
      - 0
    .max_flat_workgroup_size: 289
    .name:           _ZN9rocsparseL20bsrxmvn_17_32_kernelILj17EfiifffEEvT2_20rocsparse_direction_NS_24const_host_device_scalarIT0_EES1_PKS1_PKT1_SA_S7_PKT3_PKT4_S5_PT5_21rocsparse_index_base_b
    .private_segment_fixed_size: 0
    .sgpr_count:     19
    .sgpr_spill_count: 0
    .symbol:         _ZN9rocsparseL20bsrxmvn_17_32_kernelILj17EfiifffEEvT2_20rocsparse_direction_NS_24const_host_device_scalarIT0_EES1_PKS1_PKT1_SA_S7_PKT3_PKT4_S5_PT5_21rocsparse_index_base_b.kd
    .uniform_work_group_size: 1
    .uses_dynamic_stack: false
    .vgpr_count:     11
    .vgpr_spill_count: 0
    .wavefront_size: 32
    .workgroup_processor_mode: 1
  - .args:
      - .offset:         0
        .size:           4
        .value_kind:     by_value
      - .offset:         4
        .size:           4
        .value_kind:     by_value
      - .offset:         8
        .size:           8
        .value_kind:     by_value
      - .offset:         16
        .size:           4
        .value_kind:     by_value
      - .actual_access:  read_only
        .address_space:  global
        .offset:         24
        .size:           8
        .value_kind:     global_buffer
      - .actual_access:  read_only
        .address_space:  global
        .offset:         32
        .size:           8
        .value_kind:     global_buffer
      - .actual_access:  read_only
        .address_space:  global
        .offset:         40
        .size:           8
        .value_kind:     global_buffer
      - .actual_access:  read_only
        .address_space:  global
        .offset:         48
        .size:           8
        .value_kind:     global_buffer
      - .actual_access:  read_only
        .address_space:  global
        .offset:         56
        .size:           8
        .value_kind:     global_buffer
      - .actual_access:  read_only
        .address_space:  global
        .offset:         64
        .size:           8
        .value_kind:     global_buffer
      - .offset:         72
        .size:           8
        .value_kind:     by_value
      - .address_space:  global
        .offset:         80
        .size:           8
        .value_kind:     global_buffer
      - .offset:         88
        .size:           4
        .value_kind:     by_value
      - .offset:         92
        .size:           1
        .value_kind:     by_value
    .group_segment_fixed_size: 1296
    .kernarg_segment_align: 8
    .kernarg_segment_size: 96
    .language:       OpenCL C
    .language_version:
      - 2
      - 0
    .max_flat_workgroup_size: 324
    .name:           _ZN9rocsparseL20bsrxmvn_17_32_kernelILj18EfiifffEEvT2_20rocsparse_direction_NS_24const_host_device_scalarIT0_EES1_PKS1_PKT1_SA_S7_PKT3_PKT4_S5_PT5_21rocsparse_index_base_b
    .private_segment_fixed_size: 0
    .sgpr_count:     19
    .sgpr_spill_count: 0
    .symbol:         _ZN9rocsparseL20bsrxmvn_17_32_kernelILj18EfiifffEEvT2_20rocsparse_direction_NS_24const_host_device_scalarIT0_EES1_PKS1_PKT1_SA_S7_PKT3_PKT4_S5_PT5_21rocsparse_index_base_b.kd
    .uniform_work_group_size: 1
    .uses_dynamic_stack: false
    .vgpr_count:     11
    .vgpr_spill_count: 0
    .wavefront_size: 32
    .workgroup_processor_mode: 1
  - .args:
      - .offset:         0
        .size:           4
        .value_kind:     by_value
      - .offset:         4
        .size:           4
        .value_kind:     by_value
      - .offset:         8
        .size:           8
        .value_kind:     by_value
      - .offset:         16
        .size:           4
        .value_kind:     by_value
      - .actual_access:  read_only
        .address_space:  global
        .offset:         24
        .size:           8
        .value_kind:     global_buffer
      - .actual_access:  read_only
        .address_space:  global
        .offset:         32
        .size:           8
        .value_kind:     global_buffer
      - .actual_access:  read_only
        .address_space:  global
        .offset:         40
        .size:           8
        .value_kind:     global_buffer
      - .actual_access:  read_only
        .address_space:  global
        .offset:         48
        .size:           8
        .value_kind:     global_buffer
      - .actual_access:  read_only
        .address_space:  global
        .offset:         56
        .size:           8
        .value_kind:     global_buffer
      - .actual_access:  read_only
        .address_space:  global
        .offset:         64
        .size:           8
        .value_kind:     global_buffer
      - .offset:         72
        .size:           8
        .value_kind:     by_value
      - .address_space:  global
        .offset:         80
        .size:           8
        .value_kind:     global_buffer
      - .offset:         88
        .size:           4
        .value_kind:     by_value
      - .offset:         92
        .size:           1
        .value_kind:     by_value
    .group_segment_fixed_size: 1444
    .kernarg_segment_align: 8
    .kernarg_segment_size: 96
    .language:       OpenCL C
    .language_version:
      - 2
      - 0
    .max_flat_workgroup_size: 361
    .name:           _ZN9rocsparseL20bsrxmvn_17_32_kernelILj19EfiifffEEvT2_20rocsparse_direction_NS_24const_host_device_scalarIT0_EES1_PKS1_PKT1_SA_S7_PKT3_PKT4_S5_PT5_21rocsparse_index_base_b
    .private_segment_fixed_size: 0
    .sgpr_count:     19
    .sgpr_spill_count: 0
    .symbol:         _ZN9rocsparseL20bsrxmvn_17_32_kernelILj19EfiifffEEvT2_20rocsparse_direction_NS_24const_host_device_scalarIT0_EES1_PKS1_PKT1_SA_S7_PKT3_PKT4_S5_PT5_21rocsparse_index_base_b.kd
    .uniform_work_group_size: 1
    .uses_dynamic_stack: false
    .vgpr_count:     11
    .vgpr_spill_count: 0
    .wavefront_size: 32
    .workgroup_processor_mode: 1
  - .args:
      - .offset:         0
        .size:           4
        .value_kind:     by_value
      - .offset:         4
        .size:           4
        .value_kind:     by_value
      - .offset:         8
        .size:           8
        .value_kind:     by_value
      - .offset:         16
        .size:           4
        .value_kind:     by_value
      - .actual_access:  read_only
        .address_space:  global
        .offset:         24
        .size:           8
        .value_kind:     global_buffer
      - .actual_access:  read_only
        .address_space:  global
        .offset:         32
        .size:           8
        .value_kind:     global_buffer
      - .actual_access:  read_only
        .address_space:  global
        .offset:         40
        .size:           8
        .value_kind:     global_buffer
      - .actual_access:  read_only
        .address_space:  global
        .offset:         48
        .size:           8
        .value_kind:     global_buffer
      - .actual_access:  read_only
        .address_space:  global
        .offset:         56
        .size:           8
        .value_kind:     global_buffer
      - .actual_access:  read_only
        .address_space:  global
        .offset:         64
        .size:           8
        .value_kind:     global_buffer
      - .offset:         72
        .size:           8
        .value_kind:     by_value
      - .address_space:  global
        .offset:         80
        .size:           8
        .value_kind:     global_buffer
      - .offset:         88
        .size:           4
        .value_kind:     by_value
      - .offset:         92
        .size:           1
        .value_kind:     by_value
    .group_segment_fixed_size: 1600
    .kernarg_segment_align: 8
    .kernarg_segment_size: 96
    .language:       OpenCL C
    .language_version:
      - 2
      - 0
    .max_flat_workgroup_size: 400
    .name:           _ZN9rocsparseL20bsrxmvn_17_32_kernelILj20EfiifffEEvT2_20rocsparse_direction_NS_24const_host_device_scalarIT0_EES1_PKS1_PKT1_SA_S7_PKT3_PKT4_S5_PT5_21rocsparse_index_base_b
    .private_segment_fixed_size: 0
    .sgpr_count:     19
    .sgpr_spill_count: 0
    .symbol:         _ZN9rocsparseL20bsrxmvn_17_32_kernelILj20EfiifffEEvT2_20rocsparse_direction_NS_24const_host_device_scalarIT0_EES1_PKS1_PKT1_SA_S7_PKT3_PKT4_S5_PT5_21rocsparse_index_base_b.kd
    .uniform_work_group_size: 1
    .uses_dynamic_stack: false
    .vgpr_count:     11
    .vgpr_spill_count: 0
    .wavefront_size: 32
    .workgroup_processor_mode: 1
  - .args:
      - .offset:         0
        .size:           4
        .value_kind:     by_value
      - .offset:         4
        .size:           4
        .value_kind:     by_value
      - .offset:         8
        .size:           8
        .value_kind:     by_value
      - .offset:         16
        .size:           4
        .value_kind:     by_value
      - .actual_access:  read_only
        .address_space:  global
        .offset:         24
        .size:           8
        .value_kind:     global_buffer
      - .actual_access:  read_only
        .address_space:  global
        .offset:         32
        .size:           8
        .value_kind:     global_buffer
      - .actual_access:  read_only
        .address_space:  global
        .offset:         40
        .size:           8
        .value_kind:     global_buffer
      - .actual_access:  read_only
        .address_space:  global
        .offset:         48
        .size:           8
        .value_kind:     global_buffer
      - .actual_access:  read_only
        .address_space:  global
        .offset:         56
        .size:           8
        .value_kind:     global_buffer
      - .actual_access:  read_only
        .address_space:  global
        .offset:         64
        .size:           8
        .value_kind:     global_buffer
      - .offset:         72
        .size:           8
        .value_kind:     by_value
      - .address_space:  global
        .offset:         80
        .size:           8
        .value_kind:     global_buffer
      - .offset:         88
        .size:           4
        .value_kind:     by_value
      - .offset:         92
        .size:           1
        .value_kind:     by_value
    .group_segment_fixed_size: 1764
    .kernarg_segment_align: 8
    .kernarg_segment_size: 96
    .language:       OpenCL C
    .language_version:
      - 2
      - 0
    .max_flat_workgroup_size: 441
    .name:           _ZN9rocsparseL20bsrxmvn_17_32_kernelILj21EfiifffEEvT2_20rocsparse_direction_NS_24const_host_device_scalarIT0_EES1_PKS1_PKT1_SA_S7_PKT3_PKT4_S5_PT5_21rocsparse_index_base_b
    .private_segment_fixed_size: 0
    .sgpr_count:     19
    .sgpr_spill_count: 0
    .symbol:         _ZN9rocsparseL20bsrxmvn_17_32_kernelILj21EfiifffEEvT2_20rocsparse_direction_NS_24const_host_device_scalarIT0_EES1_PKS1_PKT1_SA_S7_PKT3_PKT4_S5_PT5_21rocsparse_index_base_b.kd
    .uniform_work_group_size: 1
    .uses_dynamic_stack: false
    .vgpr_count:     11
    .vgpr_spill_count: 0
    .wavefront_size: 32
    .workgroup_processor_mode: 1
  - .args:
      - .offset:         0
        .size:           4
        .value_kind:     by_value
      - .offset:         4
        .size:           4
        .value_kind:     by_value
      - .offset:         8
        .size:           8
        .value_kind:     by_value
      - .offset:         16
        .size:           4
        .value_kind:     by_value
      - .actual_access:  read_only
        .address_space:  global
        .offset:         24
        .size:           8
        .value_kind:     global_buffer
      - .actual_access:  read_only
        .address_space:  global
        .offset:         32
        .size:           8
        .value_kind:     global_buffer
      - .actual_access:  read_only
        .address_space:  global
        .offset:         40
        .size:           8
        .value_kind:     global_buffer
      - .actual_access:  read_only
        .address_space:  global
        .offset:         48
        .size:           8
        .value_kind:     global_buffer
      - .actual_access:  read_only
        .address_space:  global
        .offset:         56
        .size:           8
        .value_kind:     global_buffer
      - .actual_access:  read_only
        .address_space:  global
        .offset:         64
        .size:           8
        .value_kind:     global_buffer
      - .offset:         72
        .size:           8
        .value_kind:     by_value
      - .address_space:  global
        .offset:         80
        .size:           8
        .value_kind:     global_buffer
      - .offset:         88
        .size:           4
        .value_kind:     by_value
      - .offset:         92
        .size:           1
        .value_kind:     by_value
    .group_segment_fixed_size: 1936
    .kernarg_segment_align: 8
    .kernarg_segment_size: 96
    .language:       OpenCL C
    .language_version:
      - 2
      - 0
    .max_flat_workgroup_size: 484
    .name:           _ZN9rocsparseL20bsrxmvn_17_32_kernelILj22EfiifffEEvT2_20rocsparse_direction_NS_24const_host_device_scalarIT0_EES1_PKS1_PKT1_SA_S7_PKT3_PKT4_S5_PT5_21rocsparse_index_base_b
    .private_segment_fixed_size: 0
    .sgpr_count:     19
    .sgpr_spill_count: 0
    .symbol:         _ZN9rocsparseL20bsrxmvn_17_32_kernelILj22EfiifffEEvT2_20rocsparse_direction_NS_24const_host_device_scalarIT0_EES1_PKS1_PKT1_SA_S7_PKT3_PKT4_S5_PT5_21rocsparse_index_base_b.kd
    .uniform_work_group_size: 1
    .uses_dynamic_stack: false
    .vgpr_count:     11
    .vgpr_spill_count: 0
    .wavefront_size: 32
    .workgroup_processor_mode: 1
  - .args:
      - .offset:         0
        .size:           4
        .value_kind:     by_value
      - .offset:         4
        .size:           4
        .value_kind:     by_value
      - .offset:         8
        .size:           8
        .value_kind:     by_value
      - .offset:         16
        .size:           4
        .value_kind:     by_value
      - .actual_access:  read_only
        .address_space:  global
        .offset:         24
        .size:           8
        .value_kind:     global_buffer
      - .actual_access:  read_only
        .address_space:  global
        .offset:         32
        .size:           8
        .value_kind:     global_buffer
      - .actual_access:  read_only
        .address_space:  global
        .offset:         40
        .size:           8
        .value_kind:     global_buffer
      - .actual_access:  read_only
        .address_space:  global
        .offset:         48
        .size:           8
        .value_kind:     global_buffer
      - .actual_access:  read_only
        .address_space:  global
        .offset:         56
        .size:           8
        .value_kind:     global_buffer
      - .actual_access:  read_only
        .address_space:  global
        .offset:         64
        .size:           8
        .value_kind:     global_buffer
      - .offset:         72
        .size:           8
        .value_kind:     by_value
      - .address_space:  global
        .offset:         80
        .size:           8
        .value_kind:     global_buffer
      - .offset:         88
        .size:           4
        .value_kind:     by_value
      - .offset:         92
        .size:           1
        .value_kind:     by_value
    .group_segment_fixed_size: 2116
    .kernarg_segment_align: 8
    .kernarg_segment_size: 96
    .language:       OpenCL C
    .language_version:
      - 2
      - 0
    .max_flat_workgroup_size: 529
    .name:           _ZN9rocsparseL20bsrxmvn_17_32_kernelILj23EfiifffEEvT2_20rocsparse_direction_NS_24const_host_device_scalarIT0_EES1_PKS1_PKT1_SA_S7_PKT3_PKT4_S5_PT5_21rocsparse_index_base_b
    .private_segment_fixed_size: 0
    .sgpr_count:     20
    .sgpr_spill_count: 0
    .symbol:         _ZN9rocsparseL20bsrxmvn_17_32_kernelILj23EfiifffEEvT2_20rocsparse_direction_NS_24const_host_device_scalarIT0_EES1_PKS1_PKT1_SA_S7_PKT3_PKT4_S5_PT5_21rocsparse_index_base_b.kd
    .uniform_work_group_size: 1
    .uses_dynamic_stack: false
    .vgpr_count:     11
    .vgpr_spill_count: 0
    .wavefront_size: 32
    .workgroup_processor_mode: 1
  - .args:
      - .offset:         0
        .size:           4
        .value_kind:     by_value
      - .offset:         4
        .size:           4
        .value_kind:     by_value
      - .offset:         8
        .size:           8
        .value_kind:     by_value
      - .offset:         16
        .size:           4
        .value_kind:     by_value
      - .actual_access:  read_only
        .address_space:  global
        .offset:         24
        .size:           8
        .value_kind:     global_buffer
      - .actual_access:  read_only
        .address_space:  global
        .offset:         32
        .size:           8
        .value_kind:     global_buffer
      - .actual_access:  read_only
        .address_space:  global
        .offset:         40
        .size:           8
        .value_kind:     global_buffer
      - .actual_access:  read_only
        .address_space:  global
        .offset:         48
        .size:           8
        .value_kind:     global_buffer
      - .actual_access:  read_only
        .address_space:  global
        .offset:         56
        .size:           8
        .value_kind:     global_buffer
      - .actual_access:  read_only
        .address_space:  global
        .offset:         64
        .size:           8
        .value_kind:     global_buffer
      - .offset:         72
        .size:           8
        .value_kind:     by_value
      - .address_space:  global
        .offset:         80
        .size:           8
        .value_kind:     global_buffer
      - .offset:         88
        .size:           4
        .value_kind:     by_value
      - .offset:         92
        .size:           1
        .value_kind:     by_value
    .group_segment_fixed_size: 2304
    .kernarg_segment_align: 8
    .kernarg_segment_size: 96
    .language:       OpenCL C
    .language_version:
      - 2
      - 0
    .max_flat_workgroup_size: 576
    .name:           _ZN9rocsparseL20bsrxmvn_17_32_kernelILj24EfiifffEEvT2_20rocsparse_direction_NS_24const_host_device_scalarIT0_EES1_PKS1_PKT1_SA_S7_PKT3_PKT4_S5_PT5_21rocsparse_index_base_b
    .private_segment_fixed_size: 0
    .sgpr_count:     20
    .sgpr_spill_count: 0
    .symbol:         _ZN9rocsparseL20bsrxmvn_17_32_kernelILj24EfiifffEEvT2_20rocsparse_direction_NS_24const_host_device_scalarIT0_EES1_PKS1_PKT1_SA_S7_PKT3_PKT4_S5_PT5_21rocsparse_index_base_b.kd
    .uniform_work_group_size: 1
    .uses_dynamic_stack: false
    .vgpr_count:     11
    .vgpr_spill_count: 0
    .wavefront_size: 32
    .workgroup_processor_mode: 1
  - .args:
      - .offset:         0
        .size:           4
        .value_kind:     by_value
      - .offset:         4
        .size:           4
        .value_kind:     by_value
      - .offset:         8
        .size:           8
        .value_kind:     by_value
      - .offset:         16
        .size:           4
        .value_kind:     by_value
      - .actual_access:  read_only
        .address_space:  global
        .offset:         24
        .size:           8
        .value_kind:     global_buffer
      - .actual_access:  read_only
        .address_space:  global
        .offset:         32
        .size:           8
        .value_kind:     global_buffer
      - .actual_access:  read_only
        .address_space:  global
        .offset:         40
        .size:           8
        .value_kind:     global_buffer
      - .actual_access:  read_only
        .address_space:  global
        .offset:         48
        .size:           8
        .value_kind:     global_buffer
      - .actual_access:  read_only
        .address_space:  global
        .offset:         56
        .size:           8
        .value_kind:     global_buffer
      - .actual_access:  read_only
        .address_space:  global
        .offset:         64
        .size:           8
        .value_kind:     global_buffer
      - .offset:         72
        .size:           8
        .value_kind:     by_value
      - .address_space:  global
        .offset:         80
        .size:           8
        .value_kind:     global_buffer
      - .offset:         88
        .size:           4
        .value_kind:     by_value
      - .offset:         92
        .size:           1
        .value_kind:     by_value
    .group_segment_fixed_size: 2500
    .kernarg_segment_align: 8
    .kernarg_segment_size: 96
    .language:       OpenCL C
    .language_version:
      - 2
      - 0
    .max_flat_workgroup_size: 625
    .name:           _ZN9rocsparseL20bsrxmvn_17_32_kernelILj25EfiifffEEvT2_20rocsparse_direction_NS_24const_host_device_scalarIT0_EES1_PKS1_PKT1_SA_S7_PKT3_PKT4_S5_PT5_21rocsparse_index_base_b
    .private_segment_fixed_size: 0
    .sgpr_count:     20
    .sgpr_spill_count: 0
    .symbol:         _ZN9rocsparseL20bsrxmvn_17_32_kernelILj25EfiifffEEvT2_20rocsparse_direction_NS_24const_host_device_scalarIT0_EES1_PKS1_PKT1_SA_S7_PKT3_PKT4_S5_PT5_21rocsparse_index_base_b.kd
    .uniform_work_group_size: 1
    .uses_dynamic_stack: false
    .vgpr_count:     11
    .vgpr_spill_count: 0
    .wavefront_size: 32
    .workgroup_processor_mode: 1
  - .args:
      - .offset:         0
        .size:           4
        .value_kind:     by_value
      - .offset:         4
        .size:           4
        .value_kind:     by_value
      - .offset:         8
        .size:           8
        .value_kind:     by_value
      - .offset:         16
        .size:           4
        .value_kind:     by_value
      - .actual_access:  read_only
        .address_space:  global
        .offset:         24
        .size:           8
        .value_kind:     global_buffer
      - .actual_access:  read_only
        .address_space:  global
        .offset:         32
        .size:           8
        .value_kind:     global_buffer
      - .actual_access:  read_only
        .address_space:  global
        .offset:         40
        .size:           8
        .value_kind:     global_buffer
      - .actual_access:  read_only
        .address_space:  global
        .offset:         48
        .size:           8
        .value_kind:     global_buffer
      - .actual_access:  read_only
        .address_space:  global
        .offset:         56
        .size:           8
        .value_kind:     global_buffer
      - .actual_access:  read_only
        .address_space:  global
        .offset:         64
        .size:           8
        .value_kind:     global_buffer
      - .offset:         72
        .size:           8
        .value_kind:     by_value
      - .address_space:  global
        .offset:         80
        .size:           8
        .value_kind:     global_buffer
      - .offset:         88
        .size:           4
        .value_kind:     by_value
      - .offset:         92
        .size:           1
        .value_kind:     by_value
    .group_segment_fixed_size: 2704
    .kernarg_segment_align: 8
    .kernarg_segment_size: 96
    .language:       OpenCL C
    .language_version:
      - 2
      - 0
    .max_flat_workgroup_size: 676
    .name:           _ZN9rocsparseL20bsrxmvn_17_32_kernelILj26EfiifffEEvT2_20rocsparse_direction_NS_24const_host_device_scalarIT0_EES1_PKS1_PKT1_SA_S7_PKT3_PKT4_S5_PT5_21rocsparse_index_base_b
    .private_segment_fixed_size: 0
    .sgpr_count:     20
    .sgpr_spill_count: 0
    .symbol:         _ZN9rocsparseL20bsrxmvn_17_32_kernelILj26EfiifffEEvT2_20rocsparse_direction_NS_24const_host_device_scalarIT0_EES1_PKS1_PKT1_SA_S7_PKT3_PKT4_S5_PT5_21rocsparse_index_base_b.kd
    .uniform_work_group_size: 1
    .uses_dynamic_stack: false
    .vgpr_count:     11
    .vgpr_spill_count: 0
    .wavefront_size: 32
    .workgroup_processor_mode: 1
  - .args:
      - .offset:         0
        .size:           4
        .value_kind:     by_value
      - .offset:         4
        .size:           4
        .value_kind:     by_value
      - .offset:         8
        .size:           8
        .value_kind:     by_value
      - .offset:         16
        .size:           4
        .value_kind:     by_value
      - .actual_access:  read_only
        .address_space:  global
        .offset:         24
        .size:           8
        .value_kind:     global_buffer
      - .actual_access:  read_only
        .address_space:  global
        .offset:         32
        .size:           8
        .value_kind:     global_buffer
      - .actual_access:  read_only
        .address_space:  global
        .offset:         40
        .size:           8
        .value_kind:     global_buffer
      - .actual_access:  read_only
        .address_space:  global
        .offset:         48
        .size:           8
        .value_kind:     global_buffer
      - .actual_access:  read_only
        .address_space:  global
        .offset:         56
        .size:           8
        .value_kind:     global_buffer
      - .actual_access:  read_only
        .address_space:  global
        .offset:         64
        .size:           8
        .value_kind:     global_buffer
      - .offset:         72
        .size:           8
        .value_kind:     by_value
      - .address_space:  global
        .offset:         80
        .size:           8
        .value_kind:     global_buffer
      - .offset:         88
        .size:           4
        .value_kind:     by_value
      - .offset:         92
        .size:           1
        .value_kind:     by_value
    .group_segment_fixed_size: 2916
    .kernarg_segment_align: 8
    .kernarg_segment_size: 96
    .language:       OpenCL C
    .language_version:
      - 2
      - 0
    .max_flat_workgroup_size: 729
    .name:           _ZN9rocsparseL20bsrxmvn_17_32_kernelILj27EfiifffEEvT2_20rocsparse_direction_NS_24const_host_device_scalarIT0_EES1_PKS1_PKT1_SA_S7_PKT3_PKT4_S5_PT5_21rocsparse_index_base_b
    .private_segment_fixed_size: 0
    .sgpr_count:     20
    .sgpr_spill_count: 0
    .symbol:         _ZN9rocsparseL20bsrxmvn_17_32_kernelILj27EfiifffEEvT2_20rocsparse_direction_NS_24const_host_device_scalarIT0_EES1_PKS1_PKT1_SA_S7_PKT3_PKT4_S5_PT5_21rocsparse_index_base_b.kd
    .uniform_work_group_size: 1
    .uses_dynamic_stack: false
    .vgpr_count:     11
    .vgpr_spill_count: 0
    .wavefront_size: 32
    .workgroup_processor_mode: 1
  - .args:
      - .offset:         0
        .size:           4
        .value_kind:     by_value
      - .offset:         4
        .size:           4
        .value_kind:     by_value
      - .offset:         8
        .size:           8
        .value_kind:     by_value
      - .offset:         16
        .size:           4
        .value_kind:     by_value
      - .actual_access:  read_only
        .address_space:  global
        .offset:         24
        .size:           8
        .value_kind:     global_buffer
      - .actual_access:  read_only
        .address_space:  global
        .offset:         32
        .size:           8
        .value_kind:     global_buffer
      - .actual_access:  read_only
        .address_space:  global
        .offset:         40
        .size:           8
        .value_kind:     global_buffer
      - .actual_access:  read_only
        .address_space:  global
        .offset:         48
        .size:           8
        .value_kind:     global_buffer
      - .actual_access:  read_only
        .address_space:  global
        .offset:         56
        .size:           8
        .value_kind:     global_buffer
      - .actual_access:  read_only
        .address_space:  global
        .offset:         64
        .size:           8
        .value_kind:     global_buffer
      - .offset:         72
        .size:           8
        .value_kind:     by_value
      - .address_space:  global
        .offset:         80
        .size:           8
        .value_kind:     global_buffer
      - .offset:         88
        .size:           4
        .value_kind:     by_value
      - .offset:         92
        .size:           1
        .value_kind:     by_value
    .group_segment_fixed_size: 3136
    .kernarg_segment_align: 8
    .kernarg_segment_size: 96
    .language:       OpenCL C
    .language_version:
      - 2
      - 0
    .max_flat_workgroup_size: 784
    .name:           _ZN9rocsparseL20bsrxmvn_17_32_kernelILj28EfiifffEEvT2_20rocsparse_direction_NS_24const_host_device_scalarIT0_EES1_PKS1_PKT1_SA_S7_PKT3_PKT4_S5_PT5_21rocsparse_index_base_b
    .private_segment_fixed_size: 0
    .sgpr_count:     20
    .sgpr_spill_count: 0
    .symbol:         _ZN9rocsparseL20bsrxmvn_17_32_kernelILj28EfiifffEEvT2_20rocsparse_direction_NS_24const_host_device_scalarIT0_EES1_PKS1_PKT1_SA_S7_PKT3_PKT4_S5_PT5_21rocsparse_index_base_b.kd
    .uniform_work_group_size: 1
    .uses_dynamic_stack: false
    .vgpr_count:     11
    .vgpr_spill_count: 0
    .wavefront_size: 32
    .workgroup_processor_mode: 1
  - .args:
      - .offset:         0
        .size:           4
        .value_kind:     by_value
      - .offset:         4
        .size:           4
        .value_kind:     by_value
      - .offset:         8
        .size:           8
        .value_kind:     by_value
      - .offset:         16
        .size:           4
        .value_kind:     by_value
      - .actual_access:  read_only
        .address_space:  global
        .offset:         24
        .size:           8
        .value_kind:     global_buffer
      - .actual_access:  read_only
        .address_space:  global
        .offset:         32
        .size:           8
        .value_kind:     global_buffer
      - .actual_access:  read_only
        .address_space:  global
        .offset:         40
        .size:           8
        .value_kind:     global_buffer
      - .actual_access:  read_only
        .address_space:  global
        .offset:         48
        .size:           8
        .value_kind:     global_buffer
      - .actual_access:  read_only
        .address_space:  global
        .offset:         56
        .size:           8
        .value_kind:     global_buffer
      - .actual_access:  read_only
        .address_space:  global
        .offset:         64
        .size:           8
        .value_kind:     global_buffer
      - .offset:         72
        .size:           8
        .value_kind:     by_value
      - .address_space:  global
        .offset:         80
        .size:           8
        .value_kind:     global_buffer
      - .offset:         88
        .size:           4
        .value_kind:     by_value
      - .offset:         92
        .size:           1
        .value_kind:     by_value
    .group_segment_fixed_size: 3364
    .kernarg_segment_align: 8
    .kernarg_segment_size: 96
    .language:       OpenCL C
    .language_version:
      - 2
      - 0
    .max_flat_workgroup_size: 841
    .name:           _ZN9rocsparseL20bsrxmvn_17_32_kernelILj29EfiifffEEvT2_20rocsparse_direction_NS_24const_host_device_scalarIT0_EES1_PKS1_PKT1_SA_S7_PKT3_PKT4_S5_PT5_21rocsparse_index_base_b
    .private_segment_fixed_size: 0
    .sgpr_count:     20
    .sgpr_spill_count: 0
    .symbol:         _ZN9rocsparseL20bsrxmvn_17_32_kernelILj29EfiifffEEvT2_20rocsparse_direction_NS_24const_host_device_scalarIT0_EES1_PKS1_PKT1_SA_S7_PKT3_PKT4_S5_PT5_21rocsparse_index_base_b.kd
    .uniform_work_group_size: 1
    .uses_dynamic_stack: false
    .vgpr_count:     11
    .vgpr_spill_count: 0
    .wavefront_size: 32
    .workgroup_processor_mode: 1
  - .args:
      - .offset:         0
        .size:           4
        .value_kind:     by_value
      - .offset:         4
        .size:           4
        .value_kind:     by_value
      - .offset:         8
        .size:           8
        .value_kind:     by_value
      - .offset:         16
        .size:           4
        .value_kind:     by_value
      - .actual_access:  read_only
        .address_space:  global
        .offset:         24
        .size:           8
        .value_kind:     global_buffer
      - .actual_access:  read_only
        .address_space:  global
        .offset:         32
        .size:           8
        .value_kind:     global_buffer
      - .actual_access:  read_only
        .address_space:  global
        .offset:         40
        .size:           8
        .value_kind:     global_buffer
      - .actual_access:  read_only
        .address_space:  global
        .offset:         48
        .size:           8
        .value_kind:     global_buffer
      - .actual_access:  read_only
        .address_space:  global
        .offset:         56
        .size:           8
        .value_kind:     global_buffer
      - .actual_access:  read_only
        .address_space:  global
        .offset:         64
        .size:           8
        .value_kind:     global_buffer
      - .offset:         72
        .size:           8
        .value_kind:     by_value
      - .address_space:  global
        .offset:         80
        .size:           8
        .value_kind:     global_buffer
      - .offset:         88
        .size:           4
        .value_kind:     by_value
      - .offset:         92
        .size:           1
        .value_kind:     by_value
    .group_segment_fixed_size: 3600
    .kernarg_segment_align: 8
    .kernarg_segment_size: 96
    .language:       OpenCL C
    .language_version:
      - 2
      - 0
    .max_flat_workgroup_size: 900
    .name:           _ZN9rocsparseL20bsrxmvn_17_32_kernelILj30EfiifffEEvT2_20rocsparse_direction_NS_24const_host_device_scalarIT0_EES1_PKS1_PKT1_SA_S7_PKT3_PKT4_S5_PT5_21rocsparse_index_base_b
    .private_segment_fixed_size: 0
    .sgpr_count:     20
    .sgpr_spill_count: 0
    .symbol:         _ZN9rocsparseL20bsrxmvn_17_32_kernelILj30EfiifffEEvT2_20rocsparse_direction_NS_24const_host_device_scalarIT0_EES1_PKS1_PKT1_SA_S7_PKT3_PKT4_S5_PT5_21rocsparse_index_base_b.kd
    .uniform_work_group_size: 1
    .uses_dynamic_stack: false
    .vgpr_count:     11
    .vgpr_spill_count: 0
    .wavefront_size: 32
    .workgroup_processor_mode: 1
  - .args:
      - .offset:         0
        .size:           4
        .value_kind:     by_value
      - .offset:         4
        .size:           4
        .value_kind:     by_value
      - .offset:         8
        .size:           8
        .value_kind:     by_value
      - .offset:         16
        .size:           4
        .value_kind:     by_value
      - .actual_access:  read_only
        .address_space:  global
        .offset:         24
        .size:           8
        .value_kind:     global_buffer
      - .actual_access:  read_only
        .address_space:  global
        .offset:         32
        .size:           8
        .value_kind:     global_buffer
      - .actual_access:  read_only
        .address_space:  global
        .offset:         40
        .size:           8
        .value_kind:     global_buffer
      - .actual_access:  read_only
        .address_space:  global
        .offset:         48
        .size:           8
        .value_kind:     global_buffer
      - .actual_access:  read_only
        .address_space:  global
        .offset:         56
        .size:           8
        .value_kind:     global_buffer
      - .actual_access:  read_only
        .address_space:  global
        .offset:         64
        .size:           8
        .value_kind:     global_buffer
      - .offset:         72
        .size:           8
        .value_kind:     by_value
      - .address_space:  global
        .offset:         80
        .size:           8
        .value_kind:     global_buffer
      - .offset:         88
        .size:           4
        .value_kind:     by_value
      - .offset:         92
        .size:           1
        .value_kind:     by_value
    .group_segment_fixed_size: 3844
    .kernarg_segment_align: 8
    .kernarg_segment_size: 96
    .language:       OpenCL C
    .language_version:
      - 2
      - 0
    .max_flat_workgroup_size: 961
    .name:           _ZN9rocsparseL20bsrxmvn_17_32_kernelILj31EfiifffEEvT2_20rocsparse_direction_NS_24const_host_device_scalarIT0_EES1_PKS1_PKT1_SA_S7_PKT3_PKT4_S5_PT5_21rocsparse_index_base_b
    .private_segment_fixed_size: 0
    .sgpr_count:     20
    .sgpr_spill_count: 0
    .symbol:         _ZN9rocsparseL20bsrxmvn_17_32_kernelILj31EfiifffEEvT2_20rocsparse_direction_NS_24const_host_device_scalarIT0_EES1_PKS1_PKT1_SA_S7_PKT3_PKT4_S5_PT5_21rocsparse_index_base_b.kd
    .uniform_work_group_size: 1
    .uses_dynamic_stack: false
    .vgpr_count:     11
    .vgpr_spill_count: 0
    .wavefront_size: 32
    .workgroup_processor_mode: 1
  - .args:
      - .offset:         0
        .size:           4
        .value_kind:     by_value
      - .offset:         4
        .size:           4
        .value_kind:     by_value
      - .offset:         8
        .size:           8
        .value_kind:     by_value
      - .offset:         16
        .size:           4
        .value_kind:     by_value
      - .actual_access:  read_only
        .address_space:  global
        .offset:         24
        .size:           8
        .value_kind:     global_buffer
      - .actual_access:  read_only
        .address_space:  global
        .offset:         32
        .size:           8
        .value_kind:     global_buffer
      - .actual_access:  read_only
        .address_space:  global
        .offset:         40
        .size:           8
        .value_kind:     global_buffer
      - .actual_access:  read_only
        .address_space:  global
        .offset:         48
        .size:           8
        .value_kind:     global_buffer
      - .actual_access:  read_only
        .address_space:  global
        .offset:         56
        .size:           8
        .value_kind:     global_buffer
      - .actual_access:  read_only
        .address_space:  global
        .offset:         64
        .size:           8
        .value_kind:     global_buffer
      - .offset:         72
        .size:           8
        .value_kind:     by_value
      - .address_space:  global
        .offset:         80
        .size:           8
        .value_kind:     global_buffer
      - .offset:         88
        .size:           4
        .value_kind:     by_value
      - .offset:         92
        .size:           1
        .value_kind:     by_value
    .group_segment_fixed_size: 4096
    .kernarg_segment_align: 8
    .kernarg_segment_size: 96
    .language:       OpenCL C
    .language_version:
      - 2
      - 0
    .max_flat_workgroup_size: 1024
    .name:           _ZN9rocsparseL20bsrxmvn_17_32_kernelILj32EfiifffEEvT2_20rocsparse_direction_NS_24const_host_device_scalarIT0_EES1_PKS1_PKT1_SA_S7_PKT3_PKT4_S5_PT5_21rocsparse_index_base_b
    .private_segment_fixed_size: 0
    .sgpr_count:     24
    .sgpr_spill_count: 0
    .symbol:         _ZN9rocsparseL20bsrxmvn_17_32_kernelILj32EfiifffEEvT2_20rocsparse_direction_NS_24const_host_device_scalarIT0_EES1_PKS1_PKT1_SA_S7_PKT3_PKT4_S5_PT5_21rocsparse_index_base_b.kd
    .uniform_work_group_size: 1
    .uses_dynamic_stack: false
    .vgpr_count:     9
    .vgpr_spill_count: 0
    .wavefront_size: 32
    .workgroup_processor_mode: 1
  - .args:
      - .offset:         0
        .size:           4
        .value_kind:     by_value
      - .offset:         4
        .size:           4
        .value_kind:     by_value
      - .offset:         8
        .size:           8
        .value_kind:     by_value
      - .offset:         16
        .size:           4
        .value_kind:     by_value
      - .actual_access:  read_only
        .address_space:  global
        .offset:         24
        .size:           8
        .value_kind:     global_buffer
      - .actual_access:  read_only
        .address_space:  global
        .offset:         32
        .size:           8
        .value_kind:     global_buffer
      - .actual_access:  read_only
        .address_space:  global
        .offset:         40
        .size:           8
        .value_kind:     global_buffer
      - .actual_access:  read_only
        .address_space:  global
        .offset:         48
        .size:           8
        .value_kind:     global_buffer
      - .actual_access:  read_only
        .address_space:  global
        .offset:         56
        .size:           8
        .value_kind:     global_buffer
      - .actual_access:  read_only
        .address_space:  global
        .offset:         64
        .size:           8
        .value_kind:     global_buffer
      - .offset:         72
        .size:           8
        .value_kind:     by_value
      - .address_space:  global
        .offset:         80
        .size:           8
        .value_kind:     global_buffer
      - .offset:         88
        .size:           4
        .value_kind:     by_value
      - .offset:         92
        .size:           1
        .value_kind:     by_value
    .group_segment_fixed_size: 2312
    .kernarg_segment_align: 8
    .kernarg_segment_size: 96
    .language:       OpenCL C
    .language_version:
      - 2
      - 0
    .max_flat_workgroup_size: 289
    .name:           _ZN9rocsparseL20bsrxmvn_17_32_kernelILj17EdiidddEEvT2_20rocsparse_direction_NS_24const_host_device_scalarIT0_EES1_PKS1_PKT1_SA_S7_PKT3_PKT4_S5_PT5_21rocsparse_index_base_b
    .private_segment_fixed_size: 0
    .sgpr_count:     18
    .sgpr_spill_count: 0
    .symbol:         _ZN9rocsparseL20bsrxmvn_17_32_kernelILj17EdiidddEEvT2_20rocsparse_direction_NS_24const_host_device_scalarIT0_EES1_PKS1_PKT1_SA_S7_PKT3_PKT4_S5_PT5_21rocsparse_index_base_b.kd
    .uniform_work_group_size: 1
    .uses_dynamic_stack: false
    .vgpr_count:     17
    .vgpr_spill_count: 0
    .wavefront_size: 32
    .workgroup_processor_mode: 1
  - .args:
      - .offset:         0
        .size:           4
        .value_kind:     by_value
      - .offset:         4
        .size:           4
        .value_kind:     by_value
      - .offset:         8
        .size:           8
        .value_kind:     by_value
      - .offset:         16
        .size:           4
        .value_kind:     by_value
      - .actual_access:  read_only
        .address_space:  global
        .offset:         24
        .size:           8
        .value_kind:     global_buffer
      - .actual_access:  read_only
        .address_space:  global
        .offset:         32
        .size:           8
        .value_kind:     global_buffer
      - .actual_access:  read_only
        .address_space:  global
        .offset:         40
        .size:           8
        .value_kind:     global_buffer
      - .actual_access:  read_only
        .address_space:  global
        .offset:         48
        .size:           8
        .value_kind:     global_buffer
      - .actual_access:  read_only
        .address_space:  global
        .offset:         56
        .size:           8
        .value_kind:     global_buffer
      - .actual_access:  read_only
        .address_space:  global
        .offset:         64
        .size:           8
        .value_kind:     global_buffer
      - .offset:         72
        .size:           8
        .value_kind:     by_value
      - .address_space:  global
        .offset:         80
        .size:           8
        .value_kind:     global_buffer
      - .offset:         88
        .size:           4
        .value_kind:     by_value
      - .offset:         92
        .size:           1
        .value_kind:     by_value
    .group_segment_fixed_size: 2592
    .kernarg_segment_align: 8
    .kernarg_segment_size: 96
    .language:       OpenCL C
    .language_version:
      - 2
      - 0
    .max_flat_workgroup_size: 324
    .name:           _ZN9rocsparseL20bsrxmvn_17_32_kernelILj18EdiidddEEvT2_20rocsparse_direction_NS_24const_host_device_scalarIT0_EES1_PKS1_PKT1_SA_S7_PKT3_PKT4_S5_PT5_21rocsparse_index_base_b
    .private_segment_fixed_size: 0
    .sgpr_count:     18
    .sgpr_spill_count: 0
    .symbol:         _ZN9rocsparseL20bsrxmvn_17_32_kernelILj18EdiidddEEvT2_20rocsparse_direction_NS_24const_host_device_scalarIT0_EES1_PKS1_PKT1_SA_S7_PKT3_PKT4_S5_PT5_21rocsparse_index_base_b.kd
    .uniform_work_group_size: 1
    .uses_dynamic_stack: false
    .vgpr_count:     17
    .vgpr_spill_count: 0
    .wavefront_size: 32
    .workgroup_processor_mode: 1
  - .args:
      - .offset:         0
        .size:           4
        .value_kind:     by_value
      - .offset:         4
        .size:           4
        .value_kind:     by_value
      - .offset:         8
        .size:           8
        .value_kind:     by_value
      - .offset:         16
        .size:           4
        .value_kind:     by_value
      - .actual_access:  read_only
        .address_space:  global
        .offset:         24
        .size:           8
        .value_kind:     global_buffer
      - .actual_access:  read_only
        .address_space:  global
        .offset:         32
        .size:           8
        .value_kind:     global_buffer
      - .actual_access:  read_only
        .address_space:  global
        .offset:         40
        .size:           8
        .value_kind:     global_buffer
      - .actual_access:  read_only
        .address_space:  global
        .offset:         48
        .size:           8
        .value_kind:     global_buffer
      - .actual_access:  read_only
        .address_space:  global
        .offset:         56
        .size:           8
        .value_kind:     global_buffer
      - .actual_access:  read_only
        .address_space:  global
        .offset:         64
        .size:           8
        .value_kind:     global_buffer
      - .offset:         72
        .size:           8
        .value_kind:     by_value
      - .address_space:  global
        .offset:         80
        .size:           8
        .value_kind:     global_buffer
      - .offset:         88
        .size:           4
        .value_kind:     by_value
      - .offset:         92
        .size:           1
        .value_kind:     by_value
    .group_segment_fixed_size: 2888
    .kernarg_segment_align: 8
    .kernarg_segment_size: 96
    .language:       OpenCL C
    .language_version:
      - 2
      - 0
    .max_flat_workgroup_size: 361
    .name:           _ZN9rocsparseL20bsrxmvn_17_32_kernelILj19EdiidddEEvT2_20rocsparse_direction_NS_24const_host_device_scalarIT0_EES1_PKS1_PKT1_SA_S7_PKT3_PKT4_S5_PT5_21rocsparse_index_base_b
    .private_segment_fixed_size: 0
    .sgpr_count:     18
    .sgpr_spill_count: 0
    .symbol:         _ZN9rocsparseL20bsrxmvn_17_32_kernelILj19EdiidddEEvT2_20rocsparse_direction_NS_24const_host_device_scalarIT0_EES1_PKS1_PKT1_SA_S7_PKT3_PKT4_S5_PT5_21rocsparse_index_base_b.kd
    .uniform_work_group_size: 1
    .uses_dynamic_stack: false
    .vgpr_count:     17
    .vgpr_spill_count: 0
    .wavefront_size: 32
    .workgroup_processor_mode: 1
  - .args:
      - .offset:         0
        .size:           4
        .value_kind:     by_value
      - .offset:         4
        .size:           4
        .value_kind:     by_value
      - .offset:         8
        .size:           8
        .value_kind:     by_value
      - .offset:         16
        .size:           4
        .value_kind:     by_value
      - .actual_access:  read_only
        .address_space:  global
        .offset:         24
        .size:           8
        .value_kind:     global_buffer
      - .actual_access:  read_only
        .address_space:  global
        .offset:         32
        .size:           8
        .value_kind:     global_buffer
      - .actual_access:  read_only
        .address_space:  global
        .offset:         40
        .size:           8
        .value_kind:     global_buffer
      - .actual_access:  read_only
        .address_space:  global
        .offset:         48
        .size:           8
        .value_kind:     global_buffer
      - .actual_access:  read_only
        .address_space:  global
        .offset:         56
        .size:           8
        .value_kind:     global_buffer
      - .actual_access:  read_only
        .address_space:  global
        .offset:         64
        .size:           8
        .value_kind:     global_buffer
      - .offset:         72
        .size:           8
        .value_kind:     by_value
      - .address_space:  global
        .offset:         80
        .size:           8
        .value_kind:     global_buffer
      - .offset:         88
        .size:           4
        .value_kind:     by_value
      - .offset:         92
        .size:           1
        .value_kind:     by_value
    .group_segment_fixed_size: 3200
    .kernarg_segment_align: 8
    .kernarg_segment_size: 96
    .language:       OpenCL C
    .language_version:
      - 2
      - 0
    .max_flat_workgroup_size: 400
    .name:           _ZN9rocsparseL20bsrxmvn_17_32_kernelILj20EdiidddEEvT2_20rocsparse_direction_NS_24const_host_device_scalarIT0_EES1_PKS1_PKT1_SA_S7_PKT3_PKT4_S5_PT5_21rocsparse_index_base_b
    .private_segment_fixed_size: 0
    .sgpr_count:     18
    .sgpr_spill_count: 0
    .symbol:         _ZN9rocsparseL20bsrxmvn_17_32_kernelILj20EdiidddEEvT2_20rocsparse_direction_NS_24const_host_device_scalarIT0_EES1_PKS1_PKT1_SA_S7_PKT3_PKT4_S5_PT5_21rocsparse_index_base_b.kd
    .uniform_work_group_size: 1
    .uses_dynamic_stack: false
    .vgpr_count:     17
    .vgpr_spill_count: 0
    .wavefront_size: 32
    .workgroup_processor_mode: 1
  - .args:
      - .offset:         0
        .size:           4
        .value_kind:     by_value
      - .offset:         4
        .size:           4
        .value_kind:     by_value
      - .offset:         8
        .size:           8
        .value_kind:     by_value
      - .offset:         16
        .size:           4
        .value_kind:     by_value
      - .actual_access:  read_only
        .address_space:  global
        .offset:         24
        .size:           8
        .value_kind:     global_buffer
      - .actual_access:  read_only
        .address_space:  global
        .offset:         32
        .size:           8
        .value_kind:     global_buffer
      - .actual_access:  read_only
        .address_space:  global
        .offset:         40
        .size:           8
        .value_kind:     global_buffer
      - .actual_access:  read_only
        .address_space:  global
        .offset:         48
        .size:           8
        .value_kind:     global_buffer
      - .actual_access:  read_only
        .address_space:  global
        .offset:         56
        .size:           8
        .value_kind:     global_buffer
      - .actual_access:  read_only
        .address_space:  global
        .offset:         64
        .size:           8
        .value_kind:     global_buffer
      - .offset:         72
        .size:           8
        .value_kind:     by_value
      - .address_space:  global
        .offset:         80
        .size:           8
        .value_kind:     global_buffer
      - .offset:         88
        .size:           4
        .value_kind:     by_value
      - .offset:         92
        .size:           1
        .value_kind:     by_value
    .group_segment_fixed_size: 3528
    .kernarg_segment_align: 8
    .kernarg_segment_size: 96
    .language:       OpenCL C
    .language_version:
      - 2
      - 0
    .max_flat_workgroup_size: 441
    .name:           _ZN9rocsparseL20bsrxmvn_17_32_kernelILj21EdiidddEEvT2_20rocsparse_direction_NS_24const_host_device_scalarIT0_EES1_PKS1_PKT1_SA_S7_PKT3_PKT4_S5_PT5_21rocsparse_index_base_b
    .private_segment_fixed_size: 0
    .sgpr_count:     18
    .sgpr_spill_count: 0
    .symbol:         _ZN9rocsparseL20bsrxmvn_17_32_kernelILj21EdiidddEEvT2_20rocsparse_direction_NS_24const_host_device_scalarIT0_EES1_PKS1_PKT1_SA_S7_PKT3_PKT4_S5_PT5_21rocsparse_index_base_b.kd
    .uniform_work_group_size: 1
    .uses_dynamic_stack: false
    .vgpr_count:     17
    .vgpr_spill_count: 0
    .wavefront_size: 32
    .workgroup_processor_mode: 1
  - .args:
      - .offset:         0
        .size:           4
        .value_kind:     by_value
      - .offset:         4
        .size:           4
        .value_kind:     by_value
      - .offset:         8
        .size:           8
        .value_kind:     by_value
      - .offset:         16
        .size:           4
        .value_kind:     by_value
      - .actual_access:  read_only
        .address_space:  global
        .offset:         24
        .size:           8
        .value_kind:     global_buffer
      - .actual_access:  read_only
        .address_space:  global
        .offset:         32
        .size:           8
        .value_kind:     global_buffer
      - .actual_access:  read_only
        .address_space:  global
        .offset:         40
        .size:           8
        .value_kind:     global_buffer
      - .actual_access:  read_only
        .address_space:  global
        .offset:         48
        .size:           8
        .value_kind:     global_buffer
      - .actual_access:  read_only
        .address_space:  global
        .offset:         56
        .size:           8
        .value_kind:     global_buffer
      - .actual_access:  read_only
        .address_space:  global
        .offset:         64
        .size:           8
        .value_kind:     global_buffer
      - .offset:         72
        .size:           8
        .value_kind:     by_value
      - .address_space:  global
        .offset:         80
        .size:           8
        .value_kind:     global_buffer
      - .offset:         88
        .size:           4
        .value_kind:     by_value
      - .offset:         92
        .size:           1
        .value_kind:     by_value
    .group_segment_fixed_size: 3872
    .kernarg_segment_align: 8
    .kernarg_segment_size: 96
    .language:       OpenCL C
    .language_version:
      - 2
      - 0
    .max_flat_workgroup_size: 484
    .name:           _ZN9rocsparseL20bsrxmvn_17_32_kernelILj22EdiidddEEvT2_20rocsparse_direction_NS_24const_host_device_scalarIT0_EES1_PKS1_PKT1_SA_S7_PKT3_PKT4_S5_PT5_21rocsparse_index_base_b
    .private_segment_fixed_size: 0
    .sgpr_count:     18
    .sgpr_spill_count: 0
    .symbol:         _ZN9rocsparseL20bsrxmvn_17_32_kernelILj22EdiidddEEvT2_20rocsparse_direction_NS_24const_host_device_scalarIT0_EES1_PKS1_PKT1_SA_S7_PKT3_PKT4_S5_PT5_21rocsparse_index_base_b.kd
    .uniform_work_group_size: 1
    .uses_dynamic_stack: false
    .vgpr_count:     17
    .vgpr_spill_count: 0
    .wavefront_size: 32
    .workgroup_processor_mode: 1
  - .args:
      - .offset:         0
        .size:           4
        .value_kind:     by_value
      - .offset:         4
        .size:           4
        .value_kind:     by_value
      - .offset:         8
        .size:           8
        .value_kind:     by_value
      - .offset:         16
        .size:           4
        .value_kind:     by_value
      - .actual_access:  read_only
        .address_space:  global
        .offset:         24
        .size:           8
        .value_kind:     global_buffer
      - .actual_access:  read_only
        .address_space:  global
        .offset:         32
        .size:           8
        .value_kind:     global_buffer
      - .actual_access:  read_only
        .address_space:  global
        .offset:         40
        .size:           8
        .value_kind:     global_buffer
      - .actual_access:  read_only
        .address_space:  global
        .offset:         48
        .size:           8
        .value_kind:     global_buffer
      - .actual_access:  read_only
        .address_space:  global
        .offset:         56
        .size:           8
        .value_kind:     global_buffer
      - .actual_access:  read_only
        .address_space:  global
        .offset:         64
        .size:           8
        .value_kind:     global_buffer
      - .offset:         72
        .size:           8
        .value_kind:     by_value
      - .address_space:  global
        .offset:         80
        .size:           8
        .value_kind:     global_buffer
      - .offset:         88
        .size:           4
        .value_kind:     by_value
      - .offset:         92
        .size:           1
        .value_kind:     by_value
    .group_segment_fixed_size: 4232
    .kernarg_segment_align: 8
    .kernarg_segment_size: 96
    .language:       OpenCL C
    .language_version:
      - 2
      - 0
    .max_flat_workgroup_size: 529
    .name:           _ZN9rocsparseL20bsrxmvn_17_32_kernelILj23EdiidddEEvT2_20rocsparse_direction_NS_24const_host_device_scalarIT0_EES1_PKS1_PKT1_SA_S7_PKT3_PKT4_S5_PT5_21rocsparse_index_base_b
    .private_segment_fixed_size: 0
    .sgpr_count:     18
    .sgpr_spill_count: 0
    .symbol:         _ZN9rocsparseL20bsrxmvn_17_32_kernelILj23EdiidddEEvT2_20rocsparse_direction_NS_24const_host_device_scalarIT0_EES1_PKS1_PKT1_SA_S7_PKT3_PKT4_S5_PT5_21rocsparse_index_base_b.kd
    .uniform_work_group_size: 1
    .uses_dynamic_stack: false
    .vgpr_count:     17
    .vgpr_spill_count: 0
    .wavefront_size: 32
    .workgroup_processor_mode: 1
  - .args:
      - .offset:         0
        .size:           4
        .value_kind:     by_value
      - .offset:         4
        .size:           4
        .value_kind:     by_value
      - .offset:         8
        .size:           8
        .value_kind:     by_value
      - .offset:         16
        .size:           4
        .value_kind:     by_value
      - .actual_access:  read_only
        .address_space:  global
        .offset:         24
        .size:           8
        .value_kind:     global_buffer
      - .actual_access:  read_only
        .address_space:  global
        .offset:         32
        .size:           8
        .value_kind:     global_buffer
      - .actual_access:  read_only
        .address_space:  global
        .offset:         40
        .size:           8
        .value_kind:     global_buffer
      - .actual_access:  read_only
        .address_space:  global
        .offset:         48
        .size:           8
        .value_kind:     global_buffer
      - .actual_access:  read_only
        .address_space:  global
        .offset:         56
        .size:           8
        .value_kind:     global_buffer
      - .actual_access:  read_only
        .address_space:  global
        .offset:         64
        .size:           8
        .value_kind:     global_buffer
      - .offset:         72
        .size:           8
        .value_kind:     by_value
      - .address_space:  global
        .offset:         80
        .size:           8
        .value_kind:     global_buffer
      - .offset:         88
        .size:           4
        .value_kind:     by_value
      - .offset:         92
        .size:           1
        .value_kind:     by_value
    .group_segment_fixed_size: 4608
    .kernarg_segment_align: 8
    .kernarg_segment_size: 96
    .language:       OpenCL C
    .language_version:
      - 2
      - 0
    .max_flat_workgroup_size: 576
    .name:           _ZN9rocsparseL20bsrxmvn_17_32_kernelILj24EdiidddEEvT2_20rocsparse_direction_NS_24const_host_device_scalarIT0_EES1_PKS1_PKT1_SA_S7_PKT3_PKT4_S5_PT5_21rocsparse_index_base_b
    .private_segment_fixed_size: 0
    .sgpr_count:     18
    .sgpr_spill_count: 0
    .symbol:         _ZN9rocsparseL20bsrxmvn_17_32_kernelILj24EdiidddEEvT2_20rocsparse_direction_NS_24const_host_device_scalarIT0_EES1_PKS1_PKT1_SA_S7_PKT3_PKT4_S5_PT5_21rocsparse_index_base_b.kd
    .uniform_work_group_size: 1
    .uses_dynamic_stack: false
    .vgpr_count:     17
    .vgpr_spill_count: 0
    .wavefront_size: 32
    .workgroup_processor_mode: 1
  - .args:
      - .offset:         0
        .size:           4
        .value_kind:     by_value
      - .offset:         4
        .size:           4
        .value_kind:     by_value
      - .offset:         8
        .size:           8
        .value_kind:     by_value
      - .offset:         16
        .size:           4
        .value_kind:     by_value
      - .actual_access:  read_only
        .address_space:  global
        .offset:         24
        .size:           8
        .value_kind:     global_buffer
      - .actual_access:  read_only
        .address_space:  global
        .offset:         32
        .size:           8
        .value_kind:     global_buffer
      - .actual_access:  read_only
        .address_space:  global
        .offset:         40
        .size:           8
        .value_kind:     global_buffer
      - .actual_access:  read_only
        .address_space:  global
        .offset:         48
        .size:           8
        .value_kind:     global_buffer
      - .actual_access:  read_only
        .address_space:  global
        .offset:         56
        .size:           8
        .value_kind:     global_buffer
      - .actual_access:  read_only
        .address_space:  global
        .offset:         64
        .size:           8
        .value_kind:     global_buffer
      - .offset:         72
        .size:           8
        .value_kind:     by_value
      - .address_space:  global
        .offset:         80
        .size:           8
        .value_kind:     global_buffer
      - .offset:         88
        .size:           4
        .value_kind:     by_value
      - .offset:         92
        .size:           1
        .value_kind:     by_value
    .group_segment_fixed_size: 5000
    .kernarg_segment_align: 8
    .kernarg_segment_size: 96
    .language:       OpenCL C
    .language_version:
      - 2
      - 0
    .max_flat_workgroup_size: 625
    .name:           _ZN9rocsparseL20bsrxmvn_17_32_kernelILj25EdiidddEEvT2_20rocsparse_direction_NS_24const_host_device_scalarIT0_EES1_PKS1_PKT1_SA_S7_PKT3_PKT4_S5_PT5_21rocsparse_index_base_b
    .private_segment_fixed_size: 0
    .sgpr_count:     18
    .sgpr_spill_count: 0
    .symbol:         _ZN9rocsparseL20bsrxmvn_17_32_kernelILj25EdiidddEEvT2_20rocsparse_direction_NS_24const_host_device_scalarIT0_EES1_PKS1_PKT1_SA_S7_PKT3_PKT4_S5_PT5_21rocsparse_index_base_b.kd
    .uniform_work_group_size: 1
    .uses_dynamic_stack: false
    .vgpr_count:     17
    .vgpr_spill_count: 0
    .wavefront_size: 32
    .workgroup_processor_mode: 1
  - .args:
      - .offset:         0
        .size:           4
        .value_kind:     by_value
      - .offset:         4
        .size:           4
        .value_kind:     by_value
      - .offset:         8
        .size:           8
        .value_kind:     by_value
      - .offset:         16
        .size:           4
        .value_kind:     by_value
      - .actual_access:  read_only
        .address_space:  global
        .offset:         24
        .size:           8
        .value_kind:     global_buffer
      - .actual_access:  read_only
        .address_space:  global
        .offset:         32
        .size:           8
        .value_kind:     global_buffer
      - .actual_access:  read_only
        .address_space:  global
        .offset:         40
        .size:           8
        .value_kind:     global_buffer
      - .actual_access:  read_only
        .address_space:  global
        .offset:         48
        .size:           8
        .value_kind:     global_buffer
      - .actual_access:  read_only
        .address_space:  global
        .offset:         56
        .size:           8
        .value_kind:     global_buffer
      - .actual_access:  read_only
        .address_space:  global
        .offset:         64
        .size:           8
        .value_kind:     global_buffer
      - .offset:         72
        .size:           8
        .value_kind:     by_value
      - .address_space:  global
        .offset:         80
        .size:           8
        .value_kind:     global_buffer
      - .offset:         88
        .size:           4
        .value_kind:     by_value
      - .offset:         92
        .size:           1
        .value_kind:     by_value
    .group_segment_fixed_size: 5408
    .kernarg_segment_align: 8
    .kernarg_segment_size: 96
    .language:       OpenCL C
    .language_version:
      - 2
      - 0
    .max_flat_workgroup_size: 676
    .name:           _ZN9rocsparseL20bsrxmvn_17_32_kernelILj26EdiidddEEvT2_20rocsparse_direction_NS_24const_host_device_scalarIT0_EES1_PKS1_PKT1_SA_S7_PKT3_PKT4_S5_PT5_21rocsparse_index_base_b
    .private_segment_fixed_size: 0
    .sgpr_count:     18
    .sgpr_spill_count: 0
    .symbol:         _ZN9rocsparseL20bsrxmvn_17_32_kernelILj26EdiidddEEvT2_20rocsparse_direction_NS_24const_host_device_scalarIT0_EES1_PKS1_PKT1_SA_S7_PKT3_PKT4_S5_PT5_21rocsparse_index_base_b.kd
    .uniform_work_group_size: 1
    .uses_dynamic_stack: false
    .vgpr_count:     17
    .vgpr_spill_count: 0
    .wavefront_size: 32
    .workgroup_processor_mode: 1
  - .args:
      - .offset:         0
        .size:           4
        .value_kind:     by_value
      - .offset:         4
        .size:           4
        .value_kind:     by_value
      - .offset:         8
        .size:           8
        .value_kind:     by_value
      - .offset:         16
        .size:           4
        .value_kind:     by_value
      - .actual_access:  read_only
        .address_space:  global
        .offset:         24
        .size:           8
        .value_kind:     global_buffer
      - .actual_access:  read_only
        .address_space:  global
        .offset:         32
        .size:           8
        .value_kind:     global_buffer
      - .actual_access:  read_only
        .address_space:  global
        .offset:         40
        .size:           8
        .value_kind:     global_buffer
      - .actual_access:  read_only
        .address_space:  global
        .offset:         48
        .size:           8
        .value_kind:     global_buffer
      - .actual_access:  read_only
        .address_space:  global
        .offset:         56
        .size:           8
        .value_kind:     global_buffer
      - .actual_access:  read_only
        .address_space:  global
        .offset:         64
        .size:           8
        .value_kind:     global_buffer
      - .offset:         72
        .size:           8
        .value_kind:     by_value
      - .address_space:  global
        .offset:         80
        .size:           8
        .value_kind:     global_buffer
      - .offset:         88
        .size:           4
        .value_kind:     by_value
      - .offset:         92
        .size:           1
        .value_kind:     by_value
    .group_segment_fixed_size: 5832
    .kernarg_segment_align: 8
    .kernarg_segment_size: 96
    .language:       OpenCL C
    .language_version:
      - 2
      - 0
    .max_flat_workgroup_size: 729
    .name:           _ZN9rocsparseL20bsrxmvn_17_32_kernelILj27EdiidddEEvT2_20rocsparse_direction_NS_24const_host_device_scalarIT0_EES1_PKS1_PKT1_SA_S7_PKT3_PKT4_S5_PT5_21rocsparse_index_base_b
    .private_segment_fixed_size: 0
    .sgpr_count:     18
    .sgpr_spill_count: 0
    .symbol:         _ZN9rocsparseL20bsrxmvn_17_32_kernelILj27EdiidddEEvT2_20rocsparse_direction_NS_24const_host_device_scalarIT0_EES1_PKS1_PKT1_SA_S7_PKT3_PKT4_S5_PT5_21rocsparse_index_base_b.kd
    .uniform_work_group_size: 1
    .uses_dynamic_stack: false
    .vgpr_count:     17
    .vgpr_spill_count: 0
    .wavefront_size: 32
    .workgroup_processor_mode: 1
  - .args:
      - .offset:         0
        .size:           4
        .value_kind:     by_value
      - .offset:         4
        .size:           4
        .value_kind:     by_value
      - .offset:         8
        .size:           8
        .value_kind:     by_value
      - .offset:         16
        .size:           4
        .value_kind:     by_value
      - .actual_access:  read_only
        .address_space:  global
        .offset:         24
        .size:           8
        .value_kind:     global_buffer
      - .actual_access:  read_only
        .address_space:  global
        .offset:         32
        .size:           8
        .value_kind:     global_buffer
      - .actual_access:  read_only
        .address_space:  global
        .offset:         40
        .size:           8
        .value_kind:     global_buffer
      - .actual_access:  read_only
        .address_space:  global
        .offset:         48
        .size:           8
        .value_kind:     global_buffer
      - .actual_access:  read_only
        .address_space:  global
        .offset:         56
        .size:           8
        .value_kind:     global_buffer
      - .actual_access:  read_only
        .address_space:  global
        .offset:         64
        .size:           8
        .value_kind:     global_buffer
      - .offset:         72
        .size:           8
        .value_kind:     by_value
      - .address_space:  global
        .offset:         80
        .size:           8
        .value_kind:     global_buffer
      - .offset:         88
        .size:           4
        .value_kind:     by_value
      - .offset:         92
        .size:           1
        .value_kind:     by_value
    .group_segment_fixed_size: 6272
    .kernarg_segment_align: 8
    .kernarg_segment_size: 96
    .language:       OpenCL C
    .language_version:
      - 2
      - 0
    .max_flat_workgroup_size: 784
    .name:           _ZN9rocsparseL20bsrxmvn_17_32_kernelILj28EdiidddEEvT2_20rocsparse_direction_NS_24const_host_device_scalarIT0_EES1_PKS1_PKT1_SA_S7_PKT3_PKT4_S5_PT5_21rocsparse_index_base_b
    .private_segment_fixed_size: 0
    .sgpr_count:     18
    .sgpr_spill_count: 0
    .symbol:         _ZN9rocsparseL20bsrxmvn_17_32_kernelILj28EdiidddEEvT2_20rocsparse_direction_NS_24const_host_device_scalarIT0_EES1_PKS1_PKT1_SA_S7_PKT3_PKT4_S5_PT5_21rocsparse_index_base_b.kd
    .uniform_work_group_size: 1
    .uses_dynamic_stack: false
    .vgpr_count:     17
    .vgpr_spill_count: 0
    .wavefront_size: 32
    .workgroup_processor_mode: 1
  - .args:
      - .offset:         0
        .size:           4
        .value_kind:     by_value
      - .offset:         4
        .size:           4
        .value_kind:     by_value
      - .offset:         8
        .size:           8
        .value_kind:     by_value
      - .offset:         16
        .size:           4
        .value_kind:     by_value
      - .actual_access:  read_only
        .address_space:  global
        .offset:         24
        .size:           8
        .value_kind:     global_buffer
      - .actual_access:  read_only
        .address_space:  global
        .offset:         32
        .size:           8
        .value_kind:     global_buffer
      - .actual_access:  read_only
        .address_space:  global
        .offset:         40
        .size:           8
        .value_kind:     global_buffer
      - .actual_access:  read_only
        .address_space:  global
        .offset:         48
        .size:           8
        .value_kind:     global_buffer
      - .actual_access:  read_only
        .address_space:  global
        .offset:         56
        .size:           8
        .value_kind:     global_buffer
      - .actual_access:  read_only
        .address_space:  global
        .offset:         64
        .size:           8
        .value_kind:     global_buffer
      - .offset:         72
        .size:           8
        .value_kind:     by_value
      - .address_space:  global
        .offset:         80
        .size:           8
        .value_kind:     global_buffer
      - .offset:         88
        .size:           4
        .value_kind:     by_value
      - .offset:         92
        .size:           1
        .value_kind:     by_value
    .group_segment_fixed_size: 6728
    .kernarg_segment_align: 8
    .kernarg_segment_size: 96
    .language:       OpenCL C
    .language_version:
      - 2
      - 0
    .max_flat_workgroup_size: 841
    .name:           _ZN9rocsparseL20bsrxmvn_17_32_kernelILj29EdiidddEEvT2_20rocsparse_direction_NS_24const_host_device_scalarIT0_EES1_PKS1_PKT1_SA_S7_PKT3_PKT4_S5_PT5_21rocsparse_index_base_b
    .private_segment_fixed_size: 0
    .sgpr_count:     18
    .sgpr_spill_count: 0
    .symbol:         _ZN9rocsparseL20bsrxmvn_17_32_kernelILj29EdiidddEEvT2_20rocsparse_direction_NS_24const_host_device_scalarIT0_EES1_PKS1_PKT1_SA_S7_PKT3_PKT4_S5_PT5_21rocsparse_index_base_b.kd
    .uniform_work_group_size: 1
    .uses_dynamic_stack: false
    .vgpr_count:     17
    .vgpr_spill_count: 0
    .wavefront_size: 32
    .workgroup_processor_mode: 1
  - .args:
      - .offset:         0
        .size:           4
        .value_kind:     by_value
      - .offset:         4
        .size:           4
        .value_kind:     by_value
      - .offset:         8
        .size:           8
        .value_kind:     by_value
      - .offset:         16
        .size:           4
        .value_kind:     by_value
      - .actual_access:  read_only
        .address_space:  global
        .offset:         24
        .size:           8
        .value_kind:     global_buffer
      - .actual_access:  read_only
        .address_space:  global
        .offset:         32
        .size:           8
        .value_kind:     global_buffer
      - .actual_access:  read_only
        .address_space:  global
        .offset:         40
        .size:           8
        .value_kind:     global_buffer
      - .actual_access:  read_only
        .address_space:  global
        .offset:         48
        .size:           8
        .value_kind:     global_buffer
      - .actual_access:  read_only
        .address_space:  global
        .offset:         56
        .size:           8
        .value_kind:     global_buffer
      - .actual_access:  read_only
        .address_space:  global
        .offset:         64
        .size:           8
        .value_kind:     global_buffer
      - .offset:         72
        .size:           8
        .value_kind:     by_value
      - .address_space:  global
        .offset:         80
        .size:           8
        .value_kind:     global_buffer
      - .offset:         88
        .size:           4
        .value_kind:     by_value
      - .offset:         92
        .size:           1
        .value_kind:     by_value
    .group_segment_fixed_size: 7200
    .kernarg_segment_align: 8
    .kernarg_segment_size: 96
    .language:       OpenCL C
    .language_version:
      - 2
      - 0
    .max_flat_workgroup_size: 900
    .name:           _ZN9rocsparseL20bsrxmvn_17_32_kernelILj30EdiidddEEvT2_20rocsparse_direction_NS_24const_host_device_scalarIT0_EES1_PKS1_PKT1_SA_S7_PKT3_PKT4_S5_PT5_21rocsparse_index_base_b
    .private_segment_fixed_size: 0
    .sgpr_count:     18
    .sgpr_spill_count: 0
    .symbol:         _ZN9rocsparseL20bsrxmvn_17_32_kernelILj30EdiidddEEvT2_20rocsparse_direction_NS_24const_host_device_scalarIT0_EES1_PKS1_PKT1_SA_S7_PKT3_PKT4_S5_PT5_21rocsparse_index_base_b.kd
    .uniform_work_group_size: 1
    .uses_dynamic_stack: false
    .vgpr_count:     17
    .vgpr_spill_count: 0
    .wavefront_size: 32
    .workgroup_processor_mode: 1
  - .args:
      - .offset:         0
        .size:           4
        .value_kind:     by_value
      - .offset:         4
        .size:           4
        .value_kind:     by_value
      - .offset:         8
        .size:           8
        .value_kind:     by_value
      - .offset:         16
        .size:           4
        .value_kind:     by_value
      - .actual_access:  read_only
        .address_space:  global
        .offset:         24
        .size:           8
        .value_kind:     global_buffer
      - .actual_access:  read_only
        .address_space:  global
        .offset:         32
        .size:           8
        .value_kind:     global_buffer
      - .actual_access:  read_only
        .address_space:  global
        .offset:         40
        .size:           8
        .value_kind:     global_buffer
      - .actual_access:  read_only
        .address_space:  global
        .offset:         48
        .size:           8
        .value_kind:     global_buffer
      - .actual_access:  read_only
        .address_space:  global
        .offset:         56
        .size:           8
        .value_kind:     global_buffer
      - .actual_access:  read_only
        .address_space:  global
        .offset:         64
        .size:           8
        .value_kind:     global_buffer
      - .offset:         72
        .size:           8
        .value_kind:     by_value
      - .address_space:  global
        .offset:         80
        .size:           8
        .value_kind:     global_buffer
      - .offset:         88
        .size:           4
        .value_kind:     by_value
      - .offset:         92
        .size:           1
        .value_kind:     by_value
    .group_segment_fixed_size: 7688
    .kernarg_segment_align: 8
    .kernarg_segment_size: 96
    .language:       OpenCL C
    .language_version:
      - 2
      - 0
    .max_flat_workgroup_size: 961
    .name:           _ZN9rocsparseL20bsrxmvn_17_32_kernelILj31EdiidddEEvT2_20rocsparse_direction_NS_24const_host_device_scalarIT0_EES1_PKS1_PKT1_SA_S7_PKT3_PKT4_S5_PT5_21rocsparse_index_base_b
    .private_segment_fixed_size: 0
    .sgpr_count:     18
    .sgpr_spill_count: 0
    .symbol:         _ZN9rocsparseL20bsrxmvn_17_32_kernelILj31EdiidddEEvT2_20rocsparse_direction_NS_24const_host_device_scalarIT0_EES1_PKS1_PKT1_SA_S7_PKT3_PKT4_S5_PT5_21rocsparse_index_base_b.kd
    .uniform_work_group_size: 1
    .uses_dynamic_stack: false
    .vgpr_count:     17
    .vgpr_spill_count: 0
    .wavefront_size: 32
    .workgroup_processor_mode: 1
  - .args:
      - .offset:         0
        .size:           4
        .value_kind:     by_value
      - .offset:         4
        .size:           4
        .value_kind:     by_value
      - .offset:         8
        .size:           8
        .value_kind:     by_value
      - .offset:         16
        .size:           4
        .value_kind:     by_value
      - .actual_access:  read_only
        .address_space:  global
        .offset:         24
        .size:           8
        .value_kind:     global_buffer
      - .actual_access:  read_only
        .address_space:  global
        .offset:         32
        .size:           8
        .value_kind:     global_buffer
      - .actual_access:  read_only
        .address_space:  global
        .offset:         40
        .size:           8
        .value_kind:     global_buffer
      - .actual_access:  read_only
        .address_space:  global
        .offset:         48
        .size:           8
        .value_kind:     global_buffer
      - .actual_access:  read_only
        .address_space:  global
        .offset:         56
        .size:           8
        .value_kind:     global_buffer
      - .actual_access:  read_only
        .address_space:  global
        .offset:         64
        .size:           8
        .value_kind:     global_buffer
      - .offset:         72
        .size:           8
        .value_kind:     by_value
      - .address_space:  global
        .offset:         80
        .size:           8
        .value_kind:     global_buffer
      - .offset:         88
        .size:           4
        .value_kind:     by_value
      - .offset:         92
        .size:           1
        .value_kind:     by_value
    .group_segment_fixed_size: 8192
    .kernarg_segment_align: 8
    .kernarg_segment_size: 96
    .language:       OpenCL C
    .language_version:
      - 2
      - 0
    .max_flat_workgroup_size: 1024
    .name:           _ZN9rocsparseL20bsrxmvn_17_32_kernelILj32EdiidddEEvT2_20rocsparse_direction_NS_24const_host_device_scalarIT0_EES1_PKS1_PKT1_SA_S7_PKT3_PKT4_S5_PT5_21rocsparse_index_base_b
    .private_segment_fixed_size: 0
    .sgpr_count:     20
    .sgpr_spill_count: 0
    .symbol:         _ZN9rocsparseL20bsrxmvn_17_32_kernelILj32EdiidddEEvT2_20rocsparse_direction_NS_24const_host_device_scalarIT0_EES1_PKS1_PKT1_SA_S7_PKT3_PKT4_S5_PT5_21rocsparse_index_base_b.kd
    .uniform_work_group_size: 1
    .uses_dynamic_stack: false
    .vgpr_count:     15
    .vgpr_spill_count: 0
    .wavefront_size: 32
    .workgroup_processor_mode: 1
  - .args:
      - .offset:         0
        .size:           4
        .value_kind:     by_value
      - .offset:         4
        .size:           4
        .value_kind:     by_value
      - .offset:         8
        .size:           8
        .value_kind:     by_value
      - .offset:         16
        .size:           4
        .value_kind:     by_value
      - .actual_access:  read_only
        .address_space:  global
        .offset:         24
        .size:           8
        .value_kind:     global_buffer
      - .actual_access:  read_only
        .address_space:  global
        .offset:         32
        .size:           8
        .value_kind:     global_buffer
      - .actual_access:  read_only
        .address_space:  global
        .offset:         40
        .size:           8
        .value_kind:     global_buffer
      - .actual_access:  read_only
        .address_space:  global
        .offset:         48
        .size:           8
        .value_kind:     global_buffer
      - .actual_access:  read_only
        .address_space:  global
        .offset:         56
        .size:           8
        .value_kind:     global_buffer
      - .actual_access:  read_only
        .address_space:  global
        .offset:         64
        .size:           8
        .value_kind:     global_buffer
      - .offset:         72
        .size:           8
        .value_kind:     by_value
      - .address_space:  global
        .offset:         80
        .size:           8
        .value_kind:     global_buffer
      - .offset:         88
        .size:           4
        .value_kind:     by_value
      - .offset:         92
        .size:           1
        .value_kind:     by_value
    .group_segment_fixed_size: 2312
    .kernarg_segment_align: 8
    .kernarg_segment_size: 96
    .language:       OpenCL C
    .language_version:
      - 2
      - 0
    .max_flat_workgroup_size: 289
    .name:           _ZN9rocsparseL20bsrxmvn_17_32_kernelILj17E21rocsparse_complex_numIfEiiS2_S2_S2_EEvT2_20rocsparse_direction_NS_24const_host_device_scalarIT0_EES3_PKS3_PKT1_SC_S9_PKT3_PKT4_S7_PT5_21rocsparse_index_base_b
    .private_segment_fixed_size: 0
    .sgpr_count:     18
    .sgpr_spill_count: 0
    .symbol:         _ZN9rocsparseL20bsrxmvn_17_32_kernelILj17E21rocsparse_complex_numIfEiiS2_S2_S2_EEvT2_20rocsparse_direction_NS_24const_host_device_scalarIT0_EES3_PKS3_PKT1_SC_S9_PKT3_PKT4_S7_PT5_21rocsparse_index_base_b.kd
    .uniform_work_group_size: 1
    .uses_dynamic_stack: false
    .vgpr_count:     17
    .vgpr_spill_count: 0
    .wavefront_size: 32
    .workgroup_processor_mode: 1
  - .args:
      - .offset:         0
        .size:           4
        .value_kind:     by_value
      - .offset:         4
        .size:           4
        .value_kind:     by_value
      - .offset:         8
        .size:           8
        .value_kind:     by_value
      - .offset:         16
        .size:           4
        .value_kind:     by_value
      - .actual_access:  read_only
        .address_space:  global
        .offset:         24
        .size:           8
        .value_kind:     global_buffer
      - .actual_access:  read_only
        .address_space:  global
        .offset:         32
        .size:           8
        .value_kind:     global_buffer
      - .actual_access:  read_only
        .address_space:  global
        .offset:         40
        .size:           8
        .value_kind:     global_buffer
      - .actual_access:  read_only
        .address_space:  global
        .offset:         48
        .size:           8
        .value_kind:     global_buffer
      - .actual_access:  read_only
        .address_space:  global
        .offset:         56
        .size:           8
        .value_kind:     global_buffer
      - .actual_access:  read_only
        .address_space:  global
        .offset:         64
        .size:           8
        .value_kind:     global_buffer
      - .offset:         72
        .size:           8
        .value_kind:     by_value
      - .address_space:  global
        .offset:         80
        .size:           8
        .value_kind:     global_buffer
      - .offset:         88
        .size:           4
        .value_kind:     by_value
      - .offset:         92
        .size:           1
        .value_kind:     by_value
    .group_segment_fixed_size: 2592
    .kernarg_segment_align: 8
    .kernarg_segment_size: 96
    .language:       OpenCL C
    .language_version:
      - 2
      - 0
    .max_flat_workgroup_size: 324
    .name:           _ZN9rocsparseL20bsrxmvn_17_32_kernelILj18E21rocsparse_complex_numIfEiiS2_S2_S2_EEvT2_20rocsparse_direction_NS_24const_host_device_scalarIT0_EES3_PKS3_PKT1_SC_S9_PKT3_PKT4_S7_PT5_21rocsparse_index_base_b
    .private_segment_fixed_size: 0
    .sgpr_count:     18
    .sgpr_spill_count: 0
    .symbol:         _ZN9rocsparseL20bsrxmvn_17_32_kernelILj18E21rocsparse_complex_numIfEiiS2_S2_S2_EEvT2_20rocsparse_direction_NS_24const_host_device_scalarIT0_EES3_PKS3_PKT1_SC_S9_PKT3_PKT4_S7_PT5_21rocsparse_index_base_b.kd
    .uniform_work_group_size: 1
    .uses_dynamic_stack: false
    .vgpr_count:     17
    .vgpr_spill_count: 0
    .wavefront_size: 32
    .workgroup_processor_mode: 1
  - .args:
      - .offset:         0
        .size:           4
        .value_kind:     by_value
      - .offset:         4
        .size:           4
        .value_kind:     by_value
      - .offset:         8
        .size:           8
        .value_kind:     by_value
      - .offset:         16
        .size:           4
        .value_kind:     by_value
      - .actual_access:  read_only
        .address_space:  global
        .offset:         24
        .size:           8
        .value_kind:     global_buffer
      - .actual_access:  read_only
        .address_space:  global
        .offset:         32
        .size:           8
        .value_kind:     global_buffer
      - .actual_access:  read_only
        .address_space:  global
        .offset:         40
        .size:           8
        .value_kind:     global_buffer
      - .actual_access:  read_only
        .address_space:  global
        .offset:         48
        .size:           8
        .value_kind:     global_buffer
      - .actual_access:  read_only
        .address_space:  global
        .offset:         56
        .size:           8
        .value_kind:     global_buffer
      - .actual_access:  read_only
        .address_space:  global
        .offset:         64
        .size:           8
        .value_kind:     global_buffer
      - .offset:         72
        .size:           8
        .value_kind:     by_value
      - .address_space:  global
        .offset:         80
        .size:           8
        .value_kind:     global_buffer
      - .offset:         88
        .size:           4
        .value_kind:     by_value
      - .offset:         92
        .size:           1
        .value_kind:     by_value
    .group_segment_fixed_size: 2888
    .kernarg_segment_align: 8
    .kernarg_segment_size: 96
    .language:       OpenCL C
    .language_version:
      - 2
      - 0
    .max_flat_workgroup_size: 361
    .name:           _ZN9rocsparseL20bsrxmvn_17_32_kernelILj19E21rocsparse_complex_numIfEiiS2_S2_S2_EEvT2_20rocsparse_direction_NS_24const_host_device_scalarIT0_EES3_PKS3_PKT1_SC_S9_PKT3_PKT4_S7_PT5_21rocsparse_index_base_b
    .private_segment_fixed_size: 0
    .sgpr_count:     18
    .sgpr_spill_count: 0
    .symbol:         _ZN9rocsparseL20bsrxmvn_17_32_kernelILj19E21rocsparse_complex_numIfEiiS2_S2_S2_EEvT2_20rocsparse_direction_NS_24const_host_device_scalarIT0_EES3_PKS3_PKT1_SC_S9_PKT3_PKT4_S7_PT5_21rocsparse_index_base_b.kd
    .uniform_work_group_size: 1
    .uses_dynamic_stack: false
    .vgpr_count:     17
    .vgpr_spill_count: 0
    .wavefront_size: 32
    .workgroup_processor_mode: 1
  - .args:
      - .offset:         0
        .size:           4
        .value_kind:     by_value
      - .offset:         4
        .size:           4
        .value_kind:     by_value
      - .offset:         8
        .size:           8
        .value_kind:     by_value
      - .offset:         16
        .size:           4
        .value_kind:     by_value
      - .actual_access:  read_only
        .address_space:  global
        .offset:         24
        .size:           8
        .value_kind:     global_buffer
      - .actual_access:  read_only
        .address_space:  global
        .offset:         32
        .size:           8
        .value_kind:     global_buffer
      - .actual_access:  read_only
        .address_space:  global
        .offset:         40
        .size:           8
        .value_kind:     global_buffer
      - .actual_access:  read_only
        .address_space:  global
        .offset:         48
        .size:           8
        .value_kind:     global_buffer
      - .actual_access:  read_only
        .address_space:  global
        .offset:         56
        .size:           8
        .value_kind:     global_buffer
      - .actual_access:  read_only
        .address_space:  global
        .offset:         64
        .size:           8
        .value_kind:     global_buffer
      - .offset:         72
        .size:           8
        .value_kind:     by_value
      - .address_space:  global
        .offset:         80
        .size:           8
        .value_kind:     global_buffer
      - .offset:         88
        .size:           4
        .value_kind:     by_value
      - .offset:         92
        .size:           1
        .value_kind:     by_value
    .group_segment_fixed_size: 3200
    .kernarg_segment_align: 8
    .kernarg_segment_size: 96
    .language:       OpenCL C
    .language_version:
      - 2
      - 0
    .max_flat_workgroup_size: 400
    .name:           _ZN9rocsparseL20bsrxmvn_17_32_kernelILj20E21rocsparse_complex_numIfEiiS2_S2_S2_EEvT2_20rocsparse_direction_NS_24const_host_device_scalarIT0_EES3_PKS3_PKT1_SC_S9_PKT3_PKT4_S7_PT5_21rocsparse_index_base_b
    .private_segment_fixed_size: 0
    .sgpr_count:     18
    .sgpr_spill_count: 0
    .symbol:         _ZN9rocsparseL20bsrxmvn_17_32_kernelILj20E21rocsparse_complex_numIfEiiS2_S2_S2_EEvT2_20rocsparse_direction_NS_24const_host_device_scalarIT0_EES3_PKS3_PKT1_SC_S9_PKT3_PKT4_S7_PT5_21rocsparse_index_base_b.kd
    .uniform_work_group_size: 1
    .uses_dynamic_stack: false
    .vgpr_count:     17
    .vgpr_spill_count: 0
    .wavefront_size: 32
    .workgroup_processor_mode: 1
  - .args:
      - .offset:         0
        .size:           4
        .value_kind:     by_value
      - .offset:         4
        .size:           4
        .value_kind:     by_value
      - .offset:         8
        .size:           8
        .value_kind:     by_value
      - .offset:         16
        .size:           4
        .value_kind:     by_value
      - .actual_access:  read_only
        .address_space:  global
        .offset:         24
        .size:           8
        .value_kind:     global_buffer
      - .actual_access:  read_only
        .address_space:  global
        .offset:         32
        .size:           8
        .value_kind:     global_buffer
      - .actual_access:  read_only
        .address_space:  global
        .offset:         40
        .size:           8
        .value_kind:     global_buffer
      - .actual_access:  read_only
        .address_space:  global
        .offset:         48
        .size:           8
        .value_kind:     global_buffer
      - .actual_access:  read_only
        .address_space:  global
        .offset:         56
        .size:           8
        .value_kind:     global_buffer
      - .actual_access:  read_only
        .address_space:  global
        .offset:         64
        .size:           8
        .value_kind:     global_buffer
      - .offset:         72
        .size:           8
        .value_kind:     by_value
      - .address_space:  global
        .offset:         80
        .size:           8
        .value_kind:     global_buffer
      - .offset:         88
        .size:           4
        .value_kind:     by_value
      - .offset:         92
        .size:           1
        .value_kind:     by_value
    .group_segment_fixed_size: 3528
    .kernarg_segment_align: 8
    .kernarg_segment_size: 96
    .language:       OpenCL C
    .language_version:
      - 2
      - 0
    .max_flat_workgroup_size: 441
    .name:           _ZN9rocsparseL20bsrxmvn_17_32_kernelILj21E21rocsparse_complex_numIfEiiS2_S2_S2_EEvT2_20rocsparse_direction_NS_24const_host_device_scalarIT0_EES3_PKS3_PKT1_SC_S9_PKT3_PKT4_S7_PT5_21rocsparse_index_base_b
    .private_segment_fixed_size: 0
    .sgpr_count:     18
    .sgpr_spill_count: 0
    .symbol:         _ZN9rocsparseL20bsrxmvn_17_32_kernelILj21E21rocsparse_complex_numIfEiiS2_S2_S2_EEvT2_20rocsparse_direction_NS_24const_host_device_scalarIT0_EES3_PKS3_PKT1_SC_S9_PKT3_PKT4_S7_PT5_21rocsparse_index_base_b.kd
    .uniform_work_group_size: 1
    .uses_dynamic_stack: false
    .vgpr_count:     17
    .vgpr_spill_count: 0
    .wavefront_size: 32
    .workgroup_processor_mode: 1
  - .args:
      - .offset:         0
        .size:           4
        .value_kind:     by_value
      - .offset:         4
        .size:           4
        .value_kind:     by_value
      - .offset:         8
        .size:           8
        .value_kind:     by_value
      - .offset:         16
        .size:           4
        .value_kind:     by_value
      - .actual_access:  read_only
        .address_space:  global
        .offset:         24
        .size:           8
        .value_kind:     global_buffer
      - .actual_access:  read_only
        .address_space:  global
        .offset:         32
        .size:           8
        .value_kind:     global_buffer
      - .actual_access:  read_only
        .address_space:  global
        .offset:         40
        .size:           8
        .value_kind:     global_buffer
      - .actual_access:  read_only
        .address_space:  global
        .offset:         48
        .size:           8
        .value_kind:     global_buffer
      - .actual_access:  read_only
        .address_space:  global
        .offset:         56
        .size:           8
        .value_kind:     global_buffer
      - .actual_access:  read_only
        .address_space:  global
        .offset:         64
        .size:           8
        .value_kind:     global_buffer
      - .offset:         72
        .size:           8
        .value_kind:     by_value
      - .address_space:  global
        .offset:         80
        .size:           8
        .value_kind:     global_buffer
      - .offset:         88
        .size:           4
        .value_kind:     by_value
      - .offset:         92
        .size:           1
        .value_kind:     by_value
    .group_segment_fixed_size: 3872
    .kernarg_segment_align: 8
    .kernarg_segment_size: 96
    .language:       OpenCL C
    .language_version:
      - 2
      - 0
    .max_flat_workgroup_size: 484
    .name:           _ZN9rocsparseL20bsrxmvn_17_32_kernelILj22E21rocsparse_complex_numIfEiiS2_S2_S2_EEvT2_20rocsparse_direction_NS_24const_host_device_scalarIT0_EES3_PKS3_PKT1_SC_S9_PKT3_PKT4_S7_PT5_21rocsparse_index_base_b
    .private_segment_fixed_size: 0
    .sgpr_count:     18
    .sgpr_spill_count: 0
    .symbol:         _ZN9rocsparseL20bsrxmvn_17_32_kernelILj22E21rocsparse_complex_numIfEiiS2_S2_S2_EEvT2_20rocsparse_direction_NS_24const_host_device_scalarIT0_EES3_PKS3_PKT1_SC_S9_PKT3_PKT4_S7_PT5_21rocsparse_index_base_b.kd
    .uniform_work_group_size: 1
    .uses_dynamic_stack: false
    .vgpr_count:     17
    .vgpr_spill_count: 0
    .wavefront_size: 32
    .workgroup_processor_mode: 1
  - .args:
      - .offset:         0
        .size:           4
        .value_kind:     by_value
      - .offset:         4
        .size:           4
        .value_kind:     by_value
      - .offset:         8
        .size:           8
        .value_kind:     by_value
      - .offset:         16
        .size:           4
        .value_kind:     by_value
      - .actual_access:  read_only
        .address_space:  global
        .offset:         24
        .size:           8
        .value_kind:     global_buffer
      - .actual_access:  read_only
        .address_space:  global
        .offset:         32
        .size:           8
        .value_kind:     global_buffer
      - .actual_access:  read_only
        .address_space:  global
        .offset:         40
        .size:           8
        .value_kind:     global_buffer
      - .actual_access:  read_only
        .address_space:  global
        .offset:         48
        .size:           8
        .value_kind:     global_buffer
      - .actual_access:  read_only
        .address_space:  global
        .offset:         56
        .size:           8
        .value_kind:     global_buffer
      - .actual_access:  read_only
        .address_space:  global
        .offset:         64
        .size:           8
        .value_kind:     global_buffer
      - .offset:         72
        .size:           8
        .value_kind:     by_value
      - .address_space:  global
        .offset:         80
        .size:           8
        .value_kind:     global_buffer
      - .offset:         88
        .size:           4
        .value_kind:     by_value
      - .offset:         92
        .size:           1
        .value_kind:     by_value
    .group_segment_fixed_size: 4232
    .kernarg_segment_align: 8
    .kernarg_segment_size: 96
    .language:       OpenCL C
    .language_version:
      - 2
      - 0
    .max_flat_workgroup_size: 529
    .name:           _ZN9rocsparseL20bsrxmvn_17_32_kernelILj23E21rocsparse_complex_numIfEiiS2_S2_S2_EEvT2_20rocsparse_direction_NS_24const_host_device_scalarIT0_EES3_PKS3_PKT1_SC_S9_PKT3_PKT4_S7_PT5_21rocsparse_index_base_b
    .private_segment_fixed_size: 0
    .sgpr_count:     18
    .sgpr_spill_count: 0
    .symbol:         _ZN9rocsparseL20bsrxmvn_17_32_kernelILj23E21rocsparse_complex_numIfEiiS2_S2_S2_EEvT2_20rocsparse_direction_NS_24const_host_device_scalarIT0_EES3_PKS3_PKT1_SC_S9_PKT3_PKT4_S7_PT5_21rocsparse_index_base_b.kd
    .uniform_work_group_size: 1
    .uses_dynamic_stack: false
    .vgpr_count:     17
    .vgpr_spill_count: 0
    .wavefront_size: 32
    .workgroup_processor_mode: 1
  - .args:
      - .offset:         0
        .size:           4
        .value_kind:     by_value
      - .offset:         4
        .size:           4
        .value_kind:     by_value
      - .offset:         8
        .size:           8
        .value_kind:     by_value
      - .offset:         16
        .size:           4
        .value_kind:     by_value
      - .actual_access:  read_only
        .address_space:  global
        .offset:         24
        .size:           8
        .value_kind:     global_buffer
      - .actual_access:  read_only
        .address_space:  global
        .offset:         32
        .size:           8
        .value_kind:     global_buffer
      - .actual_access:  read_only
        .address_space:  global
        .offset:         40
        .size:           8
        .value_kind:     global_buffer
      - .actual_access:  read_only
        .address_space:  global
        .offset:         48
        .size:           8
        .value_kind:     global_buffer
      - .actual_access:  read_only
        .address_space:  global
        .offset:         56
        .size:           8
        .value_kind:     global_buffer
      - .actual_access:  read_only
        .address_space:  global
        .offset:         64
        .size:           8
        .value_kind:     global_buffer
      - .offset:         72
        .size:           8
        .value_kind:     by_value
      - .address_space:  global
        .offset:         80
        .size:           8
        .value_kind:     global_buffer
      - .offset:         88
        .size:           4
        .value_kind:     by_value
      - .offset:         92
        .size:           1
        .value_kind:     by_value
    .group_segment_fixed_size: 4608
    .kernarg_segment_align: 8
    .kernarg_segment_size: 96
    .language:       OpenCL C
    .language_version:
      - 2
      - 0
    .max_flat_workgroup_size: 576
    .name:           _ZN9rocsparseL20bsrxmvn_17_32_kernelILj24E21rocsparse_complex_numIfEiiS2_S2_S2_EEvT2_20rocsparse_direction_NS_24const_host_device_scalarIT0_EES3_PKS3_PKT1_SC_S9_PKT3_PKT4_S7_PT5_21rocsparse_index_base_b
    .private_segment_fixed_size: 0
    .sgpr_count:     18
    .sgpr_spill_count: 0
    .symbol:         _ZN9rocsparseL20bsrxmvn_17_32_kernelILj24E21rocsparse_complex_numIfEiiS2_S2_S2_EEvT2_20rocsparse_direction_NS_24const_host_device_scalarIT0_EES3_PKS3_PKT1_SC_S9_PKT3_PKT4_S7_PT5_21rocsparse_index_base_b.kd
    .uniform_work_group_size: 1
    .uses_dynamic_stack: false
    .vgpr_count:     17
    .vgpr_spill_count: 0
    .wavefront_size: 32
    .workgroup_processor_mode: 1
  - .args:
      - .offset:         0
        .size:           4
        .value_kind:     by_value
      - .offset:         4
        .size:           4
        .value_kind:     by_value
      - .offset:         8
        .size:           8
        .value_kind:     by_value
      - .offset:         16
        .size:           4
        .value_kind:     by_value
      - .actual_access:  read_only
        .address_space:  global
        .offset:         24
        .size:           8
        .value_kind:     global_buffer
      - .actual_access:  read_only
        .address_space:  global
        .offset:         32
        .size:           8
        .value_kind:     global_buffer
      - .actual_access:  read_only
        .address_space:  global
        .offset:         40
        .size:           8
        .value_kind:     global_buffer
      - .actual_access:  read_only
        .address_space:  global
        .offset:         48
        .size:           8
        .value_kind:     global_buffer
      - .actual_access:  read_only
        .address_space:  global
        .offset:         56
        .size:           8
        .value_kind:     global_buffer
      - .actual_access:  read_only
        .address_space:  global
        .offset:         64
        .size:           8
        .value_kind:     global_buffer
      - .offset:         72
        .size:           8
        .value_kind:     by_value
      - .address_space:  global
        .offset:         80
        .size:           8
        .value_kind:     global_buffer
      - .offset:         88
        .size:           4
        .value_kind:     by_value
      - .offset:         92
        .size:           1
        .value_kind:     by_value
    .group_segment_fixed_size: 5000
    .kernarg_segment_align: 8
    .kernarg_segment_size: 96
    .language:       OpenCL C
    .language_version:
      - 2
      - 0
    .max_flat_workgroup_size: 625
    .name:           _ZN9rocsparseL20bsrxmvn_17_32_kernelILj25E21rocsparse_complex_numIfEiiS2_S2_S2_EEvT2_20rocsparse_direction_NS_24const_host_device_scalarIT0_EES3_PKS3_PKT1_SC_S9_PKT3_PKT4_S7_PT5_21rocsparse_index_base_b
    .private_segment_fixed_size: 0
    .sgpr_count:     18
    .sgpr_spill_count: 0
    .symbol:         _ZN9rocsparseL20bsrxmvn_17_32_kernelILj25E21rocsparse_complex_numIfEiiS2_S2_S2_EEvT2_20rocsparse_direction_NS_24const_host_device_scalarIT0_EES3_PKS3_PKT1_SC_S9_PKT3_PKT4_S7_PT5_21rocsparse_index_base_b.kd
    .uniform_work_group_size: 1
    .uses_dynamic_stack: false
    .vgpr_count:     17
    .vgpr_spill_count: 0
    .wavefront_size: 32
    .workgroup_processor_mode: 1
  - .args:
      - .offset:         0
        .size:           4
        .value_kind:     by_value
      - .offset:         4
        .size:           4
        .value_kind:     by_value
      - .offset:         8
        .size:           8
        .value_kind:     by_value
      - .offset:         16
        .size:           4
        .value_kind:     by_value
      - .actual_access:  read_only
        .address_space:  global
        .offset:         24
        .size:           8
        .value_kind:     global_buffer
      - .actual_access:  read_only
        .address_space:  global
        .offset:         32
        .size:           8
        .value_kind:     global_buffer
      - .actual_access:  read_only
        .address_space:  global
        .offset:         40
        .size:           8
        .value_kind:     global_buffer
      - .actual_access:  read_only
        .address_space:  global
        .offset:         48
        .size:           8
        .value_kind:     global_buffer
      - .actual_access:  read_only
        .address_space:  global
        .offset:         56
        .size:           8
        .value_kind:     global_buffer
      - .actual_access:  read_only
        .address_space:  global
        .offset:         64
        .size:           8
        .value_kind:     global_buffer
      - .offset:         72
        .size:           8
        .value_kind:     by_value
      - .address_space:  global
        .offset:         80
        .size:           8
        .value_kind:     global_buffer
      - .offset:         88
        .size:           4
        .value_kind:     by_value
      - .offset:         92
        .size:           1
        .value_kind:     by_value
    .group_segment_fixed_size: 5408
    .kernarg_segment_align: 8
    .kernarg_segment_size: 96
    .language:       OpenCL C
    .language_version:
      - 2
      - 0
    .max_flat_workgroup_size: 676
    .name:           _ZN9rocsparseL20bsrxmvn_17_32_kernelILj26E21rocsparse_complex_numIfEiiS2_S2_S2_EEvT2_20rocsparse_direction_NS_24const_host_device_scalarIT0_EES3_PKS3_PKT1_SC_S9_PKT3_PKT4_S7_PT5_21rocsparse_index_base_b
    .private_segment_fixed_size: 0
    .sgpr_count:     18
    .sgpr_spill_count: 0
    .symbol:         _ZN9rocsparseL20bsrxmvn_17_32_kernelILj26E21rocsparse_complex_numIfEiiS2_S2_S2_EEvT2_20rocsparse_direction_NS_24const_host_device_scalarIT0_EES3_PKS3_PKT1_SC_S9_PKT3_PKT4_S7_PT5_21rocsparse_index_base_b.kd
    .uniform_work_group_size: 1
    .uses_dynamic_stack: false
    .vgpr_count:     17
    .vgpr_spill_count: 0
    .wavefront_size: 32
    .workgroup_processor_mode: 1
  - .args:
      - .offset:         0
        .size:           4
        .value_kind:     by_value
      - .offset:         4
        .size:           4
        .value_kind:     by_value
      - .offset:         8
        .size:           8
        .value_kind:     by_value
      - .offset:         16
        .size:           4
        .value_kind:     by_value
      - .actual_access:  read_only
        .address_space:  global
        .offset:         24
        .size:           8
        .value_kind:     global_buffer
      - .actual_access:  read_only
        .address_space:  global
        .offset:         32
        .size:           8
        .value_kind:     global_buffer
      - .actual_access:  read_only
        .address_space:  global
        .offset:         40
        .size:           8
        .value_kind:     global_buffer
      - .actual_access:  read_only
        .address_space:  global
        .offset:         48
        .size:           8
        .value_kind:     global_buffer
      - .actual_access:  read_only
        .address_space:  global
        .offset:         56
        .size:           8
        .value_kind:     global_buffer
      - .actual_access:  read_only
        .address_space:  global
        .offset:         64
        .size:           8
        .value_kind:     global_buffer
      - .offset:         72
        .size:           8
        .value_kind:     by_value
      - .address_space:  global
        .offset:         80
        .size:           8
        .value_kind:     global_buffer
      - .offset:         88
        .size:           4
        .value_kind:     by_value
      - .offset:         92
        .size:           1
        .value_kind:     by_value
    .group_segment_fixed_size: 5832
    .kernarg_segment_align: 8
    .kernarg_segment_size: 96
    .language:       OpenCL C
    .language_version:
      - 2
      - 0
    .max_flat_workgroup_size: 729
    .name:           _ZN9rocsparseL20bsrxmvn_17_32_kernelILj27E21rocsparse_complex_numIfEiiS2_S2_S2_EEvT2_20rocsparse_direction_NS_24const_host_device_scalarIT0_EES3_PKS3_PKT1_SC_S9_PKT3_PKT4_S7_PT5_21rocsparse_index_base_b
    .private_segment_fixed_size: 0
    .sgpr_count:     18
    .sgpr_spill_count: 0
    .symbol:         _ZN9rocsparseL20bsrxmvn_17_32_kernelILj27E21rocsparse_complex_numIfEiiS2_S2_S2_EEvT2_20rocsparse_direction_NS_24const_host_device_scalarIT0_EES3_PKS3_PKT1_SC_S9_PKT3_PKT4_S7_PT5_21rocsparse_index_base_b.kd
    .uniform_work_group_size: 1
    .uses_dynamic_stack: false
    .vgpr_count:     17
    .vgpr_spill_count: 0
    .wavefront_size: 32
    .workgroup_processor_mode: 1
  - .args:
      - .offset:         0
        .size:           4
        .value_kind:     by_value
      - .offset:         4
        .size:           4
        .value_kind:     by_value
      - .offset:         8
        .size:           8
        .value_kind:     by_value
      - .offset:         16
        .size:           4
        .value_kind:     by_value
      - .actual_access:  read_only
        .address_space:  global
        .offset:         24
        .size:           8
        .value_kind:     global_buffer
      - .actual_access:  read_only
        .address_space:  global
        .offset:         32
        .size:           8
        .value_kind:     global_buffer
      - .actual_access:  read_only
        .address_space:  global
        .offset:         40
        .size:           8
        .value_kind:     global_buffer
      - .actual_access:  read_only
        .address_space:  global
        .offset:         48
        .size:           8
        .value_kind:     global_buffer
      - .actual_access:  read_only
        .address_space:  global
        .offset:         56
        .size:           8
        .value_kind:     global_buffer
      - .actual_access:  read_only
        .address_space:  global
        .offset:         64
        .size:           8
        .value_kind:     global_buffer
      - .offset:         72
        .size:           8
        .value_kind:     by_value
      - .address_space:  global
        .offset:         80
        .size:           8
        .value_kind:     global_buffer
      - .offset:         88
        .size:           4
        .value_kind:     by_value
      - .offset:         92
        .size:           1
        .value_kind:     by_value
    .group_segment_fixed_size: 6272
    .kernarg_segment_align: 8
    .kernarg_segment_size: 96
    .language:       OpenCL C
    .language_version:
      - 2
      - 0
    .max_flat_workgroup_size: 784
    .name:           _ZN9rocsparseL20bsrxmvn_17_32_kernelILj28E21rocsparse_complex_numIfEiiS2_S2_S2_EEvT2_20rocsparse_direction_NS_24const_host_device_scalarIT0_EES3_PKS3_PKT1_SC_S9_PKT3_PKT4_S7_PT5_21rocsparse_index_base_b
    .private_segment_fixed_size: 0
    .sgpr_count:     18
    .sgpr_spill_count: 0
    .symbol:         _ZN9rocsparseL20bsrxmvn_17_32_kernelILj28E21rocsparse_complex_numIfEiiS2_S2_S2_EEvT2_20rocsparse_direction_NS_24const_host_device_scalarIT0_EES3_PKS3_PKT1_SC_S9_PKT3_PKT4_S7_PT5_21rocsparse_index_base_b.kd
    .uniform_work_group_size: 1
    .uses_dynamic_stack: false
    .vgpr_count:     17
    .vgpr_spill_count: 0
    .wavefront_size: 32
    .workgroup_processor_mode: 1
  - .args:
      - .offset:         0
        .size:           4
        .value_kind:     by_value
      - .offset:         4
        .size:           4
        .value_kind:     by_value
      - .offset:         8
        .size:           8
        .value_kind:     by_value
      - .offset:         16
        .size:           4
        .value_kind:     by_value
      - .actual_access:  read_only
        .address_space:  global
        .offset:         24
        .size:           8
        .value_kind:     global_buffer
      - .actual_access:  read_only
        .address_space:  global
        .offset:         32
        .size:           8
        .value_kind:     global_buffer
      - .actual_access:  read_only
        .address_space:  global
        .offset:         40
        .size:           8
        .value_kind:     global_buffer
      - .actual_access:  read_only
        .address_space:  global
        .offset:         48
        .size:           8
        .value_kind:     global_buffer
      - .actual_access:  read_only
        .address_space:  global
        .offset:         56
        .size:           8
        .value_kind:     global_buffer
      - .actual_access:  read_only
        .address_space:  global
        .offset:         64
        .size:           8
        .value_kind:     global_buffer
      - .offset:         72
        .size:           8
        .value_kind:     by_value
      - .address_space:  global
        .offset:         80
        .size:           8
        .value_kind:     global_buffer
      - .offset:         88
        .size:           4
        .value_kind:     by_value
      - .offset:         92
        .size:           1
        .value_kind:     by_value
    .group_segment_fixed_size: 6728
    .kernarg_segment_align: 8
    .kernarg_segment_size: 96
    .language:       OpenCL C
    .language_version:
      - 2
      - 0
    .max_flat_workgroup_size: 841
    .name:           _ZN9rocsparseL20bsrxmvn_17_32_kernelILj29E21rocsparse_complex_numIfEiiS2_S2_S2_EEvT2_20rocsparse_direction_NS_24const_host_device_scalarIT0_EES3_PKS3_PKT1_SC_S9_PKT3_PKT4_S7_PT5_21rocsparse_index_base_b
    .private_segment_fixed_size: 0
    .sgpr_count:     18
    .sgpr_spill_count: 0
    .symbol:         _ZN9rocsparseL20bsrxmvn_17_32_kernelILj29E21rocsparse_complex_numIfEiiS2_S2_S2_EEvT2_20rocsparse_direction_NS_24const_host_device_scalarIT0_EES3_PKS3_PKT1_SC_S9_PKT3_PKT4_S7_PT5_21rocsparse_index_base_b.kd
    .uniform_work_group_size: 1
    .uses_dynamic_stack: false
    .vgpr_count:     17
    .vgpr_spill_count: 0
    .wavefront_size: 32
    .workgroup_processor_mode: 1
  - .args:
      - .offset:         0
        .size:           4
        .value_kind:     by_value
      - .offset:         4
        .size:           4
        .value_kind:     by_value
      - .offset:         8
        .size:           8
        .value_kind:     by_value
      - .offset:         16
        .size:           4
        .value_kind:     by_value
      - .actual_access:  read_only
        .address_space:  global
        .offset:         24
        .size:           8
        .value_kind:     global_buffer
      - .actual_access:  read_only
        .address_space:  global
        .offset:         32
        .size:           8
        .value_kind:     global_buffer
      - .actual_access:  read_only
        .address_space:  global
        .offset:         40
        .size:           8
        .value_kind:     global_buffer
      - .actual_access:  read_only
        .address_space:  global
        .offset:         48
        .size:           8
        .value_kind:     global_buffer
      - .actual_access:  read_only
        .address_space:  global
        .offset:         56
        .size:           8
        .value_kind:     global_buffer
      - .actual_access:  read_only
        .address_space:  global
        .offset:         64
        .size:           8
        .value_kind:     global_buffer
      - .offset:         72
        .size:           8
        .value_kind:     by_value
      - .address_space:  global
        .offset:         80
        .size:           8
        .value_kind:     global_buffer
      - .offset:         88
        .size:           4
        .value_kind:     by_value
      - .offset:         92
        .size:           1
        .value_kind:     by_value
    .group_segment_fixed_size: 7200
    .kernarg_segment_align: 8
    .kernarg_segment_size: 96
    .language:       OpenCL C
    .language_version:
      - 2
      - 0
    .max_flat_workgroup_size: 900
    .name:           _ZN9rocsparseL20bsrxmvn_17_32_kernelILj30E21rocsparse_complex_numIfEiiS2_S2_S2_EEvT2_20rocsparse_direction_NS_24const_host_device_scalarIT0_EES3_PKS3_PKT1_SC_S9_PKT3_PKT4_S7_PT5_21rocsparse_index_base_b
    .private_segment_fixed_size: 0
    .sgpr_count:     18
    .sgpr_spill_count: 0
    .symbol:         _ZN9rocsparseL20bsrxmvn_17_32_kernelILj30E21rocsparse_complex_numIfEiiS2_S2_S2_EEvT2_20rocsparse_direction_NS_24const_host_device_scalarIT0_EES3_PKS3_PKT1_SC_S9_PKT3_PKT4_S7_PT5_21rocsparse_index_base_b.kd
    .uniform_work_group_size: 1
    .uses_dynamic_stack: false
    .vgpr_count:     17
    .vgpr_spill_count: 0
    .wavefront_size: 32
    .workgroup_processor_mode: 1
  - .args:
      - .offset:         0
        .size:           4
        .value_kind:     by_value
      - .offset:         4
        .size:           4
        .value_kind:     by_value
      - .offset:         8
        .size:           8
        .value_kind:     by_value
      - .offset:         16
        .size:           4
        .value_kind:     by_value
      - .actual_access:  read_only
        .address_space:  global
        .offset:         24
        .size:           8
        .value_kind:     global_buffer
      - .actual_access:  read_only
        .address_space:  global
        .offset:         32
        .size:           8
        .value_kind:     global_buffer
      - .actual_access:  read_only
        .address_space:  global
        .offset:         40
        .size:           8
        .value_kind:     global_buffer
      - .actual_access:  read_only
        .address_space:  global
        .offset:         48
        .size:           8
        .value_kind:     global_buffer
      - .actual_access:  read_only
        .address_space:  global
        .offset:         56
        .size:           8
        .value_kind:     global_buffer
      - .actual_access:  read_only
        .address_space:  global
        .offset:         64
        .size:           8
        .value_kind:     global_buffer
      - .offset:         72
        .size:           8
        .value_kind:     by_value
      - .address_space:  global
        .offset:         80
        .size:           8
        .value_kind:     global_buffer
      - .offset:         88
        .size:           4
        .value_kind:     by_value
      - .offset:         92
        .size:           1
        .value_kind:     by_value
    .group_segment_fixed_size: 7688
    .kernarg_segment_align: 8
    .kernarg_segment_size: 96
    .language:       OpenCL C
    .language_version:
      - 2
      - 0
    .max_flat_workgroup_size: 961
    .name:           _ZN9rocsparseL20bsrxmvn_17_32_kernelILj31E21rocsparse_complex_numIfEiiS2_S2_S2_EEvT2_20rocsparse_direction_NS_24const_host_device_scalarIT0_EES3_PKS3_PKT1_SC_S9_PKT3_PKT4_S7_PT5_21rocsparse_index_base_b
    .private_segment_fixed_size: 0
    .sgpr_count:     18
    .sgpr_spill_count: 0
    .symbol:         _ZN9rocsparseL20bsrxmvn_17_32_kernelILj31E21rocsparse_complex_numIfEiiS2_S2_S2_EEvT2_20rocsparse_direction_NS_24const_host_device_scalarIT0_EES3_PKS3_PKT1_SC_S9_PKT3_PKT4_S7_PT5_21rocsparse_index_base_b.kd
    .uniform_work_group_size: 1
    .uses_dynamic_stack: false
    .vgpr_count:     17
    .vgpr_spill_count: 0
    .wavefront_size: 32
    .workgroup_processor_mode: 1
  - .args:
      - .offset:         0
        .size:           4
        .value_kind:     by_value
      - .offset:         4
        .size:           4
        .value_kind:     by_value
      - .offset:         8
        .size:           8
        .value_kind:     by_value
      - .offset:         16
        .size:           4
        .value_kind:     by_value
      - .actual_access:  read_only
        .address_space:  global
        .offset:         24
        .size:           8
        .value_kind:     global_buffer
      - .actual_access:  read_only
        .address_space:  global
        .offset:         32
        .size:           8
        .value_kind:     global_buffer
      - .actual_access:  read_only
        .address_space:  global
        .offset:         40
        .size:           8
        .value_kind:     global_buffer
      - .actual_access:  read_only
        .address_space:  global
        .offset:         48
        .size:           8
        .value_kind:     global_buffer
      - .actual_access:  read_only
        .address_space:  global
        .offset:         56
        .size:           8
        .value_kind:     global_buffer
      - .actual_access:  read_only
        .address_space:  global
        .offset:         64
        .size:           8
        .value_kind:     global_buffer
      - .offset:         72
        .size:           8
        .value_kind:     by_value
      - .address_space:  global
        .offset:         80
        .size:           8
        .value_kind:     global_buffer
      - .offset:         88
        .size:           4
        .value_kind:     by_value
      - .offset:         92
        .size:           1
        .value_kind:     by_value
    .group_segment_fixed_size: 8192
    .kernarg_segment_align: 8
    .kernarg_segment_size: 96
    .language:       OpenCL C
    .language_version:
      - 2
      - 0
    .max_flat_workgroup_size: 1024
    .name:           _ZN9rocsparseL20bsrxmvn_17_32_kernelILj32E21rocsparse_complex_numIfEiiS2_S2_S2_EEvT2_20rocsparse_direction_NS_24const_host_device_scalarIT0_EES3_PKS3_PKT1_SC_S9_PKT3_PKT4_S7_PT5_21rocsparse_index_base_b
    .private_segment_fixed_size: 0
    .sgpr_count:     22
    .sgpr_spill_count: 0
    .symbol:         _ZN9rocsparseL20bsrxmvn_17_32_kernelILj32E21rocsparse_complex_numIfEiiS2_S2_S2_EEvT2_20rocsparse_direction_NS_24const_host_device_scalarIT0_EES3_PKS3_PKT1_SC_S9_PKT3_PKT4_S7_PT5_21rocsparse_index_base_b.kd
    .uniform_work_group_size: 1
    .uses_dynamic_stack: false
    .vgpr_count:     15
    .vgpr_spill_count: 0
    .wavefront_size: 32
    .workgroup_processor_mode: 1
  - .args:
      - .offset:         0
        .size:           4
        .value_kind:     by_value
      - .offset:         4
        .size:           4
        .value_kind:     by_value
      - .offset:         8
        .size:           16
        .value_kind:     by_value
      - .offset:         24
        .size:           4
        .value_kind:     by_value
      - .actual_access:  read_only
        .address_space:  global
        .offset:         32
        .size:           8
        .value_kind:     global_buffer
      - .actual_access:  read_only
        .address_space:  global
        .offset:         40
        .size:           8
        .value_kind:     global_buffer
      - .actual_access:  read_only
        .address_space:  global
        .offset:         48
        .size:           8
        .value_kind:     global_buffer
      - .actual_access:  read_only
        .address_space:  global
        .offset:         56
        .size:           8
        .value_kind:     global_buffer
      - .actual_access:  read_only
        .address_space:  global
        .offset:         64
        .size:           8
        .value_kind:     global_buffer
      - .actual_access:  read_only
        .address_space:  global
        .offset:         72
        .size:           8
        .value_kind:     global_buffer
      - .offset:         80
        .size:           16
        .value_kind:     by_value
      - .address_space:  global
        .offset:         96
        .size:           8
        .value_kind:     global_buffer
      - .offset:         104
        .size:           4
        .value_kind:     by_value
      - .offset:         108
        .size:           1
        .value_kind:     by_value
    .group_segment_fixed_size: 9248
    .kernarg_segment_align: 8
    .kernarg_segment_size: 112
    .language:       OpenCL C
    .language_version:
      - 2
      - 0
    .max_flat_workgroup_size: 289
    .name:           _ZN9rocsparseL20bsrxmvn_17_32_kernelILj17E21rocsparse_complex_numIdEiiS2_S2_S2_EEvT2_20rocsparse_direction_NS_24const_host_device_scalarIT0_EES3_PKS3_PKT1_SC_S9_PKT3_PKT4_S7_PT5_21rocsparse_index_base_b
    .private_segment_fixed_size: 0
    .sgpr_count:     20
    .sgpr_spill_count: 0
    .symbol:         _ZN9rocsparseL20bsrxmvn_17_32_kernelILj17E21rocsparse_complex_numIdEiiS2_S2_S2_EEvT2_20rocsparse_direction_NS_24const_host_device_scalarIT0_EES3_PKS3_PKT1_SC_S9_PKT3_PKT4_S7_PT5_21rocsparse_index_base_b.kd
    .uniform_work_group_size: 1
    .uses_dynamic_stack: false
    .vgpr_count:     29
    .vgpr_spill_count: 0
    .wavefront_size: 32
    .workgroup_processor_mode: 1
  - .args:
      - .offset:         0
        .size:           4
        .value_kind:     by_value
      - .offset:         4
        .size:           4
        .value_kind:     by_value
      - .offset:         8
        .size:           16
        .value_kind:     by_value
      - .offset:         24
        .size:           4
        .value_kind:     by_value
      - .actual_access:  read_only
        .address_space:  global
        .offset:         32
        .size:           8
        .value_kind:     global_buffer
      - .actual_access:  read_only
        .address_space:  global
        .offset:         40
        .size:           8
        .value_kind:     global_buffer
      - .actual_access:  read_only
        .address_space:  global
        .offset:         48
        .size:           8
        .value_kind:     global_buffer
      - .actual_access:  read_only
        .address_space:  global
        .offset:         56
        .size:           8
        .value_kind:     global_buffer
      - .actual_access:  read_only
        .address_space:  global
        .offset:         64
        .size:           8
        .value_kind:     global_buffer
      - .actual_access:  read_only
        .address_space:  global
        .offset:         72
        .size:           8
        .value_kind:     global_buffer
      - .offset:         80
        .size:           16
        .value_kind:     by_value
      - .address_space:  global
        .offset:         96
        .size:           8
        .value_kind:     global_buffer
      - .offset:         104
        .size:           4
        .value_kind:     by_value
      - .offset:         108
        .size:           1
        .value_kind:     by_value
    .group_segment_fixed_size: 10368
    .kernarg_segment_align: 8
    .kernarg_segment_size: 112
    .language:       OpenCL C
    .language_version:
      - 2
      - 0
    .max_flat_workgroup_size: 324
    .name:           _ZN9rocsparseL20bsrxmvn_17_32_kernelILj18E21rocsparse_complex_numIdEiiS2_S2_S2_EEvT2_20rocsparse_direction_NS_24const_host_device_scalarIT0_EES3_PKS3_PKT1_SC_S9_PKT3_PKT4_S7_PT5_21rocsparse_index_base_b
    .private_segment_fixed_size: 0
    .sgpr_count:     20
    .sgpr_spill_count: 0
    .symbol:         _ZN9rocsparseL20bsrxmvn_17_32_kernelILj18E21rocsparse_complex_numIdEiiS2_S2_S2_EEvT2_20rocsparse_direction_NS_24const_host_device_scalarIT0_EES3_PKS3_PKT1_SC_S9_PKT3_PKT4_S7_PT5_21rocsparse_index_base_b.kd
    .uniform_work_group_size: 1
    .uses_dynamic_stack: false
    .vgpr_count:     29
    .vgpr_spill_count: 0
    .wavefront_size: 32
    .workgroup_processor_mode: 1
  - .args:
      - .offset:         0
        .size:           4
        .value_kind:     by_value
      - .offset:         4
        .size:           4
        .value_kind:     by_value
      - .offset:         8
        .size:           16
        .value_kind:     by_value
      - .offset:         24
        .size:           4
        .value_kind:     by_value
      - .actual_access:  read_only
        .address_space:  global
        .offset:         32
        .size:           8
        .value_kind:     global_buffer
      - .actual_access:  read_only
        .address_space:  global
        .offset:         40
        .size:           8
        .value_kind:     global_buffer
      - .actual_access:  read_only
        .address_space:  global
        .offset:         48
        .size:           8
        .value_kind:     global_buffer
      - .actual_access:  read_only
        .address_space:  global
        .offset:         56
        .size:           8
        .value_kind:     global_buffer
      - .actual_access:  read_only
        .address_space:  global
        .offset:         64
        .size:           8
        .value_kind:     global_buffer
      - .actual_access:  read_only
        .address_space:  global
        .offset:         72
        .size:           8
        .value_kind:     global_buffer
      - .offset:         80
        .size:           16
        .value_kind:     by_value
      - .address_space:  global
        .offset:         96
        .size:           8
        .value_kind:     global_buffer
      - .offset:         104
        .size:           4
        .value_kind:     by_value
      - .offset:         108
        .size:           1
        .value_kind:     by_value
    .group_segment_fixed_size: 11552
    .kernarg_segment_align: 8
    .kernarg_segment_size: 112
    .language:       OpenCL C
    .language_version:
      - 2
      - 0
    .max_flat_workgroup_size: 361
    .name:           _ZN9rocsparseL20bsrxmvn_17_32_kernelILj19E21rocsparse_complex_numIdEiiS2_S2_S2_EEvT2_20rocsparse_direction_NS_24const_host_device_scalarIT0_EES3_PKS3_PKT1_SC_S9_PKT3_PKT4_S7_PT5_21rocsparse_index_base_b
    .private_segment_fixed_size: 0
    .sgpr_count:     20
    .sgpr_spill_count: 0
    .symbol:         _ZN9rocsparseL20bsrxmvn_17_32_kernelILj19E21rocsparse_complex_numIdEiiS2_S2_S2_EEvT2_20rocsparse_direction_NS_24const_host_device_scalarIT0_EES3_PKS3_PKT1_SC_S9_PKT3_PKT4_S7_PT5_21rocsparse_index_base_b.kd
    .uniform_work_group_size: 1
    .uses_dynamic_stack: false
    .vgpr_count:     29
    .vgpr_spill_count: 0
    .wavefront_size: 32
    .workgroup_processor_mode: 1
  - .args:
      - .offset:         0
        .size:           4
        .value_kind:     by_value
      - .offset:         4
        .size:           4
        .value_kind:     by_value
      - .offset:         8
        .size:           16
        .value_kind:     by_value
      - .offset:         24
        .size:           4
        .value_kind:     by_value
      - .actual_access:  read_only
        .address_space:  global
        .offset:         32
        .size:           8
        .value_kind:     global_buffer
      - .actual_access:  read_only
        .address_space:  global
        .offset:         40
        .size:           8
        .value_kind:     global_buffer
      - .actual_access:  read_only
        .address_space:  global
        .offset:         48
        .size:           8
        .value_kind:     global_buffer
      - .actual_access:  read_only
        .address_space:  global
        .offset:         56
        .size:           8
        .value_kind:     global_buffer
      - .actual_access:  read_only
        .address_space:  global
        .offset:         64
        .size:           8
        .value_kind:     global_buffer
      - .actual_access:  read_only
        .address_space:  global
        .offset:         72
        .size:           8
        .value_kind:     global_buffer
      - .offset:         80
        .size:           16
        .value_kind:     by_value
      - .address_space:  global
        .offset:         96
        .size:           8
        .value_kind:     global_buffer
      - .offset:         104
        .size:           4
        .value_kind:     by_value
      - .offset:         108
        .size:           1
        .value_kind:     by_value
    .group_segment_fixed_size: 12800
    .kernarg_segment_align: 8
    .kernarg_segment_size: 112
    .language:       OpenCL C
    .language_version:
      - 2
      - 0
    .max_flat_workgroup_size: 400
    .name:           _ZN9rocsparseL20bsrxmvn_17_32_kernelILj20E21rocsparse_complex_numIdEiiS2_S2_S2_EEvT2_20rocsparse_direction_NS_24const_host_device_scalarIT0_EES3_PKS3_PKT1_SC_S9_PKT3_PKT4_S7_PT5_21rocsparse_index_base_b
    .private_segment_fixed_size: 0
    .sgpr_count:     20
    .sgpr_spill_count: 0
    .symbol:         _ZN9rocsparseL20bsrxmvn_17_32_kernelILj20E21rocsparse_complex_numIdEiiS2_S2_S2_EEvT2_20rocsparse_direction_NS_24const_host_device_scalarIT0_EES3_PKS3_PKT1_SC_S9_PKT3_PKT4_S7_PT5_21rocsparse_index_base_b.kd
    .uniform_work_group_size: 1
    .uses_dynamic_stack: false
    .vgpr_count:     29
    .vgpr_spill_count: 0
    .wavefront_size: 32
    .workgroup_processor_mode: 1
  - .args:
      - .offset:         0
        .size:           4
        .value_kind:     by_value
      - .offset:         4
        .size:           4
        .value_kind:     by_value
      - .offset:         8
        .size:           16
        .value_kind:     by_value
      - .offset:         24
        .size:           4
        .value_kind:     by_value
      - .actual_access:  read_only
        .address_space:  global
        .offset:         32
        .size:           8
        .value_kind:     global_buffer
      - .actual_access:  read_only
        .address_space:  global
        .offset:         40
        .size:           8
        .value_kind:     global_buffer
      - .actual_access:  read_only
        .address_space:  global
        .offset:         48
        .size:           8
        .value_kind:     global_buffer
      - .actual_access:  read_only
        .address_space:  global
        .offset:         56
        .size:           8
        .value_kind:     global_buffer
      - .actual_access:  read_only
        .address_space:  global
        .offset:         64
        .size:           8
        .value_kind:     global_buffer
      - .actual_access:  read_only
        .address_space:  global
        .offset:         72
        .size:           8
        .value_kind:     global_buffer
      - .offset:         80
        .size:           16
        .value_kind:     by_value
      - .address_space:  global
        .offset:         96
        .size:           8
        .value_kind:     global_buffer
      - .offset:         104
        .size:           4
        .value_kind:     by_value
      - .offset:         108
        .size:           1
        .value_kind:     by_value
    .group_segment_fixed_size: 14112
    .kernarg_segment_align: 8
    .kernarg_segment_size: 112
    .language:       OpenCL C
    .language_version:
      - 2
      - 0
    .max_flat_workgroup_size: 441
    .name:           _ZN9rocsparseL20bsrxmvn_17_32_kernelILj21E21rocsparse_complex_numIdEiiS2_S2_S2_EEvT2_20rocsparse_direction_NS_24const_host_device_scalarIT0_EES3_PKS3_PKT1_SC_S9_PKT3_PKT4_S7_PT5_21rocsparse_index_base_b
    .private_segment_fixed_size: 0
    .sgpr_count:     20
    .sgpr_spill_count: 0
    .symbol:         _ZN9rocsparseL20bsrxmvn_17_32_kernelILj21E21rocsparse_complex_numIdEiiS2_S2_S2_EEvT2_20rocsparse_direction_NS_24const_host_device_scalarIT0_EES3_PKS3_PKT1_SC_S9_PKT3_PKT4_S7_PT5_21rocsparse_index_base_b.kd
    .uniform_work_group_size: 1
    .uses_dynamic_stack: false
    .vgpr_count:     29
    .vgpr_spill_count: 0
    .wavefront_size: 32
    .workgroup_processor_mode: 1
  - .args:
      - .offset:         0
        .size:           4
        .value_kind:     by_value
      - .offset:         4
        .size:           4
        .value_kind:     by_value
      - .offset:         8
        .size:           16
        .value_kind:     by_value
      - .offset:         24
        .size:           4
        .value_kind:     by_value
      - .actual_access:  read_only
        .address_space:  global
        .offset:         32
        .size:           8
        .value_kind:     global_buffer
      - .actual_access:  read_only
        .address_space:  global
        .offset:         40
        .size:           8
        .value_kind:     global_buffer
      - .actual_access:  read_only
        .address_space:  global
        .offset:         48
        .size:           8
        .value_kind:     global_buffer
      - .actual_access:  read_only
        .address_space:  global
        .offset:         56
        .size:           8
        .value_kind:     global_buffer
      - .actual_access:  read_only
        .address_space:  global
        .offset:         64
        .size:           8
        .value_kind:     global_buffer
      - .actual_access:  read_only
        .address_space:  global
        .offset:         72
        .size:           8
        .value_kind:     global_buffer
      - .offset:         80
        .size:           16
        .value_kind:     by_value
      - .address_space:  global
        .offset:         96
        .size:           8
        .value_kind:     global_buffer
      - .offset:         104
        .size:           4
        .value_kind:     by_value
      - .offset:         108
        .size:           1
        .value_kind:     by_value
    .group_segment_fixed_size: 15488
    .kernarg_segment_align: 8
    .kernarg_segment_size: 112
    .language:       OpenCL C
    .language_version:
      - 2
      - 0
    .max_flat_workgroup_size: 484
    .name:           _ZN9rocsparseL20bsrxmvn_17_32_kernelILj22E21rocsparse_complex_numIdEiiS2_S2_S2_EEvT2_20rocsparse_direction_NS_24const_host_device_scalarIT0_EES3_PKS3_PKT1_SC_S9_PKT3_PKT4_S7_PT5_21rocsparse_index_base_b
    .private_segment_fixed_size: 0
    .sgpr_count:     20
    .sgpr_spill_count: 0
    .symbol:         _ZN9rocsparseL20bsrxmvn_17_32_kernelILj22E21rocsparse_complex_numIdEiiS2_S2_S2_EEvT2_20rocsparse_direction_NS_24const_host_device_scalarIT0_EES3_PKS3_PKT1_SC_S9_PKT3_PKT4_S7_PT5_21rocsparse_index_base_b.kd
    .uniform_work_group_size: 1
    .uses_dynamic_stack: false
    .vgpr_count:     29
    .vgpr_spill_count: 0
    .wavefront_size: 32
    .workgroup_processor_mode: 1
  - .args:
      - .offset:         0
        .size:           4
        .value_kind:     by_value
      - .offset:         4
        .size:           4
        .value_kind:     by_value
      - .offset:         8
        .size:           16
        .value_kind:     by_value
      - .offset:         24
        .size:           4
        .value_kind:     by_value
      - .actual_access:  read_only
        .address_space:  global
        .offset:         32
        .size:           8
        .value_kind:     global_buffer
      - .actual_access:  read_only
        .address_space:  global
        .offset:         40
        .size:           8
        .value_kind:     global_buffer
      - .actual_access:  read_only
        .address_space:  global
        .offset:         48
        .size:           8
        .value_kind:     global_buffer
      - .actual_access:  read_only
        .address_space:  global
        .offset:         56
        .size:           8
        .value_kind:     global_buffer
      - .actual_access:  read_only
        .address_space:  global
        .offset:         64
        .size:           8
        .value_kind:     global_buffer
      - .actual_access:  read_only
        .address_space:  global
        .offset:         72
        .size:           8
        .value_kind:     global_buffer
      - .offset:         80
        .size:           16
        .value_kind:     by_value
      - .address_space:  global
        .offset:         96
        .size:           8
        .value_kind:     global_buffer
      - .offset:         104
        .size:           4
        .value_kind:     by_value
      - .offset:         108
        .size:           1
        .value_kind:     by_value
    .group_segment_fixed_size: 16928
    .kernarg_segment_align: 8
    .kernarg_segment_size: 112
    .language:       OpenCL C
    .language_version:
      - 2
      - 0
    .max_flat_workgroup_size: 529
    .name:           _ZN9rocsparseL20bsrxmvn_17_32_kernelILj23E21rocsparse_complex_numIdEiiS2_S2_S2_EEvT2_20rocsparse_direction_NS_24const_host_device_scalarIT0_EES3_PKS3_PKT1_SC_S9_PKT3_PKT4_S7_PT5_21rocsparse_index_base_b
    .private_segment_fixed_size: 0
    .sgpr_count:     22
    .sgpr_spill_count: 0
    .symbol:         _ZN9rocsparseL20bsrxmvn_17_32_kernelILj23E21rocsparse_complex_numIdEiiS2_S2_S2_EEvT2_20rocsparse_direction_NS_24const_host_device_scalarIT0_EES3_PKS3_PKT1_SC_S9_PKT3_PKT4_S7_PT5_21rocsparse_index_base_b.kd
    .uniform_work_group_size: 1
    .uses_dynamic_stack: false
    .vgpr_count:     26
    .vgpr_spill_count: 0
    .wavefront_size: 32
    .workgroup_processor_mode: 1
  - .args:
      - .offset:         0
        .size:           4
        .value_kind:     by_value
      - .offset:         4
        .size:           4
        .value_kind:     by_value
      - .offset:         8
        .size:           16
        .value_kind:     by_value
      - .offset:         24
        .size:           4
        .value_kind:     by_value
      - .actual_access:  read_only
        .address_space:  global
        .offset:         32
        .size:           8
        .value_kind:     global_buffer
      - .actual_access:  read_only
        .address_space:  global
        .offset:         40
        .size:           8
        .value_kind:     global_buffer
      - .actual_access:  read_only
        .address_space:  global
        .offset:         48
        .size:           8
        .value_kind:     global_buffer
      - .actual_access:  read_only
        .address_space:  global
        .offset:         56
        .size:           8
        .value_kind:     global_buffer
      - .actual_access:  read_only
        .address_space:  global
        .offset:         64
        .size:           8
        .value_kind:     global_buffer
      - .actual_access:  read_only
        .address_space:  global
        .offset:         72
        .size:           8
        .value_kind:     global_buffer
      - .offset:         80
        .size:           16
        .value_kind:     by_value
      - .address_space:  global
        .offset:         96
        .size:           8
        .value_kind:     global_buffer
      - .offset:         104
        .size:           4
        .value_kind:     by_value
      - .offset:         108
        .size:           1
        .value_kind:     by_value
    .group_segment_fixed_size: 18432
    .kernarg_segment_align: 8
    .kernarg_segment_size: 112
    .language:       OpenCL C
    .language_version:
      - 2
      - 0
    .max_flat_workgroup_size: 576
    .name:           _ZN9rocsparseL20bsrxmvn_17_32_kernelILj24E21rocsparse_complex_numIdEiiS2_S2_S2_EEvT2_20rocsparse_direction_NS_24const_host_device_scalarIT0_EES3_PKS3_PKT1_SC_S9_PKT3_PKT4_S7_PT5_21rocsparse_index_base_b
    .private_segment_fixed_size: 0
    .sgpr_count:     22
    .sgpr_spill_count: 0
    .symbol:         _ZN9rocsparseL20bsrxmvn_17_32_kernelILj24E21rocsparse_complex_numIdEiiS2_S2_S2_EEvT2_20rocsparse_direction_NS_24const_host_device_scalarIT0_EES3_PKS3_PKT1_SC_S9_PKT3_PKT4_S7_PT5_21rocsparse_index_base_b.kd
    .uniform_work_group_size: 1
    .uses_dynamic_stack: false
    .vgpr_count:     26
    .vgpr_spill_count: 0
    .wavefront_size: 32
    .workgroup_processor_mode: 1
  - .args:
      - .offset:         0
        .size:           4
        .value_kind:     by_value
      - .offset:         4
        .size:           4
        .value_kind:     by_value
      - .offset:         8
        .size:           16
        .value_kind:     by_value
      - .offset:         24
        .size:           4
        .value_kind:     by_value
      - .actual_access:  read_only
        .address_space:  global
        .offset:         32
        .size:           8
        .value_kind:     global_buffer
      - .actual_access:  read_only
        .address_space:  global
        .offset:         40
        .size:           8
        .value_kind:     global_buffer
      - .actual_access:  read_only
        .address_space:  global
        .offset:         48
        .size:           8
        .value_kind:     global_buffer
      - .actual_access:  read_only
        .address_space:  global
        .offset:         56
        .size:           8
        .value_kind:     global_buffer
      - .actual_access:  read_only
        .address_space:  global
        .offset:         64
        .size:           8
        .value_kind:     global_buffer
      - .actual_access:  read_only
        .address_space:  global
        .offset:         72
        .size:           8
        .value_kind:     global_buffer
      - .offset:         80
        .size:           16
        .value_kind:     by_value
      - .address_space:  global
        .offset:         96
        .size:           8
        .value_kind:     global_buffer
      - .offset:         104
        .size:           4
        .value_kind:     by_value
      - .offset:         108
        .size:           1
        .value_kind:     by_value
    .group_segment_fixed_size: 20000
    .kernarg_segment_align: 8
    .kernarg_segment_size: 112
    .language:       OpenCL C
    .language_version:
      - 2
      - 0
    .max_flat_workgroup_size: 625
    .name:           _ZN9rocsparseL20bsrxmvn_17_32_kernelILj25E21rocsparse_complex_numIdEiiS2_S2_S2_EEvT2_20rocsparse_direction_NS_24const_host_device_scalarIT0_EES3_PKS3_PKT1_SC_S9_PKT3_PKT4_S7_PT5_21rocsparse_index_base_b
    .private_segment_fixed_size: 0
    .sgpr_count:     22
    .sgpr_spill_count: 0
    .symbol:         _ZN9rocsparseL20bsrxmvn_17_32_kernelILj25E21rocsparse_complex_numIdEiiS2_S2_S2_EEvT2_20rocsparse_direction_NS_24const_host_device_scalarIT0_EES3_PKS3_PKT1_SC_S9_PKT3_PKT4_S7_PT5_21rocsparse_index_base_b.kd
    .uniform_work_group_size: 1
    .uses_dynamic_stack: false
    .vgpr_count:     26
    .vgpr_spill_count: 0
    .wavefront_size: 32
    .workgroup_processor_mode: 1
  - .args:
      - .offset:         0
        .size:           4
        .value_kind:     by_value
      - .offset:         4
        .size:           4
        .value_kind:     by_value
      - .offset:         8
        .size:           16
        .value_kind:     by_value
      - .offset:         24
        .size:           4
        .value_kind:     by_value
      - .actual_access:  read_only
        .address_space:  global
        .offset:         32
        .size:           8
        .value_kind:     global_buffer
      - .actual_access:  read_only
        .address_space:  global
        .offset:         40
        .size:           8
        .value_kind:     global_buffer
      - .actual_access:  read_only
        .address_space:  global
        .offset:         48
        .size:           8
        .value_kind:     global_buffer
      - .actual_access:  read_only
        .address_space:  global
        .offset:         56
        .size:           8
        .value_kind:     global_buffer
      - .actual_access:  read_only
        .address_space:  global
        .offset:         64
        .size:           8
        .value_kind:     global_buffer
      - .actual_access:  read_only
        .address_space:  global
        .offset:         72
        .size:           8
        .value_kind:     global_buffer
      - .offset:         80
        .size:           16
        .value_kind:     by_value
      - .address_space:  global
        .offset:         96
        .size:           8
        .value_kind:     global_buffer
      - .offset:         104
        .size:           4
        .value_kind:     by_value
      - .offset:         108
        .size:           1
        .value_kind:     by_value
    .group_segment_fixed_size: 21632
    .kernarg_segment_align: 8
    .kernarg_segment_size: 112
    .language:       OpenCL C
    .language_version:
      - 2
      - 0
    .max_flat_workgroup_size: 676
    .name:           _ZN9rocsparseL20bsrxmvn_17_32_kernelILj26E21rocsparse_complex_numIdEiiS2_S2_S2_EEvT2_20rocsparse_direction_NS_24const_host_device_scalarIT0_EES3_PKS3_PKT1_SC_S9_PKT3_PKT4_S7_PT5_21rocsparse_index_base_b
    .private_segment_fixed_size: 0
    .sgpr_count:     22
    .sgpr_spill_count: 0
    .symbol:         _ZN9rocsparseL20bsrxmvn_17_32_kernelILj26E21rocsparse_complex_numIdEiiS2_S2_S2_EEvT2_20rocsparse_direction_NS_24const_host_device_scalarIT0_EES3_PKS3_PKT1_SC_S9_PKT3_PKT4_S7_PT5_21rocsparse_index_base_b.kd
    .uniform_work_group_size: 1
    .uses_dynamic_stack: false
    .vgpr_count:     26
    .vgpr_spill_count: 0
    .wavefront_size: 32
    .workgroup_processor_mode: 1
  - .args:
      - .offset:         0
        .size:           4
        .value_kind:     by_value
      - .offset:         4
        .size:           4
        .value_kind:     by_value
      - .offset:         8
        .size:           16
        .value_kind:     by_value
      - .offset:         24
        .size:           4
        .value_kind:     by_value
      - .actual_access:  read_only
        .address_space:  global
        .offset:         32
        .size:           8
        .value_kind:     global_buffer
      - .actual_access:  read_only
        .address_space:  global
        .offset:         40
        .size:           8
        .value_kind:     global_buffer
      - .actual_access:  read_only
        .address_space:  global
        .offset:         48
        .size:           8
        .value_kind:     global_buffer
      - .actual_access:  read_only
        .address_space:  global
        .offset:         56
        .size:           8
        .value_kind:     global_buffer
      - .actual_access:  read_only
        .address_space:  global
        .offset:         64
        .size:           8
        .value_kind:     global_buffer
      - .actual_access:  read_only
        .address_space:  global
        .offset:         72
        .size:           8
        .value_kind:     global_buffer
      - .offset:         80
        .size:           16
        .value_kind:     by_value
      - .address_space:  global
        .offset:         96
        .size:           8
        .value_kind:     global_buffer
      - .offset:         104
        .size:           4
        .value_kind:     by_value
      - .offset:         108
        .size:           1
        .value_kind:     by_value
    .group_segment_fixed_size: 23328
    .kernarg_segment_align: 8
    .kernarg_segment_size: 112
    .language:       OpenCL C
    .language_version:
      - 2
      - 0
    .max_flat_workgroup_size: 729
    .name:           _ZN9rocsparseL20bsrxmvn_17_32_kernelILj27E21rocsparse_complex_numIdEiiS2_S2_S2_EEvT2_20rocsparse_direction_NS_24const_host_device_scalarIT0_EES3_PKS3_PKT1_SC_S9_PKT3_PKT4_S7_PT5_21rocsparse_index_base_b
    .private_segment_fixed_size: 0
    .sgpr_count:     22
    .sgpr_spill_count: 0
    .symbol:         _ZN9rocsparseL20bsrxmvn_17_32_kernelILj27E21rocsparse_complex_numIdEiiS2_S2_S2_EEvT2_20rocsparse_direction_NS_24const_host_device_scalarIT0_EES3_PKS3_PKT1_SC_S9_PKT3_PKT4_S7_PT5_21rocsparse_index_base_b.kd
    .uniform_work_group_size: 1
    .uses_dynamic_stack: false
    .vgpr_count:     26
    .vgpr_spill_count: 0
    .wavefront_size: 32
    .workgroup_processor_mode: 1
  - .args:
      - .offset:         0
        .size:           4
        .value_kind:     by_value
      - .offset:         4
        .size:           4
        .value_kind:     by_value
      - .offset:         8
        .size:           16
        .value_kind:     by_value
      - .offset:         24
        .size:           4
        .value_kind:     by_value
      - .actual_access:  read_only
        .address_space:  global
        .offset:         32
        .size:           8
        .value_kind:     global_buffer
      - .actual_access:  read_only
        .address_space:  global
        .offset:         40
        .size:           8
        .value_kind:     global_buffer
      - .actual_access:  read_only
        .address_space:  global
        .offset:         48
        .size:           8
        .value_kind:     global_buffer
      - .actual_access:  read_only
        .address_space:  global
        .offset:         56
        .size:           8
        .value_kind:     global_buffer
      - .actual_access:  read_only
        .address_space:  global
        .offset:         64
        .size:           8
        .value_kind:     global_buffer
      - .actual_access:  read_only
        .address_space:  global
        .offset:         72
        .size:           8
        .value_kind:     global_buffer
      - .offset:         80
        .size:           16
        .value_kind:     by_value
      - .address_space:  global
        .offset:         96
        .size:           8
        .value_kind:     global_buffer
      - .offset:         104
        .size:           4
        .value_kind:     by_value
      - .offset:         108
        .size:           1
        .value_kind:     by_value
    .group_segment_fixed_size: 25088
    .kernarg_segment_align: 8
    .kernarg_segment_size: 112
    .language:       OpenCL C
    .language_version:
      - 2
      - 0
    .max_flat_workgroup_size: 784
    .name:           _ZN9rocsparseL20bsrxmvn_17_32_kernelILj28E21rocsparse_complex_numIdEiiS2_S2_S2_EEvT2_20rocsparse_direction_NS_24const_host_device_scalarIT0_EES3_PKS3_PKT1_SC_S9_PKT3_PKT4_S7_PT5_21rocsparse_index_base_b
    .private_segment_fixed_size: 0
    .sgpr_count:     22
    .sgpr_spill_count: 0
    .symbol:         _ZN9rocsparseL20bsrxmvn_17_32_kernelILj28E21rocsparse_complex_numIdEiiS2_S2_S2_EEvT2_20rocsparse_direction_NS_24const_host_device_scalarIT0_EES3_PKS3_PKT1_SC_S9_PKT3_PKT4_S7_PT5_21rocsparse_index_base_b.kd
    .uniform_work_group_size: 1
    .uses_dynamic_stack: false
    .vgpr_count:     26
    .vgpr_spill_count: 0
    .wavefront_size: 32
    .workgroup_processor_mode: 1
  - .args:
      - .offset:         0
        .size:           4
        .value_kind:     by_value
      - .offset:         4
        .size:           4
        .value_kind:     by_value
      - .offset:         8
        .size:           16
        .value_kind:     by_value
      - .offset:         24
        .size:           4
        .value_kind:     by_value
      - .actual_access:  read_only
        .address_space:  global
        .offset:         32
        .size:           8
        .value_kind:     global_buffer
      - .actual_access:  read_only
        .address_space:  global
        .offset:         40
        .size:           8
        .value_kind:     global_buffer
      - .actual_access:  read_only
        .address_space:  global
        .offset:         48
        .size:           8
        .value_kind:     global_buffer
      - .actual_access:  read_only
        .address_space:  global
        .offset:         56
        .size:           8
        .value_kind:     global_buffer
      - .actual_access:  read_only
        .address_space:  global
        .offset:         64
        .size:           8
        .value_kind:     global_buffer
      - .actual_access:  read_only
        .address_space:  global
        .offset:         72
        .size:           8
        .value_kind:     global_buffer
      - .offset:         80
        .size:           16
        .value_kind:     by_value
      - .address_space:  global
        .offset:         96
        .size:           8
        .value_kind:     global_buffer
      - .offset:         104
        .size:           4
        .value_kind:     by_value
      - .offset:         108
        .size:           1
        .value_kind:     by_value
    .group_segment_fixed_size: 26912
    .kernarg_segment_align: 8
    .kernarg_segment_size: 112
    .language:       OpenCL C
    .language_version:
      - 2
      - 0
    .max_flat_workgroup_size: 841
    .name:           _ZN9rocsparseL20bsrxmvn_17_32_kernelILj29E21rocsparse_complex_numIdEiiS2_S2_S2_EEvT2_20rocsparse_direction_NS_24const_host_device_scalarIT0_EES3_PKS3_PKT1_SC_S9_PKT3_PKT4_S7_PT5_21rocsparse_index_base_b
    .private_segment_fixed_size: 0
    .sgpr_count:     22
    .sgpr_spill_count: 0
    .symbol:         _ZN9rocsparseL20bsrxmvn_17_32_kernelILj29E21rocsparse_complex_numIdEiiS2_S2_S2_EEvT2_20rocsparse_direction_NS_24const_host_device_scalarIT0_EES3_PKS3_PKT1_SC_S9_PKT3_PKT4_S7_PT5_21rocsparse_index_base_b.kd
    .uniform_work_group_size: 1
    .uses_dynamic_stack: false
    .vgpr_count:     26
    .vgpr_spill_count: 0
    .wavefront_size: 32
    .workgroup_processor_mode: 1
  - .args:
      - .offset:         0
        .size:           4
        .value_kind:     by_value
      - .offset:         4
        .size:           4
        .value_kind:     by_value
      - .offset:         8
        .size:           16
        .value_kind:     by_value
      - .offset:         24
        .size:           4
        .value_kind:     by_value
      - .actual_access:  read_only
        .address_space:  global
        .offset:         32
        .size:           8
        .value_kind:     global_buffer
      - .actual_access:  read_only
        .address_space:  global
        .offset:         40
        .size:           8
        .value_kind:     global_buffer
      - .actual_access:  read_only
        .address_space:  global
        .offset:         48
        .size:           8
        .value_kind:     global_buffer
      - .actual_access:  read_only
        .address_space:  global
        .offset:         56
        .size:           8
        .value_kind:     global_buffer
      - .actual_access:  read_only
        .address_space:  global
        .offset:         64
        .size:           8
        .value_kind:     global_buffer
      - .actual_access:  read_only
        .address_space:  global
        .offset:         72
        .size:           8
        .value_kind:     global_buffer
      - .offset:         80
        .size:           16
        .value_kind:     by_value
      - .address_space:  global
        .offset:         96
        .size:           8
        .value_kind:     global_buffer
      - .offset:         104
        .size:           4
        .value_kind:     by_value
      - .offset:         108
        .size:           1
        .value_kind:     by_value
    .group_segment_fixed_size: 28800
    .kernarg_segment_align: 8
    .kernarg_segment_size: 112
    .language:       OpenCL C
    .language_version:
      - 2
      - 0
    .max_flat_workgroup_size: 900
    .name:           _ZN9rocsparseL20bsrxmvn_17_32_kernelILj30E21rocsparse_complex_numIdEiiS2_S2_S2_EEvT2_20rocsparse_direction_NS_24const_host_device_scalarIT0_EES3_PKS3_PKT1_SC_S9_PKT3_PKT4_S7_PT5_21rocsparse_index_base_b
    .private_segment_fixed_size: 0
    .sgpr_count:     22
    .sgpr_spill_count: 0
    .symbol:         _ZN9rocsparseL20bsrxmvn_17_32_kernelILj30E21rocsparse_complex_numIdEiiS2_S2_S2_EEvT2_20rocsparse_direction_NS_24const_host_device_scalarIT0_EES3_PKS3_PKT1_SC_S9_PKT3_PKT4_S7_PT5_21rocsparse_index_base_b.kd
    .uniform_work_group_size: 1
    .uses_dynamic_stack: false
    .vgpr_count:     26
    .vgpr_spill_count: 0
    .wavefront_size: 32
    .workgroup_processor_mode: 1
  - .args:
      - .offset:         0
        .size:           4
        .value_kind:     by_value
      - .offset:         4
        .size:           4
        .value_kind:     by_value
      - .offset:         8
        .size:           16
        .value_kind:     by_value
      - .offset:         24
        .size:           4
        .value_kind:     by_value
      - .actual_access:  read_only
        .address_space:  global
        .offset:         32
        .size:           8
        .value_kind:     global_buffer
      - .actual_access:  read_only
        .address_space:  global
        .offset:         40
        .size:           8
        .value_kind:     global_buffer
      - .actual_access:  read_only
        .address_space:  global
        .offset:         48
        .size:           8
        .value_kind:     global_buffer
      - .actual_access:  read_only
        .address_space:  global
        .offset:         56
        .size:           8
        .value_kind:     global_buffer
      - .actual_access:  read_only
        .address_space:  global
        .offset:         64
        .size:           8
        .value_kind:     global_buffer
      - .actual_access:  read_only
        .address_space:  global
        .offset:         72
        .size:           8
        .value_kind:     global_buffer
      - .offset:         80
        .size:           16
        .value_kind:     by_value
      - .address_space:  global
        .offset:         96
        .size:           8
        .value_kind:     global_buffer
      - .offset:         104
        .size:           4
        .value_kind:     by_value
      - .offset:         108
        .size:           1
        .value_kind:     by_value
    .group_segment_fixed_size: 30752
    .kernarg_segment_align: 8
    .kernarg_segment_size: 112
    .language:       OpenCL C
    .language_version:
      - 2
      - 0
    .max_flat_workgroup_size: 961
    .name:           _ZN9rocsparseL20bsrxmvn_17_32_kernelILj31E21rocsparse_complex_numIdEiiS2_S2_S2_EEvT2_20rocsparse_direction_NS_24const_host_device_scalarIT0_EES3_PKS3_PKT1_SC_S9_PKT3_PKT4_S7_PT5_21rocsparse_index_base_b
    .private_segment_fixed_size: 0
    .sgpr_count:     22
    .sgpr_spill_count: 0
    .symbol:         _ZN9rocsparseL20bsrxmvn_17_32_kernelILj31E21rocsparse_complex_numIdEiiS2_S2_S2_EEvT2_20rocsparse_direction_NS_24const_host_device_scalarIT0_EES3_PKS3_PKT1_SC_S9_PKT3_PKT4_S7_PT5_21rocsparse_index_base_b.kd
    .uniform_work_group_size: 1
    .uses_dynamic_stack: false
    .vgpr_count:     26
    .vgpr_spill_count: 0
    .wavefront_size: 32
    .workgroup_processor_mode: 1
  - .args:
      - .offset:         0
        .size:           4
        .value_kind:     by_value
      - .offset:         4
        .size:           4
        .value_kind:     by_value
      - .offset:         8
        .size:           16
        .value_kind:     by_value
      - .offset:         24
        .size:           4
        .value_kind:     by_value
      - .actual_access:  read_only
        .address_space:  global
        .offset:         32
        .size:           8
        .value_kind:     global_buffer
      - .actual_access:  read_only
        .address_space:  global
        .offset:         40
        .size:           8
        .value_kind:     global_buffer
      - .actual_access:  read_only
        .address_space:  global
        .offset:         48
        .size:           8
        .value_kind:     global_buffer
      - .actual_access:  read_only
        .address_space:  global
        .offset:         56
        .size:           8
        .value_kind:     global_buffer
      - .actual_access:  read_only
        .address_space:  global
        .offset:         64
        .size:           8
        .value_kind:     global_buffer
      - .actual_access:  read_only
        .address_space:  global
        .offset:         72
        .size:           8
        .value_kind:     global_buffer
      - .offset:         80
        .size:           16
        .value_kind:     by_value
      - .address_space:  global
        .offset:         96
        .size:           8
        .value_kind:     global_buffer
      - .offset:         104
        .size:           4
        .value_kind:     by_value
      - .offset:         108
        .size:           1
        .value_kind:     by_value
    .group_segment_fixed_size: 32768
    .kernarg_segment_align: 8
    .kernarg_segment_size: 112
    .language:       OpenCL C
    .language_version:
      - 2
      - 0
    .max_flat_workgroup_size: 1024
    .name:           _ZN9rocsparseL20bsrxmvn_17_32_kernelILj32E21rocsparse_complex_numIdEiiS2_S2_S2_EEvT2_20rocsparse_direction_NS_24const_host_device_scalarIT0_EES3_PKS3_PKT1_SC_S9_PKT3_PKT4_S7_PT5_21rocsparse_index_base_b
    .private_segment_fixed_size: 0
    .sgpr_count:     24
    .sgpr_spill_count: 0
    .symbol:         _ZN9rocsparseL20bsrxmvn_17_32_kernelILj32E21rocsparse_complex_numIdEiiS2_S2_S2_EEvT2_20rocsparse_direction_NS_24const_host_device_scalarIT0_EES3_PKS3_PKT1_SC_S9_PKT3_PKT4_S7_PT5_21rocsparse_index_base_b.kd
    .uniform_work_group_size: 1
    .uses_dynamic_stack: false
    .vgpr_count:     26
    .vgpr_spill_count: 0
    .wavefront_size: 32
    .workgroup_processor_mode: 1
  - .args:
      - .offset:         0
        .size:           4
        .value_kind:     by_value
      - .offset:         4
        .size:           4
        .value_kind:     by_value
      - .offset:         8
        .size:           8
        .value_kind:     by_value
      - .offset:         16
        .size:           4
        .value_kind:     by_value
      - .actual_access:  read_only
        .address_space:  global
        .offset:         24
        .size:           8
        .value_kind:     global_buffer
      - .actual_access:  read_only
        .address_space:  global
        .offset:         32
        .size:           8
        .value_kind:     global_buffer
      - .actual_access:  read_only
        .address_space:  global
        .offset:         40
        .size:           8
        .value_kind:     global_buffer
      - .actual_access:  read_only
        .address_space:  global
        .offset:         48
        .size:           8
        .value_kind:     global_buffer
      - .actual_access:  read_only
        .address_space:  global
        .offset:         56
        .size:           8
        .value_kind:     global_buffer
      - .actual_access:  read_only
        .address_space:  global
        .offset:         64
        .size:           8
        .value_kind:     global_buffer
      - .offset:         72
        .size:           8
        .value_kind:     by_value
      - .address_space:  global
        .offset:         80
        .size:           8
        .value_kind:     global_buffer
      - .offset:         88
        .size:           4
        .value_kind:     by_value
      - .offset:         92
        .size:           1
        .value_kind:     by_value
    .group_segment_fixed_size: 1156
    .kernarg_segment_align: 8
    .kernarg_segment_size: 96
    .language:       OpenCL C
    .language_version:
      - 2
      - 0
    .max_flat_workgroup_size: 289
    .name:           _ZN9rocsparseL20bsrxmvn_17_32_kernelILj17EflifffEEvT2_20rocsparse_direction_NS_24const_host_device_scalarIT0_EES1_PKS1_PKT1_SA_S7_PKT3_PKT4_S5_PT5_21rocsparse_index_base_b
    .private_segment_fixed_size: 0
    .sgpr_count:     26
    .sgpr_spill_count: 0
    .symbol:         _ZN9rocsparseL20bsrxmvn_17_32_kernelILj17EflifffEEvT2_20rocsparse_direction_NS_24const_host_device_scalarIT0_EES1_PKS1_PKT1_SA_S7_PKT3_PKT4_S5_PT5_21rocsparse_index_base_b.kd
    .uniform_work_group_size: 1
    .uses_dynamic_stack: false
    .vgpr_count:     13
    .vgpr_spill_count: 0
    .wavefront_size: 32
    .workgroup_processor_mode: 1
  - .args:
      - .offset:         0
        .size:           4
        .value_kind:     by_value
      - .offset:         4
        .size:           4
        .value_kind:     by_value
      - .offset:         8
        .size:           8
        .value_kind:     by_value
      - .offset:         16
        .size:           4
        .value_kind:     by_value
      - .actual_access:  read_only
        .address_space:  global
        .offset:         24
        .size:           8
        .value_kind:     global_buffer
      - .actual_access:  read_only
        .address_space:  global
        .offset:         32
        .size:           8
        .value_kind:     global_buffer
      - .actual_access:  read_only
        .address_space:  global
        .offset:         40
        .size:           8
        .value_kind:     global_buffer
      - .actual_access:  read_only
        .address_space:  global
        .offset:         48
        .size:           8
        .value_kind:     global_buffer
      - .actual_access:  read_only
        .address_space:  global
        .offset:         56
        .size:           8
        .value_kind:     global_buffer
      - .actual_access:  read_only
        .address_space:  global
        .offset:         64
        .size:           8
        .value_kind:     global_buffer
      - .offset:         72
        .size:           8
        .value_kind:     by_value
      - .address_space:  global
        .offset:         80
        .size:           8
        .value_kind:     global_buffer
      - .offset:         88
        .size:           4
        .value_kind:     by_value
      - .offset:         92
        .size:           1
        .value_kind:     by_value
    .group_segment_fixed_size: 1296
    .kernarg_segment_align: 8
    .kernarg_segment_size: 96
    .language:       OpenCL C
    .language_version:
      - 2
      - 0
    .max_flat_workgroup_size: 324
    .name:           _ZN9rocsparseL20bsrxmvn_17_32_kernelILj18EflifffEEvT2_20rocsparse_direction_NS_24const_host_device_scalarIT0_EES1_PKS1_PKT1_SA_S7_PKT3_PKT4_S5_PT5_21rocsparse_index_base_b
    .private_segment_fixed_size: 0
    .sgpr_count:     26
    .sgpr_spill_count: 0
    .symbol:         _ZN9rocsparseL20bsrxmvn_17_32_kernelILj18EflifffEEvT2_20rocsparse_direction_NS_24const_host_device_scalarIT0_EES1_PKS1_PKT1_SA_S7_PKT3_PKT4_S5_PT5_21rocsparse_index_base_b.kd
    .uniform_work_group_size: 1
    .uses_dynamic_stack: false
    .vgpr_count:     13
    .vgpr_spill_count: 0
    .wavefront_size: 32
    .workgroup_processor_mode: 1
  - .args:
      - .offset:         0
        .size:           4
        .value_kind:     by_value
      - .offset:         4
        .size:           4
        .value_kind:     by_value
      - .offset:         8
        .size:           8
        .value_kind:     by_value
      - .offset:         16
        .size:           4
        .value_kind:     by_value
      - .actual_access:  read_only
        .address_space:  global
        .offset:         24
        .size:           8
        .value_kind:     global_buffer
      - .actual_access:  read_only
        .address_space:  global
        .offset:         32
        .size:           8
        .value_kind:     global_buffer
      - .actual_access:  read_only
        .address_space:  global
        .offset:         40
        .size:           8
        .value_kind:     global_buffer
      - .actual_access:  read_only
        .address_space:  global
        .offset:         48
        .size:           8
        .value_kind:     global_buffer
      - .actual_access:  read_only
        .address_space:  global
        .offset:         56
        .size:           8
        .value_kind:     global_buffer
      - .actual_access:  read_only
        .address_space:  global
        .offset:         64
        .size:           8
        .value_kind:     global_buffer
      - .offset:         72
        .size:           8
        .value_kind:     by_value
      - .address_space:  global
        .offset:         80
        .size:           8
        .value_kind:     global_buffer
      - .offset:         88
        .size:           4
        .value_kind:     by_value
      - .offset:         92
        .size:           1
        .value_kind:     by_value
    .group_segment_fixed_size: 1444
    .kernarg_segment_align: 8
    .kernarg_segment_size: 96
    .language:       OpenCL C
    .language_version:
      - 2
      - 0
    .max_flat_workgroup_size: 361
    .name:           _ZN9rocsparseL20bsrxmvn_17_32_kernelILj19EflifffEEvT2_20rocsparse_direction_NS_24const_host_device_scalarIT0_EES1_PKS1_PKT1_SA_S7_PKT3_PKT4_S5_PT5_21rocsparse_index_base_b
    .private_segment_fixed_size: 0
    .sgpr_count:     26
    .sgpr_spill_count: 0
    .symbol:         _ZN9rocsparseL20bsrxmvn_17_32_kernelILj19EflifffEEvT2_20rocsparse_direction_NS_24const_host_device_scalarIT0_EES1_PKS1_PKT1_SA_S7_PKT3_PKT4_S5_PT5_21rocsparse_index_base_b.kd
    .uniform_work_group_size: 1
    .uses_dynamic_stack: false
    .vgpr_count:     13
    .vgpr_spill_count: 0
    .wavefront_size: 32
    .workgroup_processor_mode: 1
  - .args:
      - .offset:         0
        .size:           4
        .value_kind:     by_value
      - .offset:         4
        .size:           4
        .value_kind:     by_value
      - .offset:         8
        .size:           8
        .value_kind:     by_value
      - .offset:         16
        .size:           4
        .value_kind:     by_value
      - .actual_access:  read_only
        .address_space:  global
        .offset:         24
        .size:           8
        .value_kind:     global_buffer
      - .actual_access:  read_only
        .address_space:  global
        .offset:         32
        .size:           8
        .value_kind:     global_buffer
      - .actual_access:  read_only
        .address_space:  global
        .offset:         40
        .size:           8
        .value_kind:     global_buffer
      - .actual_access:  read_only
        .address_space:  global
        .offset:         48
        .size:           8
        .value_kind:     global_buffer
      - .actual_access:  read_only
        .address_space:  global
        .offset:         56
        .size:           8
        .value_kind:     global_buffer
      - .actual_access:  read_only
        .address_space:  global
        .offset:         64
        .size:           8
        .value_kind:     global_buffer
      - .offset:         72
        .size:           8
        .value_kind:     by_value
      - .address_space:  global
        .offset:         80
        .size:           8
        .value_kind:     global_buffer
      - .offset:         88
        .size:           4
        .value_kind:     by_value
      - .offset:         92
        .size:           1
        .value_kind:     by_value
    .group_segment_fixed_size: 1600
    .kernarg_segment_align: 8
    .kernarg_segment_size: 96
    .language:       OpenCL C
    .language_version:
      - 2
      - 0
    .max_flat_workgroup_size: 400
    .name:           _ZN9rocsparseL20bsrxmvn_17_32_kernelILj20EflifffEEvT2_20rocsparse_direction_NS_24const_host_device_scalarIT0_EES1_PKS1_PKT1_SA_S7_PKT3_PKT4_S5_PT5_21rocsparse_index_base_b
    .private_segment_fixed_size: 0
    .sgpr_count:     26
    .sgpr_spill_count: 0
    .symbol:         _ZN9rocsparseL20bsrxmvn_17_32_kernelILj20EflifffEEvT2_20rocsparse_direction_NS_24const_host_device_scalarIT0_EES1_PKS1_PKT1_SA_S7_PKT3_PKT4_S5_PT5_21rocsparse_index_base_b.kd
    .uniform_work_group_size: 1
    .uses_dynamic_stack: false
    .vgpr_count:     13
    .vgpr_spill_count: 0
    .wavefront_size: 32
    .workgroup_processor_mode: 1
  - .args:
      - .offset:         0
        .size:           4
        .value_kind:     by_value
      - .offset:         4
        .size:           4
        .value_kind:     by_value
      - .offset:         8
        .size:           8
        .value_kind:     by_value
      - .offset:         16
        .size:           4
        .value_kind:     by_value
      - .actual_access:  read_only
        .address_space:  global
        .offset:         24
        .size:           8
        .value_kind:     global_buffer
      - .actual_access:  read_only
        .address_space:  global
        .offset:         32
        .size:           8
        .value_kind:     global_buffer
      - .actual_access:  read_only
        .address_space:  global
        .offset:         40
        .size:           8
        .value_kind:     global_buffer
      - .actual_access:  read_only
        .address_space:  global
        .offset:         48
        .size:           8
        .value_kind:     global_buffer
      - .actual_access:  read_only
        .address_space:  global
        .offset:         56
        .size:           8
        .value_kind:     global_buffer
      - .actual_access:  read_only
        .address_space:  global
        .offset:         64
        .size:           8
        .value_kind:     global_buffer
      - .offset:         72
        .size:           8
        .value_kind:     by_value
      - .address_space:  global
        .offset:         80
        .size:           8
        .value_kind:     global_buffer
      - .offset:         88
        .size:           4
        .value_kind:     by_value
      - .offset:         92
        .size:           1
        .value_kind:     by_value
    .group_segment_fixed_size: 1764
    .kernarg_segment_align: 8
    .kernarg_segment_size: 96
    .language:       OpenCL C
    .language_version:
      - 2
      - 0
    .max_flat_workgroup_size: 441
    .name:           _ZN9rocsparseL20bsrxmvn_17_32_kernelILj21EflifffEEvT2_20rocsparse_direction_NS_24const_host_device_scalarIT0_EES1_PKS1_PKT1_SA_S7_PKT3_PKT4_S5_PT5_21rocsparse_index_base_b
    .private_segment_fixed_size: 0
    .sgpr_count:     26
    .sgpr_spill_count: 0
    .symbol:         _ZN9rocsparseL20bsrxmvn_17_32_kernelILj21EflifffEEvT2_20rocsparse_direction_NS_24const_host_device_scalarIT0_EES1_PKS1_PKT1_SA_S7_PKT3_PKT4_S5_PT5_21rocsparse_index_base_b.kd
    .uniform_work_group_size: 1
    .uses_dynamic_stack: false
    .vgpr_count:     13
    .vgpr_spill_count: 0
    .wavefront_size: 32
    .workgroup_processor_mode: 1
  - .args:
      - .offset:         0
        .size:           4
        .value_kind:     by_value
      - .offset:         4
        .size:           4
        .value_kind:     by_value
      - .offset:         8
        .size:           8
        .value_kind:     by_value
      - .offset:         16
        .size:           4
        .value_kind:     by_value
      - .actual_access:  read_only
        .address_space:  global
        .offset:         24
        .size:           8
        .value_kind:     global_buffer
      - .actual_access:  read_only
        .address_space:  global
        .offset:         32
        .size:           8
        .value_kind:     global_buffer
      - .actual_access:  read_only
        .address_space:  global
        .offset:         40
        .size:           8
        .value_kind:     global_buffer
      - .actual_access:  read_only
        .address_space:  global
        .offset:         48
        .size:           8
        .value_kind:     global_buffer
      - .actual_access:  read_only
        .address_space:  global
        .offset:         56
        .size:           8
        .value_kind:     global_buffer
      - .actual_access:  read_only
        .address_space:  global
        .offset:         64
        .size:           8
        .value_kind:     global_buffer
      - .offset:         72
        .size:           8
        .value_kind:     by_value
      - .address_space:  global
        .offset:         80
        .size:           8
        .value_kind:     global_buffer
      - .offset:         88
        .size:           4
        .value_kind:     by_value
      - .offset:         92
        .size:           1
        .value_kind:     by_value
    .group_segment_fixed_size: 1936
    .kernarg_segment_align: 8
    .kernarg_segment_size: 96
    .language:       OpenCL C
    .language_version:
      - 2
      - 0
    .max_flat_workgroup_size: 484
    .name:           _ZN9rocsparseL20bsrxmvn_17_32_kernelILj22EflifffEEvT2_20rocsparse_direction_NS_24const_host_device_scalarIT0_EES1_PKS1_PKT1_SA_S7_PKT3_PKT4_S5_PT5_21rocsparse_index_base_b
    .private_segment_fixed_size: 0
    .sgpr_count:     26
    .sgpr_spill_count: 0
    .symbol:         _ZN9rocsparseL20bsrxmvn_17_32_kernelILj22EflifffEEvT2_20rocsparse_direction_NS_24const_host_device_scalarIT0_EES1_PKS1_PKT1_SA_S7_PKT3_PKT4_S5_PT5_21rocsparse_index_base_b.kd
    .uniform_work_group_size: 1
    .uses_dynamic_stack: false
    .vgpr_count:     13
    .vgpr_spill_count: 0
    .wavefront_size: 32
    .workgroup_processor_mode: 1
  - .args:
      - .offset:         0
        .size:           4
        .value_kind:     by_value
      - .offset:         4
        .size:           4
        .value_kind:     by_value
      - .offset:         8
        .size:           8
        .value_kind:     by_value
      - .offset:         16
        .size:           4
        .value_kind:     by_value
      - .actual_access:  read_only
        .address_space:  global
        .offset:         24
        .size:           8
        .value_kind:     global_buffer
      - .actual_access:  read_only
        .address_space:  global
        .offset:         32
        .size:           8
        .value_kind:     global_buffer
      - .actual_access:  read_only
        .address_space:  global
        .offset:         40
        .size:           8
        .value_kind:     global_buffer
      - .actual_access:  read_only
        .address_space:  global
        .offset:         48
        .size:           8
        .value_kind:     global_buffer
      - .actual_access:  read_only
        .address_space:  global
        .offset:         56
        .size:           8
        .value_kind:     global_buffer
      - .actual_access:  read_only
        .address_space:  global
        .offset:         64
        .size:           8
        .value_kind:     global_buffer
      - .offset:         72
        .size:           8
        .value_kind:     by_value
      - .address_space:  global
        .offset:         80
        .size:           8
        .value_kind:     global_buffer
      - .offset:         88
        .size:           4
        .value_kind:     by_value
      - .offset:         92
        .size:           1
        .value_kind:     by_value
    .group_segment_fixed_size: 2116
    .kernarg_segment_align: 8
    .kernarg_segment_size: 96
    .language:       OpenCL C
    .language_version:
      - 2
      - 0
    .max_flat_workgroup_size: 529
    .name:           _ZN9rocsparseL20bsrxmvn_17_32_kernelILj23EflifffEEvT2_20rocsparse_direction_NS_24const_host_device_scalarIT0_EES1_PKS1_PKT1_SA_S7_PKT3_PKT4_S5_PT5_21rocsparse_index_base_b
    .private_segment_fixed_size: 0
    .sgpr_count:     26
    .sgpr_spill_count: 0
    .symbol:         _ZN9rocsparseL20bsrxmvn_17_32_kernelILj23EflifffEEvT2_20rocsparse_direction_NS_24const_host_device_scalarIT0_EES1_PKS1_PKT1_SA_S7_PKT3_PKT4_S5_PT5_21rocsparse_index_base_b.kd
    .uniform_work_group_size: 1
    .uses_dynamic_stack: false
    .vgpr_count:     13
    .vgpr_spill_count: 0
    .wavefront_size: 32
    .workgroup_processor_mode: 1
  - .args:
      - .offset:         0
        .size:           4
        .value_kind:     by_value
      - .offset:         4
        .size:           4
        .value_kind:     by_value
      - .offset:         8
        .size:           8
        .value_kind:     by_value
      - .offset:         16
        .size:           4
        .value_kind:     by_value
      - .actual_access:  read_only
        .address_space:  global
        .offset:         24
        .size:           8
        .value_kind:     global_buffer
      - .actual_access:  read_only
        .address_space:  global
        .offset:         32
        .size:           8
        .value_kind:     global_buffer
      - .actual_access:  read_only
        .address_space:  global
        .offset:         40
        .size:           8
        .value_kind:     global_buffer
      - .actual_access:  read_only
        .address_space:  global
        .offset:         48
        .size:           8
        .value_kind:     global_buffer
      - .actual_access:  read_only
        .address_space:  global
        .offset:         56
        .size:           8
        .value_kind:     global_buffer
      - .actual_access:  read_only
        .address_space:  global
        .offset:         64
        .size:           8
        .value_kind:     global_buffer
      - .offset:         72
        .size:           8
        .value_kind:     by_value
      - .address_space:  global
        .offset:         80
        .size:           8
        .value_kind:     global_buffer
      - .offset:         88
        .size:           4
        .value_kind:     by_value
      - .offset:         92
        .size:           1
        .value_kind:     by_value
    .group_segment_fixed_size: 2304
    .kernarg_segment_align: 8
    .kernarg_segment_size: 96
    .language:       OpenCL C
    .language_version:
      - 2
      - 0
    .max_flat_workgroup_size: 576
    .name:           _ZN9rocsparseL20bsrxmvn_17_32_kernelILj24EflifffEEvT2_20rocsparse_direction_NS_24const_host_device_scalarIT0_EES1_PKS1_PKT1_SA_S7_PKT3_PKT4_S5_PT5_21rocsparse_index_base_b
    .private_segment_fixed_size: 0
    .sgpr_count:     26
    .sgpr_spill_count: 0
    .symbol:         _ZN9rocsparseL20bsrxmvn_17_32_kernelILj24EflifffEEvT2_20rocsparse_direction_NS_24const_host_device_scalarIT0_EES1_PKS1_PKT1_SA_S7_PKT3_PKT4_S5_PT5_21rocsparse_index_base_b.kd
    .uniform_work_group_size: 1
    .uses_dynamic_stack: false
    .vgpr_count:     13
    .vgpr_spill_count: 0
    .wavefront_size: 32
    .workgroup_processor_mode: 1
  - .args:
      - .offset:         0
        .size:           4
        .value_kind:     by_value
      - .offset:         4
        .size:           4
        .value_kind:     by_value
      - .offset:         8
        .size:           8
        .value_kind:     by_value
      - .offset:         16
        .size:           4
        .value_kind:     by_value
      - .actual_access:  read_only
        .address_space:  global
        .offset:         24
        .size:           8
        .value_kind:     global_buffer
      - .actual_access:  read_only
        .address_space:  global
        .offset:         32
        .size:           8
        .value_kind:     global_buffer
      - .actual_access:  read_only
        .address_space:  global
        .offset:         40
        .size:           8
        .value_kind:     global_buffer
      - .actual_access:  read_only
        .address_space:  global
        .offset:         48
        .size:           8
        .value_kind:     global_buffer
      - .actual_access:  read_only
        .address_space:  global
        .offset:         56
        .size:           8
        .value_kind:     global_buffer
      - .actual_access:  read_only
        .address_space:  global
        .offset:         64
        .size:           8
        .value_kind:     global_buffer
      - .offset:         72
        .size:           8
        .value_kind:     by_value
      - .address_space:  global
        .offset:         80
        .size:           8
        .value_kind:     global_buffer
      - .offset:         88
        .size:           4
        .value_kind:     by_value
      - .offset:         92
        .size:           1
        .value_kind:     by_value
    .group_segment_fixed_size: 2500
    .kernarg_segment_align: 8
    .kernarg_segment_size: 96
    .language:       OpenCL C
    .language_version:
      - 2
      - 0
    .max_flat_workgroup_size: 625
    .name:           _ZN9rocsparseL20bsrxmvn_17_32_kernelILj25EflifffEEvT2_20rocsparse_direction_NS_24const_host_device_scalarIT0_EES1_PKS1_PKT1_SA_S7_PKT3_PKT4_S5_PT5_21rocsparse_index_base_b
    .private_segment_fixed_size: 0
    .sgpr_count:     26
    .sgpr_spill_count: 0
    .symbol:         _ZN9rocsparseL20bsrxmvn_17_32_kernelILj25EflifffEEvT2_20rocsparse_direction_NS_24const_host_device_scalarIT0_EES1_PKS1_PKT1_SA_S7_PKT3_PKT4_S5_PT5_21rocsparse_index_base_b.kd
    .uniform_work_group_size: 1
    .uses_dynamic_stack: false
    .vgpr_count:     13
    .vgpr_spill_count: 0
    .wavefront_size: 32
    .workgroup_processor_mode: 1
  - .args:
      - .offset:         0
        .size:           4
        .value_kind:     by_value
      - .offset:         4
        .size:           4
        .value_kind:     by_value
      - .offset:         8
        .size:           8
        .value_kind:     by_value
      - .offset:         16
        .size:           4
        .value_kind:     by_value
      - .actual_access:  read_only
        .address_space:  global
        .offset:         24
        .size:           8
        .value_kind:     global_buffer
      - .actual_access:  read_only
        .address_space:  global
        .offset:         32
        .size:           8
        .value_kind:     global_buffer
      - .actual_access:  read_only
        .address_space:  global
        .offset:         40
        .size:           8
        .value_kind:     global_buffer
      - .actual_access:  read_only
        .address_space:  global
        .offset:         48
        .size:           8
        .value_kind:     global_buffer
      - .actual_access:  read_only
        .address_space:  global
        .offset:         56
        .size:           8
        .value_kind:     global_buffer
      - .actual_access:  read_only
        .address_space:  global
        .offset:         64
        .size:           8
        .value_kind:     global_buffer
      - .offset:         72
        .size:           8
        .value_kind:     by_value
      - .address_space:  global
        .offset:         80
        .size:           8
        .value_kind:     global_buffer
      - .offset:         88
        .size:           4
        .value_kind:     by_value
      - .offset:         92
        .size:           1
        .value_kind:     by_value
    .group_segment_fixed_size: 2704
    .kernarg_segment_align: 8
    .kernarg_segment_size: 96
    .language:       OpenCL C
    .language_version:
      - 2
      - 0
    .max_flat_workgroup_size: 676
    .name:           _ZN9rocsparseL20bsrxmvn_17_32_kernelILj26EflifffEEvT2_20rocsparse_direction_NS_24const_host_device_scalarIT0_EES1_PKS1_PKT1_SA_S7_PKT3_PKT4_S5_PT5_21rocsparse_index_base_b
    .private_segment_fixed_size: 0
    .sgpr_count:     26
    .sgpr_spill_count: 0
    .symbol:         _ZN9rocsparseL20bsrxmvn_17_32_kernelILj26EflifffEEvT2_20rocsparse_direction_NS_24const_host_device_scalarIT0_EES1_PKS1_PKT1_SA_S7_PKT3_PKT4_S5_PT5_21rocsparse_index_base_b.kd
    .uniform_work_group_size: 1
    .uses_dynamic_stack: false
    .vgpr_count:     13
    .vgpr_spill_count: 0
    .wavefront_size: 32
    .workgroup_processor_mode: 1
  - .args:
      - .offset:         0
        .size:           4
        .value_kind:     by_value
      - .offset:         4
        .size:           4
        .value_kind:     by_value
      - .offset:         8
        .size:           8
        .value_kind:     by_value
      - .offset:         16
        .size:           4
        .value_kind:     by_value
      - .actual_access:  read_only
        .address_space:  global
        .offset:         24
        .size:           8
        .value_kind:     global_buffer
      - .actual_access:  read_only
        .address_space:  global
        .offset:         32
        .size:           8
        .value_kind:     global_buffer
      - .actual_access:  read_only
        .address_space:  global
        .offset:         40
        .size:           8
        .value_kind:     global_buffer
      - .actual_access:  read_only
        .address_space:  global
        .offset:         48
        .size:           8
        .value_kind:     global_buffer
      - .actual_access:  read_only
        .address_space:  global
        .offset:         56
        .size:           8
        .value_kind:     global_buffer
      - .actual_access:  read_only
        .address_space:  global
        .offset:         64
        .size:           8
        .value_kind:     global_buffer
      - .offset:         72
        .size:           8
        .value_kind:     by_value
      - .address_space:  global
        .offset:         80
        .size:           8
        .value_kind:     global_buffer
      - .offset:         88
        .size:           4
        .value_kind:     by_value
      - .offset:         92
        .size:           1
        .value_kind:     by_value
    .group_segment_fixed_size: 2916
    .kernarg_segment_align: 8
    .kernarg_segment_size: 96
    .language:       OpenCL C
    .language_version:
      - 2
      - 0
    .max_flat_workgroup_size: 729
    .name:           _ZN9rocsparseL20bsrxmvn_17_32_kernelILj27EflifffEEvT2_20rocsparse_direction_NS_24const_host_device_scalarIT0_EES1_PKS1_PKT1_SA_S7_PKT3_PKT4_S5_PT5_21rocsparse_index_base_b
    .private_segment_fixed_size: 0
    .sgpr_count:     26
    .sgpr_spill_count: 0
    .symbol:         _ZN9rocsparseL20bsrxmvn_17_32_kernelILj27EflifffEEvT2_20rocsparse_direction_NS_24const_host_device_scalarIT0_EES1_PKS1_PKT1_SA_S7_PKT3_PKT4_S5_PT5_21rocsparse_index_base_b.kd
    .uniform_work_group_size: 1
    .uses_dynamic_stack: false
    .vgpr_count:     13
    .vgpr_spill_count: 0
    .wavefront_size: 32
    .workgroup_processor_mode: 1
  - .args:
      - .offset:         0
        .size:           4
        .value_kind:     by_value
      - .offset:         4
        .size:           4
        .value_kind:     by_value
      - .offset:         8
        .size:           8
        .value_kind:     by_value
      - .offset:         16
        .size:           4
        .value_kind:     by_value
      - .actual_access:  read_only
        .address_space:  global
        .offset:         24
        .size:           8
        .value_kind:     global_buffer
      - .actual_access:  read_only
        .address_space:  global
        .offset:         32
        .size:           8
        .value_kind:     global_buffer
      - .actual_access:  read_only
        .address_space:  global
        .offset:         40
        .size:           8
        .value_kind:     global_buffer
      - .actual_access:  read_only
        .address_space:  global
        .offset:         48
        .size:           8
        .value_kind:     global_buffer
      - .actual_access:  read_only
        .address_space:  global
        .offset:         56
        .size:           8
        .value_kind:     global_buffer
      - .actual_access:  read_only
        .address_space:  global
        .offset:         64
        .size:           8
        .value_kind:     global_buffer
      - .offset:         72
        .size:           8
        .value_kind:     by_value
      - .address_space:  global
        .offset:         80
        .size:           8
        .value_kind:     global_buffer
      - .offset:         88
        .size:           4
        .value_kind:     by_value
      - .offset:         92
        .size:           1
        .value_kind:     by_value
    .group_segment_fixed_size: 3136
    .kernarg_segment_align: 8
    .kernarg_segment_size: 96
    .language:       OpenCL C
    .language_version:
      - 2
      - 0
    .max_flat_workgroup_size: 784
    .name:           _ZN9rocsparseL20bsrxmvn_17_32_kernelILj28EflifffEEvT2_20rocsparse_direction_NS_24const_host_device_scalarIT0_EES1_PKS1_PKT1_SA_S7_PKT3_PKT4_S5_PT5_21rocsparse_index_base_b
    .private_segment_fixed_size: 0
    .sgpr_count:     26
    .sgpr_spill_count: 0
    .symbol:         _ZN9rocsparseL20bsrxmvn_17_32_kernelILj28EflifffEEvT2_20rocsparse_direction_NS_24const_host_device_scalarIT0_EES1_PKS1_PKT1_SA_S7_PKT3_PKT4_S5_PT5_21rocsparse_index_base_b.kd
    .uniform_work_group_size: 1
    .uses_dynamic_stack: false
    .vgpr_count:     13
    .vgpr_spill_count: 0
    .wavefront_size: 32
    .workgroup_processor_mode: 1
  - .args:
      - .offset:         0
        .size:           4
        .value_kind:     by_value
      - .offset:         4
        .size:           4
        .value_kind:     by_value
      - .offset:         8
        .size:           8
        .value_kind:     by_value
      - .offset:         16
        .size:           4
        .value_kind:     by_value
      - .actual_access:  read_only
        .address_space:  global
        .offset:         24
        .size:           8
        .value_kind:     global_buffer
      - .actual_access:  read_only
        .address_space:  global
        .offset:         32
        .size:           8
        .value_kind:     global_buffer
      - .actual_access:  read_only
        .address_space:  global
        .offset:         40
        .size:           8
        .value_kind:     global_buffer
      - .actual_access:  read_only
        .address_space:  global
        .offset:         48
        .size:           8
        .value_kind:     global_buffer
      - .actual_access:  read_only
        .address_space:  global
        .offset:         56
        .size:           8
        .value_kind:     global_buffer
      - .actual_access:  read_only
        .address_space:  global
        .offset:         64
        .size:           8
        .value_kind:     global_buffer
      - .offset:         72
        .size:           8
        .value_kind:     by_value
      - .address_space:  global
        .offset:         80
        .size:           8
        .value_kind:     global_buffer
      - .offset:         88
        .size:           4
        .value_kind:     by_value
      - .offset:         92
        .size:           1
        .value_kind:     by_value
    .group_segment_fixed_size: 3364
    .kernarg_segment_align: 8
    .kernarg_segment_size: 96
    .language:       OpenCL C
    .language_version:
      - 2
      - 0
    .max_flat_workgroup_size: 841
    .name:           _ZN9rocsparseL20bsrxmvn_17_32_kernelILj29EflifffEEvT2_20rocsparse_direction_NS_24const_host_device_scalarIT0_EES1_PKS1_PKT1_SA_S7_PKT3_PKT4_S5_PT5_21rocsparse_index_base_b
    .private_segment_fixed_size: 0
    .sgpr_count:     26
    .sgpr_spill_count: 0
    .symbol:         _ZN9rocsparseL20bsrxmvn_17_32_kernelILj29EflifffEEvT2_20rocsparse_direction_NS_24const_host_device_scalarIT0_EES1_PKS1_PKT1_SA_S7_PKT3_PKT4_S5_PT5_21rocsparse_index_base_b.kd
    .uniform_work_group_size: 1
    .uses_dynamic_stack: false
    .vgpr_count:     13
    .vgpr_spill_count: 0
    .wavefront_size: 32
    .workgroup_processor_mode: 1
  - .args:
      - .offset:         0
        .size:           4
        .value_kind:     by_value
      - .offset:         4
        .size:           4
        .value_kind:     by_value
      - .offset:         8
        .size:           8
        .value_kind:     by_value
      - .offset:         16
        .size:           4
        .value_kind:     by_value
      - .actual_access:  read_only
        .address_space:  global
        .offset:         24
        .size:           8
        .value_kind:     global_buffer
      - .actual_access:  read_only
        .address_space:  global
        .offset:         32
        .size:           8
        .value_kind:     global_buffer
      - .actual_access:  read_only
        .address_space:  global
        .offset:         40
        .size:           8
        .value_kind:     global_buffer
      - .actual_access:  read_only
        .address_space:  global
        .offset:         48
        .size:           8
        .value_kind:     global_buffer
      - .actual_access:  read_only
        .address_space:  global
        .offset:         56
        .size:           8
        .value_kind:     global_buffer
      - .actual_access:  read_only
        .address_space:  global
        .offset:         64
        .size:           8
        .value_kind:     global_buffer
      - .offset:         72
        .size:           8
        .value_kind:     by_value
      - .address_space:  global
        .offset:         80
        .size:           8
        .value_kind:     global_buffer
      - .offset:         88
        .size:           4
        .value_kind:     by_value
      - .offset:         92
        .size:           1
        .value_kind:     by_value
    .group_segment_fixed_size: 3600
    .kernarg_segment_align: 8
    .kernarg_segment_size: 96
    .language:       OpenCL C
    .language_version:
      - 2
      - 0
    .max_flat_workgroup_size: 900
    .name:           _ZN9rocsparseL20bsrxmvn_17_32_kernelILj30EflifffEEvT2_20rocsparse_direction_NS_24const_host_device_scalarIT0_EES1_PKS1_PKT1_SA_S7_PKT3_PKT4_S5_PT5_21rocsparse_index_base_b
    .private_segment_fixed_size: 0
    .sgpr_count:     26
    .sgpr_spill_count: 0
    .symbol:         _ZN9rocsparseL20bsrxmvn_17_32_kernelILj30EflifffEEvT2_20rocsparse_direction_NS_24const_host_device_scalarIT0_EES1_PKS1_PKT1_SA_S7_PKT3_PKT4_S5_PT5_21rocsparse_index_base_b.kd
    .uniform_work_group_size: 1
    .uses_dynamic_stack: false
    .vgpr_count:     13
    .vgpr_spill_count: 0
    .wavefront_size: 32
    .workgroup_processor_mode: 1
  - .args:
      - .offset:         0
        .size:           4
        .value_kind:     by_value
      - .offset:         4
        .size:           4
        .value_kind:     by_value
      - .offset:         8
        .size:           8
        .value_kind:     by_value
      - .offset:         16
        .size:           4
        .value_kind:     by_value
      - .actual_access:  read_only
        .address_space:  global
        .offset:         24
        .size:           8
        .value_kind:     global_buffer
      - .actual_access:  read_only
        .address_space:  global
        .offset:         32
        .size:           8
        .value_kind:     global_buffer
      - .actual_access:  read_only
        .address_space:  global
        .offset:         40
        .size:           8
        .value_kind:     global_buffer
      - .actual_access:  read_only
        .address_space:  global
        .offset:         48
        .size:           8
        .value_kind:     global_buffer
      - .actual_access:  read_only
        .address_space:  global
        .offset:         56
        .size:           8
        .value_kind:     global_buffer
      - .actual_access:  read_only
        .address_space:  global
        .offset:         64
        .size:           8
        .value_kind:     global_buffer
      - .offset:         72
        .size:           8
        .value_kind:     by_value
      - .address_space:  global
        .offset:         80
        .size:           8
        .value_kind:     global_buffer
      - .offset:         88
        .size:           4
        .value_kind:     by_value
      - .offset:         92
        .size:           1
        .value_kind:     by_value
    .group_segment_fixed_size: 3844
    .kernarg_segment_align: 8
    .kernarg_segment_size: 96
    .language:       OpenCL C
    .language_version:
      - 2
      - 0
    .max_flat_workgroup_size: 961
    .name:           _ZN9rocsparseL20bsrxmvn_17_32_kernelILj31EflifffEEvT2_20rocsparse_direction_NS_24const_host_device_scalarIT0_EES1_PKS1_PKT1_SA_S7_PKT3_PKT4_S5_PT5_21rocsparse_index_base_b
    .private_segment_fixed_size: 0
    .sgpr_count:     26
    .sgpr_spill_count: 0
    .symbol:         _ZN9rocsparseL20bsrxmvn_17_32_kernelILj31EflifffEEvT2_20rocsparse_direction_NS_24const_host_device_scalarIT0_EES1_PKS1_PKT1_SA_S7_PKT3_PKT4_S5_PT5_21rocsparse_index_base_b.kd
    .uniform_work_group_size: 1
    .uses_dynamic_stack: false
    .vgpr_count:     13
    .vgpr_spill_count: 0
    .wavefront_size: 32
    .workgroup_processor_mode: 1
  - .args:
      - .offset:         0
        .size:           4
        .value_kind:     by_value
      - .offset:         4
        .size:           4
        .value_kind:     by_value
      - .offset:         8
        .size:           8
        .value_kind:     by_value
      - .offset:         16
        .size:           4
        .value_kind:     by_value
      - .actual_access:  read_only
        .address_space:  global
        .offset:         24
        .size:           8
        .value_kind:     global_buffer
      - .actual_access:  read_only
        .address_space:  global
        .offset:         32
        .size:           8
        .value_kind:     global_buffer
      - .actual_access:  read_only
        .address_space:  global
        .offset:         40
        .size:           8
        .value_kind:     global_buffer
      - .actual_access:  read_only
        .address_space:  global
        .offset:         48
        .size:           8
        .value_kind:     global_buffer
      - .actual_access:  read_only
        .address_space:  global
        .offset:         56
        .size:           8
        .value_kind:     global_buffer
      - .actual_access:  read_only
        .address_space:  global
        .offset:         64
        .size:           8
        .value_kind:     global_buffer
      - .offset:         72
        .size:           8
        .value_kind:     by_value
      - .address_space:  global
        .offset:         80
        .size:           8
        .value_kind:     global_buffer
      - .offset:         88
        .size:           4
        .value_kind:     by_value
      - .offset:         92
        .size:           1
        .value_kind:     by_value
    .group_segment_fixed_size: 4096
    .kernarg_segment_align: 8
    .kernarg_segment_size: 96
    .language:       OpenCL C
    .language_version:
      - 2
      - 0
    .max_flat_workgroup_size: 1024
    .name:           _ZN9rocsparseL20bsrxmvn_17_32_kernelILj32EflifffEEvT2_20rocsparse_direction_NS_24const_host_device_scalarIT0_EES1_PKS1_PKT1_SA_S7_PKT3_PKT4_S5_PT5_21rocsparse_index_base_b
    .private_segment_fixed_size: 0
    .sgpr_count:     30
    .sgpr_spill_count: 0
    .symbol:         _ZN9rocsparseL20bsrxmvn_17_32_kernelILj32EflifffEEvT2_20rocsparse_direction_NS_24const_host_device_scalarIT0_EES1_PKS1_PKT1_SA_S7_PKT3_PKT4_S5_PT5_21rocsparse_index_base_b.kd
    .uniform_work_group_size: 1
    .uses_dynamic_stack: false
    .vgpr_count:     9
    .vgpr_spill_count: 0
    .wavefront_size: 32
    .workgroup_processor_mode: 1
  - .args:
      - .offset:         0
        .size:           4
        .value_kind:     by_value
      - .offset:         4
        .size:           4
        .value_kind:     by_value
      - .offset:         8
        .size:           8
        .value_kind:     by_value
      - .offset:         16
        .size:           4
        .value_kind:     by_value
      - .actual_access:  read_only
        .address_space:  global
        .offset:         24
        .size:           8
        .value_kind:     global_buffer
      - .actual_access:  read_only
        .address_space:  global
        .offset:         32
        .size:           8
        .value_kind:     global_buffer
      - .actual_access:  read_only
        .address_space:  global
        .offset:         40
        .size:           8
        .value_kind:     global_buffer
      - .actual_access:  read_only
        .address_space:  global
        .offset:         48
        .size:           8
        .value_kind:     global_buffer
      - .actual_access:  read_only
        .address_space:  global
        .offset:         56
        .size:           8
        .value_kind:     global_buffer
      - .actual_access:  read_only
        .address_space:  global
        .offset:         64
        .size:           8
        .value_kind:     global_buffer
      - .offset:         72
        .size:           8
        .value_kind:     by_value
      - .address_space:  global
        .offset:         80
        .size:           8
        .value_kind:     global_buffer
      - .offset:         88
        .size:           4
        .value_kind:     by_value
      - .offset:         92
        .size:           1
        .value_kind:     by_value
    .group_segment_fixed_size: 2312
    .kernarg_segment_align: 8
    .kernarg_segment_size: 96
    .language:       OpenCL C
    .language_version:
      - 2
      - 0
    .max_flat_workgroup_size: 289
    .name:           _ZN9rocsparseL20bsrxmvn_17_32_kernelILj17EdlidddEEvT2_20rocsparse_direction_NS_24const_host_device_scalarIT0_EES1_PKS1_PKT1_SA_S7_PKT3_PKT4_S5_PT5_21rocsparse_index_base_b
    .private_segment_fixed_size: 0
    .sgpr_count:     22
    .sgpr_spill_count: 0
    .symbol:         _ZN9rocsparseL20bsrxmvn_17_32_kernelILj17EdlidddEEvT2_20rocsparse_direction_NS_24const_host_device_scalarIT0_EES1_PKS1_PKT1_SA_S7_PKT3_PKT4_S5_PT5_21rocsparse_index_base_b.kd
    .uniform_work_group_size: 1
    .uses_dynamic_stack: false
    .vgpr_count:     19
    .vgpr_spill_count: 0
    .wavefront_size: 32
    .workgroup_processor_mode: 1
  - .args:
      - .offset:         0
        .size:           4
        .value_kind:     by_value
      - .offset:         4
        .size:           4
        .value_kind:     by_value
      - .offset:         8
        .size:           8
        .value_kind:     by_value
      - .offset:         16
        .size:           4
        .value_kind:     by_value
      - .actual_access:  read_only
        .address_space:  global
        .offset:         24
        .size:           8
        .value_kind:     global_buffer
      - .actual_access:  read_only
        .address_space:  global
        .offset:         32
        .size:           8
        .value_kind:     global_buffer
      - .actual_access:  read_only
        .address_space:  global
        .offset:         40
        .size:           8
        .value_kind:     global_buffer
      - .actual_access:  read_only
        .address_space:  global
        .offset:         48
        .size:           8
        .value_kind:     global_buffer
      - .actual_access:  read_only
        .address_space:  global
        .offset:         56
        .size:           8
        .value_kind:     global_buffer
      - .actual_access:  read_only
        .address_space:  global
        .offset:         64
        .size:           8
        .value_kind:     global_buffer
      - .offset:         72
        .size:           8
        .value_kind:     by_value
      - .address_space:  global
        .offset:         80
        .size:           8
        .value_kind:     global_buffer
      - .offset:         88
        .size:           4
        .value_kind:     by_value
      - .offset:         92
        .size:           1
        .value_kind:     by_value
    .group_segment_fixed_size: 2592
    .kernarg_segment_align: 8
    .kernarg_segment_size: 96
    .language:       OpenCL C
    .language_version:
      - 2
      - 0
    .max_flat_workgroup_size: 324
    .name:           _ZN9rocsparseL20bsrxmvn_17_32_kernelILj18EdlidddEEvT2_20rocsparse_direction_NS_24const_host_device_scalarIT0_EES1_PKS1_PKT1_SA_S7_PKT3_PKT4_S5_PT5_21rocsparse_index_base_b
    .private_segment_fixed_size: 0
    .sgpr_count:     22
    .sgpr_spill_count: 0
    .symbol:         _ZN9rocsparseL20bsrxmvn_17_32_kernelILj18EdlidddEEvT2_20rocsparse_direction_NS_24const_host_device_scalarIT0_EES1_PKS1_PKT1_SA_S7_PKT3_PKT4_S5_PT5_21rocsparse_index_base_b.kd
    .uniform_work_group_size: 1
    .uses_dynamic_stack: false
    .vgpr_count:     19
    .vgpr_spill_count: 0
    .wavefront_size: 32
    .workgroup_processor_mode: 1
  - .args:
      - .offset:         0
        .size:           4
        .value_kind:     by_value
      - .offset:         4
        .size:           4
        .value_kind:     by_value
      - .offset:         8
        .size:           8
        .value_kind:     by_value
      - .offset:         16
        .size:           4
        .value_kind:     by_value
      - .actual_access:  read_only
        .address_space:  global
        .offset:         24
        .size:           8
        .value_kind:     global_buffer
      - .actual_access:  read_only
        .address_space:  global
        .offset:         32
        .size:           8
        .value_kind:     global_buffer
      - .actual_access:  read_only
        .address_space:  global
        .offset:         40
        .size:           8
        .value_kind:     global_buffer
      - .actual_access:  read_only
        .address_space:  global
        .offset:         48
        .size:           8
        .value_kind:     global_buffer
      - .actual_access:  read_only
        .address_space:  global
        .offset:         56
        .size:           8
        .value_kind:     global_buffer
      - .actual_access:  read_only
        .address_space:  global
        .offset:         64
        .size:           8
        .value_kind:     global_buffer
      - .offset:         72
        .size:           8
        .value_kind:     by_value
      - .address_space:  global
        .offset:         80
        .size:           8
        .value_kind:     global_buffer
      - .offset:         88
        .size:           4
        .value_kind:     by_value
      - .offset:         92
        .size:           1
        .value_kind:     by_value
    .group_segment_fixed_size: 2888
    .kernarg_segment_align: 8
    .kernarg_segment_size: 96
    .language:       OpenCL C
    .language_version:
      - 2
      - 0
    .max_flat_workgroup_size: 361
    .name:           _ZN9rocsparseL20bsrxmvn_17_32_kernelILj19EdlidddEEvT2_20rocsparse_direction_NS_24const_host_device_scalarIT0_EES1_PKS1_PKT1_SA_S7_PKT3_PKT4_S5_PT5_21rocsparse_index_base_b
    .private_segment_fixed_size: 0
    .sgpr_count:     22
    .sgpr_spill_count: 0
    .symbol:         _ZN9rocsparseL20bsrxmvn_17_32_kernelILj19EdlidddEEvT2_20rocsparse_direction_NS_24const_host_device_scalarIT0_EES1_PKS1_PKT1_SA_S7_PKT3_PKT4_S5_PT5_21rocsparse_index_base_b.kd
    .uniform_work_group_size: 1
    .uses_dynamic_stack: false
    .vgpr_count:     19
    .vgpr_spill_count: 0
    .wavefront_size: 32
    .workgroup_processor_mode: 1
  - .args:
      - .offset:         0
        .size:           4
        .value_kind:     by_value
      - .offset:         4
        .size:           4
        .value_kind:     by_value
      - .offset:         8
        .size:           8
        .value_kind:     by_value
      - .offset:         16
        .size:           4
        .value_kind:     by_value
      - .actual_access:  read_only
        .address_space:  global
        .offset:         24
        .size:           8
        .value_kind:     global_buffer
      - .actual_access:  read_only
        .address_space:  global
        .offset:         32
        .size:           8
        .value_kind:     global_buffer
      - .actual_access:  read_only
        .address_space:  global
        .offset:         40
        .size:           8
        .value_kind:     global_buffer
      - .actual_access:  read_only
        .address_space:  global
        .offset:         48
        .size:           8
        .value_kind:     global_buffer
      - .actual_access:  read_only
        .address_space:  global
        .offset:         56
        .size:           8
        .value_kind:     global_buffer
      - .actual_access:  read_only
        .address_space:  global
        .offset:         64
        .size:           8
        .value_kind:     global_buffer
      - .offset:         72
        .size:           8
        .value_kind:     by_value
      - .address_space:  global
        .offset:         80
        .size:           8
        .value_kind:     global_buffer
      - .offset:         88
        .size:           4
        .value_kind:     by_value
      - .offset:         92
        .size:           1
        .value_kind:     by_value
    .group_segment_fixed_size: 3200
    .kernarg_segment_align: 8
    .kernarg_segment_size: 96
    .language:       OpenCL C
    .language_version:
      - 2
      - 0
    .max_flat_workgroup_size: 400
    .name:           _ZN9rocsparseL20bsrxmvn_17_32_kernelILj20EdlidddEEvT2_20rocsparse_direction_NS_24const_host_device_scalarIT0_EES1_PKS1_PKT1_SA_S7_PKT3_PKT4_S5_PT5_21rocsparse_index_base_b
    .private_segment_fixed_size: 0
    .sgpr_count:     22
    .sgpr_spill_count: 0
    .symbol:         _ZN9rocsparseL20bsrxmvn_17_32_kernelILj20EdlidddEEvT2_20rocsparse_direction_NS_24const_host_device_scalarIT0_EES1_PKS1_PKT1_SA_S7_PKT3_PKT4_S5_PT5_21rocsparse_index_base_b.kd
    .uniform_work_group_size: 1
    .uses_dynamic_stack: false
    .vgpr_count:     19
    .vgpr_spill_count: 0
    .wavefront_size: 32
    .workgroup_processor_mode: 1
  - .args:
      - .offset:         0
        .size:           4
        .value_kind:     by_value
      - .offset:         4
        .size:           4
        .value_kind:     by_value
      - .offset:         8
        .size:           8
        .value_kind:     by_value
      - .offset:         16
        .size:           4
        .value_kind:     by_value
      - .actual_access:  read_only
        .address_space:  global
        .offset:         24
        .size:           8
        .value_kind:     global_buffer
      - .actual_access:  read_only
        .address_space:  global
        .offset:         32
        .size:           8
        .value_kind:     global_buffer
      - .actual_access:  read_only
        .address_space:  global
        .offset:         40
        .size:           8
        .value_kind:     global_buffer
      - .actual_access:  read_only
        .address_space:  global
        .offset:         48
        .size:           8
        .value_kind:     global_buffer
      - .actual_access:  read_only
        .address_space:  global
        .offset:         56
        .size:           8
        .value_kind:     global_buffer
      - .actual_access:  read_only
        .address_space:  global
        .offset:         64
        .size:           8
        .value_kind:     global_buffer
      - .offset:         72
        .size:           8
        .value_kind:     by_value
      - .address_space:  global
        .offset:         80
        .size:           8
        .value_kind:     global_buffer
      - .offset:         88
        .size:           4
        .value_kind:     by_value
      - .offset:         92
        .size:           1
        .value_kind:     by_value
    .group_segment_fixed_size: 3528
    .kernarg_segment_align: 8
    .kernarg_segment_size: 96
    .language:       OpenCL C
    .language_version:
      - 2
      - 0
    .max_flat_workgroup_size: 441
    .name:           _ZN9rocsparseL20bsrxmvn_17_32_kernelILj21EdlidddEEvT2_20rocsparse_direction_NS_24const_host_device_scalarIT0_EES1_PKS1_PKT1_SA_S7_PKT3_PKT4_S5_PT5_21rocsparse_index_base_b
    .private_segment_fixed_size: 0
    .sgpr_count:     22
    .sgpr_spill_count: 0
    .symbol:         _ZN9rocsparseL20bsrxmvn_17_32_kernelILj21EdlidddEEvT2_20rocsparse_direction_NS_24const_host_device_scalarIT0_EES1_PKS1_PKT1_SA_S7_PKT3_PKT4_S5_PT5_21rocsparse_index_base_b.kd
    .uniform_work_group_size: 1
    .uses_dynamic_stack: false
    .vgpr_count:     19
    .vgpr_spill_count: 0
    .wavefront_size: 32
    .workgroup_processor_mode: 1
  - .args:
      - .offset:         0
        .size:           4
        .value_kind:     by_value
      - .offset:         4
        .size:           4
        .value_kind:     by_value
      - .offset:         8
        .size:           8
        .value_kind:     by_value
      - .offset:         16
        .size:           4
        .value_kind:     by_value
      - .actual_access:  read_only
        .address_space:  global
        .offset:         24
        .size:           8
        .value_kind:     global_buffer
      - .actual_access:  read_only
        .address_space:  global
        .offset:         32
        .size:           8
        .value_kind:     global_buffer
      - .actual_access:  read_only
        .address_space:  global
        .offset:         40
        .size:           8
        .value_kind:     global_buffer
      - .actual_access:  read_only
        .address_space:  global
        .offset:         48
        .size:           8
        .value_kind:     global_buffer
      - .actual_access:  read_only
        .address_space:  global
        .offset:         56
        .size:           8
        .value_kind:     global_buffer
      - .actual_access:  read_only
        .address_space:  global
        .offset:         64
        .size:           8
        .value_kind:     global_buffer
      - .offset:         72
        .size:           8
        .value_kind:     by_value
      - .address_space:  global
        .offset:         80
        .size:           8
        .value_kind:     global_buffer
      - .offset:         88
        .size:           4
        .value_kind:     by_value
      - .offset:         92
        .size:           1
        .value_kind:     by_value
    .group_segment_fixed_size: 3872
    .kernarg_segment_align: 8
    .kernarg_segment_size: 96
    .language:       OpenCL C
    .language_version:
      - 2
      - 0
    .max_flat_workgroup_size: 484
    .name:           _ZN9rocsparseL20bsrxmvn_17_32_kernelILj22EdlidddEEvT2_20rocsparse_direction_NS_24const_host_device_scalarIT0_EES1_PKS1_PKT1_SA_S7_PKT3_PKT4_S5_PT5_21rocsparse_index_base_b
    .private_segment_fixed_size: 0
    .sgpr_count:     22
    .sgpr_spill_count: 0
    .symbol:         _ZN9rocsparseL20bsrxmvn_17_32_kernelILj22EdlidddEEvT2_20rocsparse_direction_NS_24const_host_device_scalarIT0_EES1_PKS1_PKT1_SA_S7_PKT3_PKT4_S5_PT5_21rocsparse_index_base_b.kd
    .uniform_work_group_size: 1
    .uses_dynamic_stack: false
    .vgpr_count:     19
    .vgpr_spill_count: 0
    .wavefront_size: 32
    .workgroup_processor_mode: 1
  - .args:
      - .offset:         0
        .size:           4
        .value_kind:     by_value
      - .offset:         4
        .size:           4
        .value_kind:     by_value
      - .offset:         8
        .size:           8
        .value_kind:     by_value
      - .offset:         16
        .size:           4
        .value_kind:     by_value
      - .actual_access:  read_only
        .address_space:  global
        .offset:         24
        .size:           8
        .value_kind:     global_buffer
      - .actual_access:  read_only
        .address_space:  global
        .offset:         32
        .size:           8
        .value_kind:     global_buffer
      - .actual_access:  read_only
        .address_space:  global
        .offset:         40
        .size:           8
        .value_kind:     global_buffer
      - .actual_access:  read_only
        .address_space:  global
        .offset:         48
        .size:           8
        .value_kind:     global_buffer
      - .actual_access:  read_only
        .address_space:  global
        .offset:         56
        .size:           8
        .value_kind:     global_buffer
      - .actual_access:  read_only
        .address_space:  global
        .offset:         64
        .size:           8
        .value_kind:     global_buffer
      - .offset:         72
        .size:           8
        .value_kind:     by_value
      - .address_space:  global
        .offset:         80
        .size:           8
        .value_kind:     global_buffer
      - .offset:         88
        .size:           4
        .value_kind:     by_value
      - .offset:         92
        .size:           1
        .value_kind:     by_value
    .group_segment_fixed_size: 4232
    .kernarg_segment_align: 8
    .kernarg_segment_size: 96
    .language:       OpenCL C
    .language_version:
      - 2
      - 0
    .max_flat_workgroup_size: 529
    .name:           _ZN9rocsparseL20bsrxmvn_17_32_kernelILj23EdlidddEEvT2_20rocsparse_direction_NS_24const_host_device_scalarIT0_EES1_PKS1_PKT1_SA_S7_PKT3_PKT4_S5_PT5_21rocsparse_index_base_b
    .private_segment_fixed_size: 0
    .sgpr_count:     22
    .sgpr_spill_count: 0
    .symbol:         _ZN9rocsparseL20bsrxmvn_17_32_kernelILj23EdlidddEEvT2_20rocsparse_direction_NS_24const_host_device_scalarIT0_EES1_PKS1_PKT1_SA_S7_PKT3_PKT4_S5_PT5_21rocsparse_index_base_b.kd
    .uniform_work_group_size: 1
    .uses_dynamic_stack: false
    .vgpr_count:     19
    .vgpr_spill_count: 0
    .wavefront_size: 32
    .workgroup_processor_mode: 1
  - .args:
      - .offset:         0
        .size:           4
        .value_kind:     by_value
      - .offset:         4
        .size:           4
        .value_kind:     by_value
      - .offset:         8
        .size:           8
        .value_kind:     by_value
      - .offset:         16
        .size:           4
        .value_kind:     by_value
      - .actual_access:  read_only
        .address_space:  global
        .offset:         24
        .size:           8
        .value_kind:     global_buffer
      - .actual_access:  read_only
        .address_space:  global
        .offset:         32
        .size:           8
        .value_kind:     global_buffer
      - .actual_access:  read_only
        .address_space:  global
        .offset:         40
        .size:           8
        .value_kind:     global_buffer
      - .actual_access:  read_only
        .address_space:  global
        .offset:         48
        .size:           8
        .value_kind:     global_buffer
      - .actual_access:  read_only
        .address_space:  global
        .offset:         56
        .size:           8
        .value_kind:     global_buffer
      - .actual_access:  read_only
        .address_space:  global
        .offset:         64
        .size:           8
        .value_kind:     global_buffer
      - .offset:         72
        .size:           8
        .value_kind:     by_value
      - .address_space:  global
        .offset:         80
        .size:           8
        .value_kind:     global_buffer
      - .offset:         88
        .size:           4
        .value_kind:     by_value
      - .offset:         92
        .size:           1
        .value_kind:     by_value
    .group_segment_fixed_size: 4608
    .kernarg_segment_align: 8
    .kernarg_segment_size: 96
    .language:       OpenCL C
    .language_version:
      - 2
      - 0
    .max_flat_workgroup_size: 576
    .name:           _ZN9rocsparseL20bsrxmvn_17_32_kernelILj24EdlidddEEvT2_20rocsparse_direction_NS_24const_host_device_scalarIT0_EES1_PKS1_PKT1_SA_S7_PKT3_PKT4_S5_PT5_21rocsparse_index_base_b
    .private_segment_fixed_size: 0
    .sgpr_count:     22
    .sgpr_spill_count: 0
    .symbol:         _ZN9rocsparseL20bsrxmvn_17_32_kernelILj24EdlidddEEvT2_20rocsparse_direction_NS_24const_host_device_scalarIT0_EES1_PKS1_PKT1_SA_S7_PKT3_PKT4_S5_PT5_21rocsparse_index_base_b.kd
    .uniform_work_group_size: 1
    .uses_dynamic_stack: false
    .vgpr_count:     19
    .vgpr_spill_count: 0
    .wavefront_size: 32
    .workgroup_processor_mode: 1
  - .args:
      - .offset:         0
        .size:           4
        .value_kind:     by_value
      - .offset:         4
        .size:           4
        .value_kind:     by_value
      - .offset:         8
        .size:           8
        .value_kind:     by_value
      - .offset:         16
        .size:           4
        .value_kind:     by_value
      - .actual_access:  read_only
        .address_space:  global
        .offset:         24
        .size:           8
        .value_kind:     global_buffer
      - .actual_access:  read_only
        .address_space:  global
        .offset:         32
        .size:           8
        .value_kind:     global_buffer
      - .actual_access:  read_only
        .address_space:  global
        .offset:         40
        .size:           8
        .value_kind:     global_buffer
      - .actual_access:  read_only
        .address_space:  global
        .offset:         48
        .size:           8
        .value_kind:     global_buffer
      - .actual_access:  read_only
        .address_space:  global
        .offset:         56
        .size:           8
        .value_kind:     global_buffer
      - .actual_access:  read_only
        .address_space:  global
        .offset:         64
        .size:           8
        .value_kind:     global_buffer
      - .offset:         72
        .size:           8
        .value_kind:     by_value
      - .address_space:  global
        .offset:         80
        .size:           8
        .value_kind:     global_buffer
      - .offset:         88
        .size:           4
        .value_kind:     by_value
      - .offset:         92
        .size:           1
        .value_kind:     by_value
    .group_segment_fixed_size: 5000
    .kernarg_segment_align: 8
    .kernarg_segment_size: 96
    .language:       OpenCL C
    .language_version:
      - 2
      - 0
    .max_flat_workgroup_size: 625
    .name:           _ZN9rocsparseL20bsrxmvn_17_32_kernelILj25EdlidddEEvT2_20rocsparse_direction_NS_24const_host_device_scalarIT0_EES1_PKS1_PKT1_SA_S7_PKT3_PKT4_S5_PT5_21rocsparse_index_base_b
    .private_segment_fixed_size: 0
    .sgpr_count:     22
    .sgpr_spill_count: 0
    .symbol:         _ZN9rocsparseL20bsrxmvn_17_32_kernelILj25EdlidddEEvT2_20rocsparse_direction_NS_24const_host_device_scalarIT0_EES1_PKS1_PKT1_SA_S7_PKT3_PKT4_S5_PT5_21rocsparse_index_base_b.kd
    .uniform_work_group_size: 1
    .uses_dynamic_stack: false
    .vgpr_count:     19
    .vgpr_spill_count: 0
    .wavefront_size: 32
    .workgroup_processor_mode: 1
  - .args:
      - .offset:         0
        .size:           4
        .value_kind:     by_value
      - .offset:         4
        .size:           4
        .value_kind:     by_value
      - .offset:         8
        .size:           8
        .value_kind:     by_value
      - .offset:         16
        .size:           4
        .value_kind:     by_value
      - .actual_access:  read_only
        .address_space:  global
        .offset:         24
        .size:           8
        .value_kind:     global_buffer
      - .actual_access:  read_only
        .address_space:  global
        .offset:         32
        .size:           8
        .value_kind:     global_buffer
      - .actual_access:  read_only
        .address_space:  global
        .offset:         40
        .size:           8
        .value_kind:     global_buffer
      - .actual_access:  read_only
        .address_space:  global
        .offset:         48
        .size:           8
        .value_kind:     global_buffer
      - .actual_access:  read_only
        .address_space:  global
        .offset:         56
        .size:           8
        .value_kind:     global_buffer
      - .actual_access:  read_only
        .address_space:  global
        .offset:         64
        .size:           8
        .value_kind:     global_buffer
      - .offset:         72
        .size:           8
        .value_kind:     by_value
      - .address_space:  global
        .offset:         80
        .size:           8
        .value_kind:     global_buffer
      - .offset:         88
        .size:           4
        .value_kind:     by_value
      - .offset:         92
        .size:           1
        .value_kind:     by_value
    .group_segment_fixed_size: 5408
    .kernarg_segment_align: 8
    .kernarg_segment_size: 96
    .language:       OpenCL C
    .language_version:
      - 2
      - 0
    .max_flat_workgroup_size: 676
    .name:           _ZN9rocsparseL20bsrxmvn_17_32_kernelILj26EdlidddEEvT2_20rocsparse_direction_NS_24const_host_device_scalarIT0_EES1_PKS1_PKT1_SA_S7_PKT3_PKT4_S5_PT5_21rocsparse_index_base_b
    .private_segment_fixed_size: 0
    .sgpr_count:     22
    .sgpr_spill_count: 0
    .symbol:         _ZN9rocsparseL20bsrxmvn_17_32_kernelILj26EdlidddEEvT2_20rocsparse_direction_NS_24const_host_device_scalarIT0_EES1_PKS1_PKT1_SA_S7_PKT3_PKT4_S5_PT5_21rocsparse_index_base_b.kd
    .uniform_work_group_size: 1
    .uses_dynamic_stack: false
    .vgpr_count:     19
    .vgpr_spill_count: 0
    .wavefront_size: 32
    .workgroup_processor_mode: 1
  - .args:
      - .offset:         0
        .size:           4
        .value_kind:     by_value
      - .offset:         4
        .size:           4
        .value_kind:     by_value
      - .offset:         8
        .size:           8
        .value_kind:     by_value
      - .offset:         16
        .size:           4
        .value_kind:     by_value
      - .actual_access:  read_only
        .address_space:  global
        .offset:         24
        .size:           8
        .value_kind:     global_buffer
      - .actual_access:  read_only
        .address_space:  global
        .offset:         32
        .size:           8
        .value_kind:     global_buffer
      - .actual_access:  read_only
        .address_space:  global
        .offset:         40
        .size:           8
        .value_kind:     global_buffer
      - .actual_access:  read_only
        .address_space:  global
        .offset:         48
        .size:           8
        .value_kind:     global_buffer
      - .actual_access:  read_only
        .address_space:  global
        .offset:         56
        .size:           8
        .value_kind:     global_buffer
      - .actual_access:  read_only
        .address_space:  global
        .offset:         64
        .size:           8
        .value_kind:     global_buffer
      - .offset:         72
        .size:           8
        .value_kind:     by_value
      - .address_space:  global
        .offset:         80
        .size:           8
        .value_kind:     global_buffer
      - .offset:         88
        .size:           4
        .value_kind:     by_value
      - .offset:         92
        .size:           1
        .value_kind:     by_value
    .group_segment_fixed_size: 5832
    .kernarg_segment_align: 8
    .kernarg_segment_size: 96
    .language:       OpenCL C
    .language_version:
      - 2
      - 0
    .max_flat_workgroup_size: 729
    .name:           _ZN9rocsparseL20bsrxmvn_17_32_kernelILj27EdlidddEEvT2_20rocsparse_direction_NS_24const_host_device_scalarIT0_EES1_PKS1_PKT1_SA_S7_PKT3_PKT4_S5_PT5_21rocsparse_index_base_b
    .private_segment_fixed_size: 0
    .sgpr_count:     22
    .sgpr_spill_count: 0
    .symbol:         _ZN9rocsparseL20bsrxmvn_17_32_kernelILj27EdlidddEEvT2_20rocsparse_direction_NS_24const_host_device_scalarIT0_EES1_PKS1_PKT1_SA_S7_PKT3_PKT4_S5_PT5_21rocsparse_index_base_b.kd
    .uniform_work_group_size: 1
    .uses_dynamic_stack: false
    .vgpr_count:     19
    .vgpr_spill_count: 0
    .wavefront_size: 32
    .workgroup_processor_mode: 1
  - .args:
      - .offset:         0
        .size:           4
        .value_kind:     by_value
      - .offset:         4
        .size:           4
        .value_kind:     by_value
      - .offset:         8
        .size:           8
        .value_kind:     by_value
      - .offset:         16
        .size:           4
        .value_kind:     by_value
      - .actual_access:  read_only
        .address_space:  global
        .offset:         24
        .size:           8
        .value_kind:     global_buffer
      - .actual_access:  read_only
        .address_space:  global
        .offset:         32
        .size:           8
        .value_kind:     global_buffer
      - .actual_access:  read_only
        .address_space:  global
        .offset:         40
        .size:           8
        .value_kind:     global_buffer
      - .actual_access:  read_only
        .address_space:  global
        .offset:         48
        .size:           8
        .value_kind:     global_buffer
      - .actual_access:  read_only
        .address_space:  global
        .offset:         56
        .size:           8
        .value_kind:     global_buffer
      - .actual_access:  read_only
        .address_space:  global
        .offset:         64
        .size:           8
        .value_kind:     global_buffer
      - .offset:         72
        .size:           8
        .value_kind:     by_value
      - .address_space:  global
        .offset:         80
        .size:           8
        .value_kind:     global_buffer
      - .offset:         88
        .size:           4
        .value_kind:     by_value
      - .offset:         92
        .size:           1
        .value_kind:     by_value
    .group_segment_fixed_size: 6272
    .kernarg_segment_align: 8
    .kernarg_segment_size: 96
    .language:       OpenCL C
    .language_version:
      - 2
      - 0
    .max_flat_workgroup_size: 784
    .name:           _ZN9rocsparseL20bsrxmvn_17_32_kernelILj28EdlidddEEvT2_20rocsparse_direction_NS_24const_host_device_scalarIT0_EES1_PKS1_PKT1_SA_S7_PKT3_PKT4_S5_PT5_21rocsparse_index_base_b
    .private_segment_fixed_size: 0
    .sgpr_count:     22
    .sgpr_spill_count: 0
    .symbol:         _ZN9rocsparseL20bsrxmvn_17_32_kernelILj28EdlidddEEvT2_20rocsparse_direction_NS_24const_host_device_scalarIT0_EES1_PKS1_PKT1_SA_S7_PKT3_PKT4_S5_PT5_21rocsparse_index_base_b.kd
    .uniform_work_group_size: 1
    .uses_dynamic_stack: false
    .vgpr_count:     19
    .vgpr_spill_count: 0
    .wavefront_size: 32
    .workgroup_processor_mode: 1
  - .args:
      - .offset:         0
        .size:           4
        .value_kind:     by_value
      - .offset:         4
        .size:           4
        .value_kind:     by_value
      - .offset:         8
        .size:           8
        .value_kind:     by_value
      - .offset:         16
        .size:           4
        .value_kind:     by_value
      - .actual_access:  read_only
        .address_space:  global
        .offset:         24
        .size:           8
        .value_kind:     global_buffer
      - .actual_access:  read_only
        .address_space:  global
        .offset:         32
        .size:           8
        .value_kind:     global_buffer
      - .actual_access:  read_only
        .address_space:  global
        .offset:         40
        .size:           8
        .value_kind:     global_buffer
      - .actual_access:  read_only
        .address_space:  global
        .offset:         48
        .size:           8
        .value_kind:     global_buffer
      - .actual_access:  read_only
        .address_space:  global
        .offset:         56
        .size:           8
        .value_kind:     global_buffer
      - .actual_access:  read_only
        .address_space:  global
        .offset:         64
        .size:           8
        .value_kind:     global_buffer
      - .offset:         72
        .size:           8
        .value_kind:     by_value
      - .address_space:  global
        .offset:         80
        .size:           8
        .value_kind:     global_buffer
      - .offset:         88
        .size:           4
        .value_kind:     by_value
      - .offset:         92
        .size:           1
        .value_kind:     by_value
    .group_segment_fixed_size: 6728
    .kernarg_segment_align: 8
    .kernarg_segment_size: 96
    .language:       OpenCL C
    .language_version:
      - 2
      - 0
    .max_flat_workgroup_size: 841
    .name:           _ZN9rocsparseL20bsrxmvn_17_32_kernelILj29EdlidddEEvT2_20rocsparse_direction_NS_24const_host_device_scalarIT0_EES1_PKS1_PKT1_SA_S7_PKT3_PKT4_S5_PT5_21rocsparse_index_base_b
    .private_segment_fixed_size: 0
    .sgpr_count:     22
    .sgpr_spill_count: 0
    .symbol:         _ZN9rocsparseL20bsrxmvn_17_32_kernelILj29EdlidddEEvT2_20rocsparse_direction_NS_24const_host_device_scalarIT0_EES1_PKS1_PKT1_SA_S7_PKT3_PKT4_S5_PT5_21rocsparse_index_base_b.kd
    .uniform_work_group_size: 1
    .uses_dynamic_stack: false
    .vgpr_count:     19
    .vgpr_spill_count: 0
    .wavefront_size: 32
    .workgroup_processor_mode: 1
  - .args:
      - .offset:         0
        .size:           4
        .value_kind:     by_value
      - .offset:         4
        .size:           4
        .value_kind:     by_value
      - .offset:         8
        .size:           8
        .value_kind:     by_value
      - .offset:         16
        .size:           4
        .value_kind:     by_value
      - .actual_access:  read_only
        .address_space:  global
        .offset:         24
        .size:           8
        .value_kind:     global_buffer
      - .actual_access:  read_only
        .address_space:  global
        .offset:         32
        .size:           8
        .value_kind:     global_buffer
      - .actual_access:  read_only
        .address_space:  global
        .offset:         40
        .size:           8
        .value_kind:     global_buffer
      - .actual_access:  read_only
        .address_space:  global
        .offset:         48
        .size:           8
        .value_kind:     global_buffer
      - .actual_access:  read_only
        .address_space:  global
        .offset:         56
        .size:           8
        .value_kind:     global_buffer
      - .actual_access:  read_only
        .address_space:  global
        .offset:         64
        .size:           8
        .value_kind:     global_buffer
      - .offset:         72
        .size:           8
        .value_kind:     by_value
      - .address_space:  global
        .offset:         80
        .size:           8
        .value_kind:     global_buffer
      - .offset:         88
        .size:           4
        .value_kind:     by_value
      - .offset:         92
        .size:           1
        .value_kind:     by_value
    .group_segment_fixed_size: 7200
    .kernarg_segment_align: 8
    .kernarg_segment_size: 96
    .language:       OpenCL C
    .language_version:
      - 2
      - 0
    .max_flat_workgroup_size: 900
    .name:           _ZN9rocsparseL20bsrxmvn_17_32_kernelILj30EdlidddEEvT2_20rocsparse_direction_NS_24const_host_device_scalarIT0_EES1_PKS1_PKT1_SA_S7_PKT3_PKT4_S5_PT5_21rocsparse_index_base_b
    .private_segment_fixed_size: 0
    .sgpr_count:     22
    .sgpr_spill_count: 0
    .symbol:         _ZN9rocsparseL20bsrxmvn_17_32_kernelILj30EdlidddEEvT2_20rocsparse_direction_NS_24const_host_device_scalarIT0_EES1_PKS1_PKT1_SA_S7_PKT3_PKT4_S5_PT5_21rocsparse_index_base_b.kd
    .uniform_work_group_size: 1
    .uses_dynamic_stack: false
    .vgpr_count:     19
    .vgpr_spill_count: 0
    .wavefront_size: 32
    .workgroup_processor_mode: 1
  - .args:
      - .offset:         0
        .size:           4
        .value_kind:     by_value
      - .offset:         4
        .size:           4
        .value_kind:     by_value
      - .offset:         8
        .size:           8
        .value_kind:     by_value
      - .offset:         16
        .size:           4
        .value_kind:     by_value
      - .actual_access:  read_only
        .address_space:  global
        .offset:         24
        .size:           8
        .value_kind:     global_buffer
      - .actual_access:  read_only
        .address_space:  global
        .offset:         32
        .size:           8
        .value_kind:     global_buffer
      - .actual_access:  read_only
        .address_space:  global
        .offset:         40
        .size:           8
        .value_kind:     global_buffer
      - .actual_access:  read_only
        .address_space:  global
        .offset:         48
        .size:           8
        .value_kind:     global_buffer
      - .actual_access:  read_only
        .address_space:  global
        .offset:         56
        .size:           8
        .value_kind:     global_buffer
      - .actual_access:  read_only
        .address_space:  global
        .offset:         64
        .size:           8
        .value_kind:     global_buffer
      - .offset:         72
        .size:           8
        .value_kind:     by_value
      - .address_space:  global
        .offset:         80
        .size:           8
        .value_kind:     global_buffer
      - .offset:         88
        .size:           4
        .value_kind:     by_value
      - .offset:         92
        .size:           1
        .value_kind:     by_value
    .group_segment_fixed_size: 7688
    .kernarg_segment_align: 8
    .kernarg_segment_size: 96
    .language:       OpenCL C
    .language_version:
      - 2
      - 0
    .max_flat_workgroup_size: 961
    .name:           _ZN9rocsparseL20bsrxmvn_17_32_kernelILj31EdlidddEEvT2_20rocsparse_direction_NS_24const_host_device_scalarIT0_EES1_PKS1_PKT1_SA_S7_PKT3_PKT4_S5_PT5_21rocsparse_index_base_b
    .private_segment_fixed_size: 0
    .sgpr_count:     22
    .sgpr_spill_count: 0
    .symbol:         _ZN9rocsparseL20bsrxmvn_17_32_kernelILj31EdlidddEEvT2_20rocsparse_direction_NS_24const_host_device_scalarIT0_EES1_PKS1_PKT1_SA_S7_PKT3_PKT4_S5_PT5_21rocsparse_index_base_b.kd
    .uniform_work_group_size: 1
    .uses_dynamic_stack: false
    .vgpr_count:     19
    .vgpr_spill_count: 0
    .wavefront_size: 32
    .workgroup_processor_mode: 1
  - .args:
      - .offset:         0
        .size:           4
        .value_kind:     by_value
      - .offset:         4
        .size:           4
        .value_kind:     by_value
      - .offset:         8
        .size:           8
        .value_kind:     by_value
      - .offset:         16
        .size:           4
        .value_kind:     by_value
      - .actual_access:  read_only
        .address_space:  global
        .offset:         24
        .size:           8
        .value_kind:     global_buffer
      - .actual_access:  read_only
        .address_space:  global
        .offset:         32
        .size:           8
        .value_kind:     global_buffer
      - .actual_access:  read_only
        .address_space:  global
        .offset:         40
        .size:           8
        .value_kind:     global_buffer
      - .actual_access:  read_only
        .address_space:  global
        .offset:         48
        .size:           8
        .value_kind:     global_buffer
      - .actual_access:  read_only
        .address_space:  global
        .offset:         56
        .size:           8
        .value_kind:     global_buffer
      - .actual_access:  read_only
        .address_space:  global
        .offset:         64
        .size:           8
        .value_kind:     global_buffer
      - .offset:         72
        .size:           8
        .value_kind:     by_value
      - .address_space:  global
        .offset:         80
        .size:           8
        .value_kind:     global_buffer
      - .offset:         88
        .size:           4
        .value_kind:     by_value
      - .offset:         92
        .size:           1
        .value_kind:     by_value
    .group_segment_fixed_size: 8192
    .kernarg_segment_align: 8
    .kernarg_segment_size: 96
    .language:       OpenCL C
    .language_version:
      - 2
      - 0
    .max_flat_workgroup_size: 1024
    .name:           _ZN9rocsparseL20bsrxmvn_17_32_kernelILj32EdlidddEEvT2_20rocsparse_direction_NS_24const_host_device_scalarIT0_EES1_PKS1_PKT1_SA_S7_PKT3_PKT4_S5_PT5_21rocsparse_index_base_b
    .private_segment_fixed_size: 0
    .sgpr_count:     28
    .sgpr_spill_count: 0
    .symbol:         _ZN9rocsparseL20bsrxmvn_17_32_kernelILj32EdlidddEEvT2_20rocsparse_direction_NS_24const_host_device_scalarIT0_EES1_PKS1_PKT1_SA_S7_PKT3_PKT4_S5_PT5_21rocsparse_index_base_b.kd
    .uniform_work_group_size: 1
    .uses_dynamic_stack: false
    .vgpr_count:     15
    .vgpr_spill_count: 0
    .wavefront_size: 32
    .workgroup_processor_mode: 1
  - .args:
      - .offset:         0
        .size:           4
        .value_kind:     by_value
      - .offset:         4
        .size:           4
        .value_kind:     by_value
      - .offset:         8
        .size:           8
        .value_kind:     by_value
      - .offset:         16
        .size:           4
        .value_kind:     by_value
      - .actual_access:  read_only
        .address_space:  global
        .offset:         24
        .size:           8
        .value_kind:     global_buffer
      - .actual_access:  read_only
        .address_space:  global
        .offset:         32
        .size:           8
        .value_kind:     global_buffer
      - .actual_access:  read_only
        .address_space:  global
        .offset:         40
        .size:           8
        .value_kind:     global_buffer
      - .actual_access:  read_only
        .address_space:  global
        .offset:         48
        .size:           8
        .value_kind:     global_buffer
      - .actual_access:  read_only
        .address_space:  global
        .offset:         56
        .size:           8
        .value_kind:     global_buffer
      - .actual_access:  read_only
        .address_space:  global
        .offset:         64
        .size:           8
        .value_kind:     global_buffer
      - .offset:         72
        .size:           8
        .value_kind:     by_value
      - .address_space:  global
        .offset:         80
        .size:           8
        .value_kind:     global_buffer
      - .offset:         88
        .size:           4
        .value_kind:     by_value
      - .offset:         92
        .size:           1
        .value_kind:     by_value
    .group_segment_fixed_size: 2312
    .kernarg_segment_align: 8
    .kernarg_segment_size: 96
    .language:       OpenCL C
    .language_version:
      - 2
      - 0
    .max_flat_workgroup_size: 289
    .name:           _ZN9rocsparseL20bsrxmvn_17_32_kernelILj17E21rocsparse_complex_numIfEliS2_S2_S2_EEvT2_20rocsparse_direction_NS_24const_host_device_scalarIT0_EES3_PKS3_PKT1_SC_S9_PKT3_PKT4_S7_PT5_21rocsparse_index_base_b
    .private_segment_fixed_size: 0
    .sgpr_count:     23
    .sgpr_spill_count: 0
    .symbol:         _ZN9rocsparseL20bsrxmvn_17_32_kernelILj17E21rocsparse_complex_numIfEliS2_S2_S2_EEvT2_20rocsparse_direction_NS_24const_host_device_scalarIT0_EES3_PKS3_PKT1_SC_S9_PKT3_PKT4_S7_PT5_21rocsparse_index_base_b.kd
    .uniform_work_group_size: 1
    .uses_dynamic_stack: false
    .vgpr_count:     19
    .vgpr_spill_count: 0
    .wavefront_size: 32
    .workgroup_processor_mode: 1
  - .args:
      - .offset:         0
        .size:           4
        .value_kind:     by_value
      - .offset:         4
        .size:           4
        .value_kind:     by_value
      - .offset:         8
        .size:           8
        .value_kind:     by_value
      - .offset:         16
        .size:           4
        .value_kind:     by_value
      - .actual_access:  read_only
        .address_space:  global
        .offset:         24
        .size:           8
        .value_kind:     global_buffer
      - .actual_access:  read_only
        .address_space:  global
        .offset:         32
        .size:           8
        .value_kind:     global_buffer
      - .actual_access:  read_only
        .address_space:  global
        .offset:         40
        .size:           8
        .value_kind:     global_buffer
      - .actual_access:  read_only
        .address_space:  global
        .offset:         48
        .size:           8
        .value_kind:     global_buffer
      - .actual_access:  read_only
        .address_space:  global
        .offset:         56
        .size:           8
        .value_kind:     global_buffer
      - .actual_access:  read_only
        .address_space:  global
        .offset:         64
        .size:           8
        .value_kind:     global_buffer
      - .offset:         72
        .size:           8
        .value_kind:     by_value
      - .address_space:  global
        .offset:         80
        .size:           8
        .value_kind:     global_buffer
      - .offset:         88
        .size:           4
        .value_kind:     by_value
      - .offset:         92
        .size:           1
        .value_kind:     by_value
    .group_segment_fixed_size: 2592
    .kernarg_segment_align: 8
    .kernarg_segment_size: 96
    .language:       OpenCL C
    .language_version:
      - 2
      - 0
    .max_flat_workgroup_size: 324
    .name:           _ZN9rocsparseL20bsrxmvn_17_32_kernelILj18E21rocsparse_complex_numIfEliS2_S2_S2_EEvT2_20rocsparse_direction_NS_24const_host_device_scalarIT0_EES3_PKS3_PKT1_SC_S9_PKT3_PKT4_S7_PT5_21rocsparse_index_base_b
    .private_segment_fixed_size: 0
    .sgpr_count:     23
    .sgpr_spill_count: 0
    .symbol:         _ZN9rocsparseL20bsrxmvn_17_32_kernelILj18E21rocsparse_complex_numIfEliS2_S2_S2_EEvT2_20rocsparse_direction_NS_24const_host_device_scalarIT0_EES3_PKS3_PKT1_SC_S9_PKT3_PKT4_S7_PT5_21rocsparse_index_base_b.kd
    .uniform_work_group_size: 1
    .uses_dynamic_stack: false
    .vgpr_count:     19
    .vgpr_spill_count: 0
    .wavefront_size: 32
    .workgroup_processor_mode: 1
  - .args:
      - .offset:         0
        .size:           4
        .value_kind:     by_value
      - .offset:         4
        .size:           4
        .value_kind:     by_value
      - .offset:         8
        .size:           8
        .value_kind:     by_value
      - .offset:         16
        .size:           4
        .value_kind:     by_value
      - .actual_access:  read_only
        .address_space:  global
        .offset:         24
        .size:           8
        .value_kind:     global_buffer
      - .actual_access:  read_only
        .address_space:  global
        .offset:         32
        .size:           8
        .value_kind:     global_buffer
      - .actual_access:  read_only
        .address_space:  global
        .offset:         40
        .size:           8
        .value_kind:     global_buffer
      - .actual_access:  read_only
        .address_space:  global
        .offset:         48
        .size:           8
        .value_kind:     global_buffer
      - .actual_access:  read_only
        .address_space:  global
        .offset:         56
        .size:           8
        .value_kind:     global_buffer
      - .actual_access:  read_only
        .address_space:  global
        .offset:         64
        .size:           8
        .value_kind:     global_buffer
      - .offset:         72
        .size:           8
        .value_kind:     by_value
      - .address_space:  global
        .offset:         80
        .size:           8
        .value_kind:     global_buffer
      - .offset:         88
        .size:           4
        .value_kind:     by_value
      - .offset:         92
        .size:           1
        .value_kind:     by_value
    .group_segment_fixed_size: 2888
    .kernarg_segment_align: 8
    .kernarg_segment_size: 96
    .language:       OpenCL C
    .language_version:
      - 2
      - 0
    .max_flat_workgroup_size: 361
    .name:           _ZN9rocsparseL20bsrxmvn_17_32_kernelILj19E21rocsparse_complex_numIfEliS2_S2_S2_EEvT2_20rocsparse_direction_NS_24const_host_device_scalarIT0_EES3_PKS3_PKT1_SC_S9_PKT3_PKT4_S7_PT5_21rocsparse_index_base_b
    .private_segment_fixed_size: 0
    .sgpr_count:     23
    .sgpr_spill_count: 0
    .symbol:         _ZN9rocsparseL20bsrxmvn_17_32_kernelILj19E21rocsparse_complex_numIfEliS2_S2_S2_EEvT2_20rocsparse_direction_NS_24const_host_device_scalarIT0_EES3_PKS3_PKT1_SC_S9_PKT3_PKT4_S7_PT5_21rocsparse_index_base_b.kd
    .uniform_work_group_size: 1
    .uses_dynamic_stack: false
    .vgpr_count:     19
    .vgpr_spill_count: 0
    .wavefront_size: 32
    .workgroup_processor_mode: 1
  - .args:
      - .offset:         0
        .size:           4
        .value_kind:     by_value
      - .offset:         4
        .size:           4
        .value_kind:     by_value
      - .offset:         8
        .size:           8
        .value_kind:     by_value
      - .offset:         16
        .size:           4
        .value_kind:     by_value
      - .actual_access:  read_only
        .address_space:  global
        .offset:         24
        .size:           8
        .value_kind:     global_buffer
      - .actual_access:  read_only
        .address_space:  global
        .offset:         32
        .size:           8
        .value_kind:     global_buffer
      - .actual_access:  read_only
        .address_space:  global
        .offset:         40
        .size:           8
        .value_kind:     global_buffer
      - .actual_access:  read_only
        .address_space:  global
        .offset:         48
        .size:           8
        .value_kind:     global_buffer
      - .actual_access:  read_only
        .address_space:  global
        .offset:         56
        .size:           8
        .value_kind:     global_buffer
      - .actual_access:  read_only
        .address_space:  global
        .offset:         64
        .size:           8
        .value_kind:     global_buffer
      - .offset:         72
        .size:           8
        .value_kind:     by_value
      - .address_space:  global
        .offset:         80
        .size:           8
        .value_kind:     global_buffer
      - .offset:         88
        .size:           4
        .value_kind:     by_value
      - .offset:         92
        .size:           1
        .value_kind:     by_value
    .group_segment_fixed_size: 3200
    .kernarg_segment_align: 8
    .kernarg_segment_size: 96
    .language:       OpenCL C
    .language_version:
      - 2
      - 0
    .max_flat_workgroup_size: 400
    .name:           _ZN9rocsparseL20bsrxmvn_17_32_kernelILj20E21rocsparse_complex_numIfEliS2_S2_S2_EEvT2_20rocsparse_direction_NS_24const_host_device_scalarIT0_EES3_PKS3_PKT1_SC_S9_PKT3_PKT4_S7_PT5_21rocsparse_index_base_b
    .private_segment_fixed_size: 0
    .sgpr_count:     23
    .sgpr_spill_count: 0
    .symbol:         _ZN9rocsparseL20bsrxmvn_17_32_kernelILj20E21rocsparse_complex_numIfEliS2_S2_S2_EEvT2_20rocsparse_direction_NS_24const_host_device_scalarIT0_EES3_PKS3_PKT1_SC_S9_PKT3_PKT4_S7_PT5_21rocsparse_index_base_b.kd
    .uniform_work_group_size: 1
    .uses_dynamic_stack: false
    .vgpr_count:     19
    .vgpr_spill_count: 0
    .wavefront_size: 32
    .workgroup_processor_mode: 1
  - .args:
      - .offset:         0
        .size:           4
        .value_kind:     by_value
      - .offset:         4
        .size:           4
        .value_kind:     by_value
      - .offset:         8
        .size:           8
        .value_kind:     by_value
      - .offset:         16
        .size:           4
        .value_kind:     by_value
      - .actual_access:  read_only
        .address_space:  global
        .offset:         24
        .size:           8
        .value_kind:     global_buffer
      - .actual_access:  read_only
        .address_space:  global
        .offset:         32
        .size:           8
        .value_kind:     global_buffer
      - .actual_access:  read_only
        .address_space:  global
        .offset:         40
        .size:           8
        .value_kind:     global_buffer
      - .actual_access:  read_only
        .address_space:  global
        .offset:         48
        .size:           8
        .value_kind:     global_buffer
      - .actual_access:  read_only
        .address_space:  global
        .offset:         56
        .size:           8
        .value_kind:     global_buffer
      - .actual_access:  read_only
        .address_space:  global
        .offset:         64
        .size:           8
        .value_kind:     global_buffer
      - .offset:         72
        .size:           8
        .value_kind:     by_value
      - .address_space:  global
        .offset:         80
        .size:           8
        .value_kind:     global_buffer
      - .offset:         88
        .size:           4
        .value_kind:     by_value
      - .offset:         92
        .size:           1
        .value_kind:     by_value
    .group_segment_fixed_size: 3528
    .kernarg_segment_align: 8
    .kernarg_segment_size: 96
    .language:       OpenCL C
    .language_version:
      - 2
      - 0
    .max_flat_workgroup_size: 441
    .name:           _ZN9rocsparseL20bsrxmvn_17_32_kernelILj21E21rocsparse_complex_numIfEliS2_S2_S2_EEvT2_20rocsparse_direction_NS_24const_host_device_scalarIT0_EES3_PKS3_PKT1_SC_S9_PKT3_PKT4_S7_PT5_21rocsparse_index_base_b
    .private_segment_fixed_size: 0
    .sgpr_count:     23
    .sgpr_spill_count: 0
    .symbol:         _ZN9rocsparseL20bsrxmvn_17_32_kernelILj21E21rocsparse_complex_numIfEliS2_S2_S2_EEvT2_20rocsparse_direction_NS_24const_host_device_scalarIT0_EES3_PKS3_PKT1_SC_S9_PKT3_PKT4_S7_PT5_21rocsparse_index_base_b.kd
    .uniform_work_group_size: 1
    .uses_dynamic_stack: false
    .vgpr_count:     19
    .vgpr_spill_count: 0
    .wavefront_size: 32
    .workgroup_processor_mode: 1
  - .args:
      - .offset:         0
        .size:           4
        .value_kind:     by_value
      - .offset:         4
        .size:           4
        .value_kind:     by_value
      - .offset:         8
        .size:           8
        .value_kind:     by_value
      - .offset:         16
        .size:           4
        .value_kind:     by_value
      - .actual_access:  read_only
        .address_space:  global
        .offset:         24
        .size:           8
        .value_kind:     global_buffer
      - .actual_access:  read_only
        .address_space:  global
        .offset:         32
        .size:           8
        .value_kind:     global_buffer
      - .actual_access:  read_only
        .address_space:  global
        .offset:         40
        .size:           8
        .value_kind:     global_buffer
      - .actual_access:  read_only
        .address_space:  global
        .offset:         48
        .size:           8
        .value_kind:     global_buffer
      - .actual_access:  read_only
        .address_space:  global
        .offset:         56
        .size:           8
        .value_kind:     global_buffer
      - .actual_access:  read_only
        .address_space:  global
        .offset:         64
        .size:           8
        .value_kind:     global_buffer
      - .offset:         72
        .size:           8
        .value_kind:     by_value
      - .address_space:  global
        .offset:         80
        .size:           8
        .value_kind:     global_buffer
      - .offset:         88
        .size:           4
        .value_kind:     by_value
      - .offset:         92
        .size:           1
        .value_kind:     by_value
    .group_segment_fixed_size: 3872
    .kernarg_segment_align: 8
    .kernarg_segment_size: 96
    .language:       OpenCL C
    .language_version:
      - 2
      - 0
    .max_flat_workgroup_size: 484
    .name:           _ZN9rocsparseL20bsrxmvn_17_32_kernelILj22E21rocsparse_complex_numIfEliS2_S2_S2_EEvT2_20rocsparse_direction_NS_24const_host_device_scalarIT0_EES3_PKS3_PKT1_SC_S9_PKT3_PKT4_S7_PT5_21rocsparse_index_base_b
    .private_segment_fixed_size: 0
    .sgpr_count:     23
    .sgpr_spill_count: 0
    .symbol:         _ZN9rocsparseL20bsrxmvn_17_32_kernelILj22E21rocsparse_complex_numIfEliS2_S2_S2_EEvT2_20rocsparse_direction_NS_24const_host_device_scalarIT0_EES3_PKS3_PKT1_SC_S9_PKT3_PKT4_S7_PT5_21rocsparse_index_base_b.kd
    .uniform_work_group_size: 1
    .uses_dynamic_stack: false
    .vgpr_count:     19
    .vgpr_spill_count: 0
    .wavefront_size: 32
    .workgroup_processor_mode: 1
  - .args:
      - .offset:         0
        .size:           4
        .value_kind:     by_value
      - .offset:         4
        .size:           4
        .value_kind:     by_value
      - .offset:         8
        .size:           8
        .value_kind:     by_value
      - .offset:         16
        .size:           4
        .value_kind:     by_value
      - .actual_access:  read_only
        .address_space:  global
        .offset:         24
        .size:           8
        .value_kind:     global_buffer
      - .actual_access:  read_only
        .address_space:  global
        .offset:         32
        .size:           8
        .value_kind:     global_buffer
      - .actual_access:  read_only
        .address_space:  global
        .offset:         40
        .size:           8
        .value_kind:     global_buffer
      - .actual_access:  read_only
        .address_space:  global
        .offset:         48
        .size:           8
        .value_kind:     global_buffer
      - .actual_access:  read_only
        .address_space:  global
        .offset:         56
        .size:           8
        .value_kind:     global_buffer
      - .actual_access:  read_only
        .address_space:  global
        .offset:         64
        .size:           8
        .value_kind:     global_buffer
      - .offset:         72
        .size:           8
        .value_kind:     by_value
      - .address_space:  global
        .offset:         80
        .size:           8
        .value_kind:     global_buffer
      - .offset:         88
        .size:           4
        .value_kind:     by_value
      - .offset:         92
        .size:           1
        .value_kind:     by_value
    .group_segment_fixed_size: 4232
    .kernarg_segment_align: 8
    .kernarg_segment_size: 96
    .language:       OpenCL C
    .language_version:
      - 2
      - 0
    .max_flat_workgroup_size: 529
    .name:           _ZN9rocsparseL20bsrxmvn_17_32_kernelILj23E21rocsparse_complex_numIfEliS2_S2_S2_EEvT2_20rocsparse_direction_NS_24const_host_device_scalarIT0_EES3_PKS3_PKT1_SC_S9_PKT3_PKT4_S7_PT5_21rocsparse_index_base_b
    .private_segment_fixed_size: 0
    .sgpr_count:     22
    .sgpr_spill_count: 0
    .symbol:         _ZN9rocsparseL20bsrxmvn_17_32_kernelILj23E21rocsparse_complex_numIfEliS2_S2_S2_EEvT2_20rocsparse_direction_NS_24const_host_device_scalarIT0_EES3_PKS3_PKT1_SC_S9_PKT3_PKT4_S7_PT5_21rocsparse_index_base_b.kd
    .uniform_work_group_size: 1
    .uses_dynamic_stack: false
    .vgpr_count:     19
    .vgpr_spill_count: 0
    .wavefront_size: 32
    .workgroup_processor_mode: 1
  - .args:
      - .offset:         0
        .size:           4
        .value_kind:     by_value
      - .offset:         4
        .size:           4
        .value_kind:     by_value
      - .offset:         8
        .size:           8
        .value_kind:     by_value
      - .offset:         16
        .size:           4
        .value_kind:     by_value
      - .actual_access:  read_only
        .address_space:  global
        .offset:         24
        .size:           8
        .value_kind:     global_buffer
      - .actual_access:  read_only
        .address_space:  global
        .offset:         32
        .size:           8
        .value_kind:     global_buffer
      - .actual_access:  read_only
        .address_space:  global
        .offset:         40
        .size:           8
        .value_kind:     global_buffer
      - .actual_access:  read_only
        .address_space:  global
        .offset:         48
        .size:           8
        .value_kind:     global_buffer
      - .actual_access:  read_only
        .address_space:  global
        .offset:         56
        .size:           8
        .value_kind:     global_buffer
      - .actual_access:  read_only
        .address_space:  global
        .offset:         64
        .size:           8
        .value_kind:     global_buffer
      - .offset:         72
        .size:           8
        .value_kind:     by_value
      - .address_space:  global
        .offset:         80
        .size:           8
        .value_kind:     global_buffer
      - .offset:         88
        .size:           4
        .value_kind:     by_value
      - .offset:         92
        .size:           1
        .value_kind:     by_value
    .group_segment_fixed_size: 4608
    .kernarg_segment_align: 8
    .kernarg_segment_size: 96
    .language:       OpenCL C
    .language_version:
      - 2
      - 0
    .max_flat_workgroup_size: 576
    .name:           _ZN9rocsparseL20bsrxmvn_17_32_kernelILj24E21rocsparse_complex_numIfEliS2_S2_S2_EEvT2_20rocsparse_direction_NS_24const_host_device_scalarIT0_EES3_PKS3_PKT1_SC_S9_PKT3_PKT4_S7_PT5_21rocsparse_index_base_b
    .private_segment_fixed_size: 0
    .sgpr_count:     22
    .sgpr_spill_count: 0
    .symbol:         _ZN9rocsparseL20bsrxmvn_17_32_kernelILj24E21rocsparse_complex_numIfEliS2_S2_S2_EEvT2_20rocsparse_direction_NS_24const_host_device_scalarIT0_EES3_PKS3_PKT1_SC_S9_PKT3_PKT4_S7_PT5_21rocsparse_index_base_b.kd
    .uniform_work_group_size: 1
    .uses_dynamic_stack: false
    .vgpr_count:     19
    .vgpr_spill_count: 0
    .wavefront_size: 32
    .workgroup_processor_mode: 1
  - .args:
      - .offset:         0
        .size:           4
        .value_kind:     by_value
      - .offset:         4
        .size:           4
        .value_kind:     by_value
      - .offset:         8
        .size:           8
        .value_kind:     by_value
      - .offset:         16
        .size:           4
        .value_kind:     by_value
      - .actual_access:  read_only
        .address_space:  global
        .offset:         24
        .size:           8
        .value_kind:     global_buffer
      - .actual_access:  read_only
        .address_space:  global
        .offset:         32
        .size:           8
        .value_kind:     global_buffer
      - .actual_access:  read_only
        .address_space:  global
        .offset:         40
        .size:           8
        .value_kind:     global_buffer
      - .actual_access:  read_only
        .address_space:  global
        .offset:         48
        .size:           8
        .value_kind:     global_buffer
      - .actual_access:  read_only
        .address_space:  global
        .offset:         56
        .size:           8
        .value_kind:     global_buffer
      - .actual_access:  read_only
        .address_space:  global
        .offset:         64
        .size:           8
        .value_kind:     global_buffer
      - .offset:         72
        .size:           8
        .value_kind:     by_value
      - .address_space:  global
        .offset:         80
        .size:           8
        .value_kind:     global_buffer
      - .offset:         88
        .size:           4
        .value_kind:     by_value
      - .offset:         92
        .size:           1
        .value_kind:     by_value
    .group_segment_fixed_size: 5000
    .kernarg_segment_align: 8
    .kernarg_segment_size: 96
    .language:       OpenCL C
    .language_version:
      - 2
      - 0
    .max_flat_workgroup_size: 625
    .name:           _ZN9rocsparseL20bsrxmvn_17_32_kernelILj25E21rocsparse_complex_numIfEliS2_S2_S2_EEvT2_20rocsparse_direction_NS_24const_host_device_scalarIT0_EES3_PKS3_PKT1_SC_S9_PKT3_PKT4_S7_PT5_21rocsparse_index_base_b
    .private_segment_fixed_size: 0
    .sgpr_count:     22
    .sgpr_spill_count: 0
    .symbol:         _ZN9rocsparseL20bsrxmvn_17_32_kernelILj25E21rocsparse_complex_numIfEliS2_S2_S2_EEvT2_20rocsparse_direction_NS_24const_host_device_scalarIT0_EES3_PKS3_PKT1_SC_S9_PKT3_PKT4_S7_PT5_21rocsparse_index_base_b.kd
    .uniform_work_group_size: 1
    .uses_dynamic_stack: false
    .vgpr_count:     19
    .vgpr_spill_count: 0
    .wavefront_size: 32
    .workgroup_processor_mode: 1
  - .args:
      - .offset:         0
        .size:           4
        .value_kind:     by_value
      - .offset:         4
        .size:           4
        .value_kind:     by_value
      - .offset:         8
        .size:           8
        .value_kind:     by_value
      - .offset:         16
        .size:           4
        .value_kind:     by_value
      - .actual_access:  read_only
        .address_space:  global
        .offset:         24
        .size:           8
        .value_kind:     global_buffer
      - .actual_access:  read_only
        .address_space:  global
        .offset:         32
        .size:           8
        .value_kind:     global_buffer
      - .actual_access:  read_only
        .address_space:  global
        .offset:         40
        .size:           8
        .value_kind:     global_buffer
      - .actual_access:  read_only
        .address_space:  global
        .offset:         48
        .size:           8
        .value_kind:     global_buffer
      - .actual_access:  read_only
        .address_space:  global
        .offset:         56
        .size:           8
        .value_kind:     global_buffer
      - .actual_access:  read_only
        .address_space:  global
        .offset:         64
        .size:           8
        .value_kind:     global_buffer
      - .offset:         72
        .size:           8
        .value_kind:     by_value
      - .address_space:  global
        .offset:         80
        .size:           8
        .value_kind:     global_buffer
      - .offset:         88
        .size:           4
        .value_kind:     by_value
      - .offset:         92
        .size:           1
        .value_kind:     by_value
    .group_segment_fixed_size: 5408
    .kernarg_segment_align: 8
    .kernarg_segment_size: 96
    .language:       OpenCL C
    .language_version:
      - 2
      - 0
    .max_flat_workgroup_size: 676
    .name:           _ZN9rocsparseL20bsrxmvn_17_32_kernelILj26E21rocsparse_complex_numIfEliS2_S2_S2_EEvT2_20rocsparse_direction_NS_24const_host_device_scalarIT0_EES3_PKS3_PKT1_SC_S9_PKT3_PKT4_S7_PT5_21rocsparse_index_base_b
    .private_segment_fixed_size: 0
    .sgpr_count:     22
    .sgpr_spill_count: 0
    .symbol:         _ZN9rocsparseL20bsrxmvn_17_32_kernelILj26E21rocsparse_complex_numIfEliS2_S2_S2_EEvT2_20rocsparse_direction_NS_24const_host_device_scalarIT0_EES3_PKS3_PKT1_SC_S9_PKT3_PKT4_S7_PT5_21rocsparse_index_base_b.kd
    .uniform_work_group_size: 1
    .uses_dynamic_stack: false
    .vgpr_count:     19
    .vgpr_spill_count: 0
    .wavefront_size: 32
    .workgroup_processor_mode: 1
  - .args:
      - .offset:         0
        .size:           4
        .value_kind:     by_value
      - .offset:         4
        .size:           4
        .value_kind:     by_value
      - .offset:         8
        .size:           8
        .value_kind:     by_value
      - .offset:         16
        .size:           4
        .value_kind:     by_value
      - .actual_access:  read_only
        .address_space:  global
        .offset:         24
        .size:           8
        .value_kind:     global_buffer
      - .actual_access:  read_only
        .address_space:  global
        .offset:         32
        .size:           8
        .value_kind:     global_buffer
      - .actual_access:  read_only
        .address_space:  global
        .offset:         40
        .size:           8
        .value_kind:     global_buffer
      - .actual_access:  read_only
        .address_space:  global
        .offset:         48
        .size:           8
        .value_kind:     global_buffer
      - .actual_access:  read_only
        .address_space:  global
        .offset:         56
        .size:           8
        .value_kind:     global_buffer
      - .actual_access:  read_only
        .address_space:  global
        .offset:         64
        .size:           8
        .value_kind:     global_buffer
      - .offset:         72
        .size:           8
        .value_kind:     by_value
      - .address_space:  global
        .offset:         80
        .size:           8
        .value_kind:     global_buffer
      - .offset:         88
        .size:           4
        .value_kind:     by_value
      - .offset:         92
        .size:           1
        .value_kind:     by_value
    .group_segment_fixed_size: 5832
    .kernarg_segment_align: 8
    .kernarg_segment_size: 96
    .language:       OpenCL C
    .language_version:
      - 2
      - 0
    .max_flat_workgroup_size: 729
    .name:           _ZN9rocsparseL20bsrxmvn_17_32_kernelILj27E21rocsparse_complex_numIfEliS2_S2_S2_EEvT2_20rocsparse_direction_NS_24const_host_device_scalarIT0_EES3_PKS3_PKT1_SC_S9_PKT3_PKT4_S7_PT5_21rocsparse_index_base_b
    .private_segment_fixed_size: 0
    .sgpr_count:     22
    .sgpr_spill_count: 0
    .symbol:         _ZN9rocsparseL20bsrxmvn_17_32_kernelILj27E21rocsparse_complex_numIfEliS2_S2_S2_EEvT2_20rocsparse_direction_NS_24const_host_device_scalarIT0_EES3_PKS3_PKT1_SC_S9_PKT3_PKT4_S7_PT5_21rocsparse_index_base_b.kd
    .uniform_work_group_size: 1
    .uses_dynamic_stack: false
    .vgpr_count:     19
    .vgpr_spill_count: 0
    .wavefront_size: 32
    .workgroup_processor_mode: 1
  - .args:
      - .offset:         0
        .size:           4
        .value_kind:     by_value
      - .offset:         4
        .size:           4
        .value_kind:     by_value
      - .offset:         8
        .size:           8
        .value_kind:     by_value
      - .offset:         16
        .size:           4
        .value_kind:     by_value
      - .actual_access:  read_only
        .address_space:  global
        .offset:         24
        .size:           8
        .value_kind:     global_buffer
      - .actual_access:  read_only
        .address_space:  global
        .offset:         32
        .size:           8
        .value_kind:     global_buffer
      - .actual_access:  read_only
        .address_space:  global
        .offset:         40
        .size:           8
        .value_kind:     global_buffer
      - .actual_access:  read_only
        .address_space:  global
        .offset:         48
        .size:           8
        .value_kind:     global_buffer
      - .actual_access:  read_only
        .address_space:  global
        .offset:         56
        .size:           8
        .value_kind:     global_buffer
      - .actual_access:  read_only
        .address_space:  global
        .offset:         64
        .size:           8
        .value_kind:     global_buffer
      - .offset:         72
        .size:           8
        .value_kind:     by_value
      - .address_space:  global
        .offset:         80
        .size:           8
        .value_kind:     global_buffer
      - .offset:         88
        .size:           4
        .value_kind:     by_value
      - .offset:         92
        .size:           1
        .value_kind:     by_value
    .group_segment_fixed_size: 6272
    .kernarg_segment_align: 8
    .kernarg_segment_size: 96
    .language:       OpenCL C
    .language_version:
      - 2
      - 0
    .max_flat_workgroup_size: 784
    .name:           _ZN9rocsparseL20bsrxmvn_17_32_kernelILj28E21rocsparse_complex_numIfEliS2_S2_S2_EEvT2_20rocsparse_direction_NS_24const_host_device_scalarIT0_EES3_PKS3_PKT1_SC_S9_PKT3_PKT4_S7_PT5_21rocsparse_index_base_b
    .private_segment_fixed_size: 0
    .sgpr_count:     22
    .sgpr_spill_count: 0
    .symbol:         _ZN9rocsparseL20bsrxmvn_17_32_kernelILj28E21rocsparse_complex_numIfEliS2_S2_S2_EEvT2_20rocsparse_direction_NS_24const_host_device_scalarIT0_EES3_PKS3_PKT1_SC_S9_PKT3_PKT4_S7_PT5_21rocsparse_index_base_b.kd
    .uniform_work_group_size: 1
    .uses_dynamic_stack: false
    .vgpr_count:     19
    .vgpr_spill_count: 0
    .wavefront_size: 32
    .workgroup_processor_mode: 1
  - .args:
      - .offset:         0
        .size:           4
        .value_kind:     by_value
      - .offset:         4
        .size:           4
        .value_kind:     by_value
      - .offset:         8
        .size:           8
        .value_kind:     by_value
      - .offset:         16
        .size:           4
        .value_kind:     by_value
      - .actual_access:  read_only
        .address_space:  global
        .offset:         24
        .size:           8
        .value_kind:     global_buffer
      - .actual_access:  read_only
        .address_space:  global
        .offset:         32
        .size:           8
        .value_kind:     global_buffer
      - .actual_access:  read_only
        .address_space:  global
        .offset:         40
        .size:           8
        .value_kind:     global_buffer
      - .actual_access:  read_only
        .address_space:  global
        .offset:         48
        .size:           8
        .value_kind:     global_buffer
      - .actual_access:  read_only
        .address_space:  global
        .offset:         56
        .size:           8
        .value_kind:     global_buffer
      - .actual_access:  read_only
        .address_space:  global
        .offset:         64
        .size:           8
        .value_kind:     global_buffer
      - .offset:         72
        .size:           8
        .value_kind:     by_value
      - .address_space:  global
        .offset:         80
        .size:           8
        .value_kind:     global_buffer
      - .offset:         88
        .size:           4
        .value_kind:     by_value
      - .offset:         92
        .size:           1
        .value_kind:     by_value
    .group_segment_fixed_size: 6728
    .kernarg_segment_align: 8
    .kernarg_segment_size: 96
    .language:       OpenCL C
    .language_version:
      - 2
      - 0
    .max_flat_workgroup_size: 841
    .name:           _ZN9rocsparseL20bsrxmvn_17_32_kernelILj29E21rocsparse_complex_numIfEliS2_S2_S2_EEvT2_20rocsparse_direction_NS_24const_host_device_scalarIT0_EES3_PKS3_PKT1_SC_S9_PKT3_PKT4_S7_PT5_21rocsparse_index_base_b
    .private_segment_fixed_size: 0
    .sgpr_count:     22
    .sgpr_spill_count: 0
    .symbol:         _ZN9rocsparseL20bsrxmvn_17_32_kernelILj29E21rocsparse_complex_numIfEliS2_S2_S2_EEvT2_20rocsparse_direction_NS_24const_host_device_scalarIT0_EES3_PKS3_PKT1_SC_S9_PKT3_PKT4_S7_PT5_21rocsparse_index_base_b.kd
    .uniform_work_group_size: 1
    .uses_dynamic_stack: false
    .vgpr_count:     19
    .vgpr_spill_count: 0
    .wavefront_size: 32
    .workgroup_processor_mode: 1
  - .args:
      - .offset:         0
        .size:           4
        .value_kind:     by_value
      - .offset:         4
        .size:           4
        .value_kind:     by_value
      - .offset:         8
        .size:           8
        .value_kind:     by_value
      - .offset:         16
        .size:           4
        .value_kind:     by_value
      - .actual_access:  read_only
        .address_space:  global
        .offset:         24
        .size:           8
        .value_kind:     global_buffer
      - .actual_access:  read_only
        .address_space:  global
        .offset:         32
        .size:           8
        .value_kind:     global_buffer
      - .actual_access:  read_only
        .address_space:  global
        .offset:         40
        .size:           8
        .value_kind:     global_buffer
      - .actual_access:  read_only
        .address_space:  global
        .offset:         48
        .size:           8
        .value_kind:     global_buffer
      - .actual_access:  read_only
        .address_space:  global
        .offset:         56
        .size:           8
        .value_kind:     global_buffer
      - .actual_access:  read_only
        .address_space:  global
        .offset:         64
        .size:           8
        .value_kind:     global_buffer
      - .offset:         72
        .size:           8
        .value_kind:     by_value
      - .address_space:  global
        .offset:         80
        .size:           8
        .value_kind:     global_buffer
      - .offset:         88
        .size:           4
        .value_kind:     by_value
      - .offset:         92
        .size:           1
        .value_kind:     by_value
    .group_segment_fixed_size: 7200
    .kernarg_segment_align: 8
    .kernarg_segment_size: 96
    .language:       OpenCL C
    .language_version:
      - 2
      - 0
    .max_flat_workgroup_size: 900
    .name:           _ZN9rocsparseL20bsrxmvn_17_32_kernelILj30E21rocsparse_complex_numIfEliS2_S2_S2_EEvT2_20rocsparse_direction_NS_24const_host_device_scalarIT0_EES3_PKS3_PKT1_SC_S9_PKT3_PKT4_S7_PT5_21rocsparse_index_base_b
    .private_segment_fixed_size: 0
    .sgpr_count:     22
    .sgpr_spill_count: 0
    .symbol:         _ZN9rocsparseL20bsrxmvn_17_32_kernelILj30E21rocsparse_complex_numIfEliS2_S2_S2_EEvT2_20rocsparse_direction_NS_24const_host_device_scalarIT0_EES3_PKS3_PKT1_SC_S9_PKT3_PKT4_S7_PT5_21rocsparse_index_base_b.kd
    .uniform_work_group_size: 1
    .uses_dynamic_stack: false
    .vgpr_count:     19
    .vgpr_spill_count: 0
    .wavefront_size: 32
    .workgroup_processor_mode: 1
  - .args:
      - .offset:         0
        .size:           4
        .value_kind:     by_value
      - .offset:         4
        .size:           4
        .value_kind:     by_value
      - .offset:         8
        .size:           8
        .value_kind:     by_value
      - .offset:         16
        .size:           4
        .value_kind:     by_value
      - .actual_access:  read_only
        .address_space:  global
        .offset:         24
        .size:           8
        .value_kind:     global_buffer
      - .actual_access:  read_only
        .address_space:  global
        .offset:         32
        .size:           8
        .value_kind:     global_buffer
      - .actual_access:  read_only
        .address_space:  global
        .offset:         40
        .size:           8
        .value_kind:     global_buffer
      - .actual_access:  read_only
        .address_space:  global
        .offset:         48
        .size:           8
        .value_kind:     global_buffer
      - .actual_access:  read_only
        .address_space:  global
        .offset:         56
        .size:           8
        .value_kind:     global_buffer
      - .actual_access:  read_only
        .address_space:  global
        .offset:         64
        .size:           8
        .value_kind:     global_buffer
      - .offset:         72
        .size:           8
        .value_kind:     by_value
      - .address_space:  global
        .offset:         80
        .size:           8
        .value_kind:     global_buffer
      - .offset:         88
        .size:           4
        .value_kind:     by_value
      - .offset:         92
        .size:           1
        .value_kind:     by_value
    .group_segment_fixed_size: 7688
    .kernarg_segment_align: 8
    .kernarg_segment_size: 96
    .language:       OpenCL C
    .language_version:
      - 2
      - 0
    .max_flat_workgroup_size: 961
    .name:           _ZN9rocsparseL20bsrxmvn_17_32_kernelILj31E21rocsparse_complex_numIfEliS2_S2_S2_EEvT2_20rocsparse_direction_NS_24const_host_device_scalarIT0_EES3_PKS3_PKT1_SC_S9_PKT3_PKT4_S7_PT5_21rocsparse_index_base_b
    .private_segment_fixed_size: 0
    .sgpr_count:     22
    .sgpr_spill_count: 0
    .symbol:         _ZN9rocsparseL20bsrxmvn_17_32_kernelILj31E21rocsparse_complex_numIfEliS2_S2_S2_EEvT2_20rocsparse_direction_NS_24const_host_device_scalarIT0_EES3_PKS3_PKT1_SC_S9_PKT3_PKT4_S7_PT5_21rocsparse_index_base_b.kd
    .uniform_work_group_size: 1
    .uses_dynamic_stack: false
    .vgpr_count:     19
    .vgpr_spill_count: 0
    .wavefront_size: 32
    .workgroup_processor_mode: 1
  - .args:
      - .offset:         0
        .size:           4
        .value_kind:     by_value
      - .offset:         4
        .size:           4
        .value_kind:     by_value
      - .offset:         8
        .size:           8
        .value_kind:     by_value
      - .offset:         16
        .size:           4
        .value_kind:     by_value
      - .actual_access:  read_only
        .address_space:  global
        .offset:         24
        .size:           8
        .value_kind:     global_buffer
      - .actual_access:  read_only
        .address_space:  global
        .offset:         32
        .size:           8
        .value_kind:     global_buffer
      - .actual_access:  read_only
        .address_space:  global
        .offset:         40
        .size:           8
        .value_kind:     global_buffer
      - .actual_access:  read_only
        .address_space:  global
        .offset:         48
        .size:           8
        .value_kind:     global_buffer
      - .actual_access:  read_only
        .address_space:  global
        .offset:         56
        .size:           8
        .value_kind:     global_buffer
      - .actual_access:  read_only
        .address_space:  global
        .offset:         64
        .size:           8
        .value_kind:     global_buffer
      - .offset:         72
        .size:           8
        .value_kind:     by_value
      - .address_space:  global
        .offset:         80
        .size:           8
        .value_kind:     global_buffer
      - .offset:         88
        .size:           4
        .value_kind:     by_value
      - .offset:         92
        .size:           1
        .value_kind:     by_value
    .group_segment_fixed_size: 8192
    .kernarg_segment_align: 8
    .kernarg_segment_size: 96
    .language:       OpenCL C
    .language_version:
      - 2
      - 0
    .max_flat_workgroup_size: 1024
    .name:           _ZN9rocsparseL20bsrxmvn_17_32_kernelILj32E21rocsparse_complex_numIfEliS2_S2_S2_EEvT2_20rocsparse_direction_NS_24const_host_device_scalarIT0_EES3_PKS3_PKT1_SC_S9_PKT3_PKT4_S7_PT5_21rocsparse_index_base_b
    .private_segment_fixed_size: 0
    .sgpr_count:     28
    .sgpr_spill_count: 0
    .symbol:         _ZN9rocsparseL20bsrxmvn_17_32_kernelILj32E21rocsparse_complex_numIfEliS2_S2_S2_EEvT2_20rocsparse_direction_NS_24const_host_device_scalarIT0_EES3_PKS3_PKT1_SC_S9_PKT3_PKT4_S7_PT5_21rocsparse_index_base_b.kd
    .uniform_work_group_size: 1
    .uses_dynamic_stack: false
    .vgpr_count:     15
    .vgpr_spill_count: 0
    .wavefront_size: 32
    .workgroup_processor_mode: 1
  - .args:
      - .offset:         0
        .size:           4
        .value_kind:     by_value
      - .offset:         4
        .size:           4
        .value_kind:     by_value
      - .offset:         8
        .size:           16
        .value_kind:     by_value
      - .offset:         24
        .size:           4
        .value_kind:     by_value
      - .actual_access:  read_only
        .address_space:  global
        .offset:         32
        .size:           8
        .value_kind:     global_buffer
      - .actual_access:  read_only
        .address_space:  global
        .offset:         40
        .size:           8
        .value_kind:     global_buffer
      - .actual_access:  read_only
        .address_space:  global
        .offset:         48
        .size:           8
        .value_kind:     global_buffer
      - .actual_access:  read_only
        .address_space:  global
        .offset:         56
        .size:           8
        .value_kind:     global_buffer
      - .actual_access:  read_only
        .address_space:  global
        .offset:         64
        .size:           8
        .value_kind:     global_buffer
      - .actual_access:  read_only
        .address_space:  global
        .offset:         72
        .size:           8
        .value_kind:     global_buffer
      - .offset:         80
        .size:           16
        .value_kind:     by_value
      - .address_space:  global
        .offset:         96
        .size:           8
        .value_kind:     global_buffer
      - .offset:         104
        .size:           4
        .value_kind:     by_value
      - .offset:         108
        .size:           1
        .value_kind:     by_value
    .group_segment_fixed_size: 9248
    .kernarg_segment_align: 8
    .kernarg_segment_size: 112
    .language:       OpenCL C
    .language_version:
      - 2
      - 0
    .max_flat_workgroup_size: 289
    .name:           _ZN9rocsparseL20bsrxmvn_17_32_kernelILj17E21rocsparse_complex_numIdEliS2_S2_S2_EEvT2_20rocsparse_direction_NS_24const_host_device_scalarIT0_EES3_PKS3_PKT1_SC_S9_PKT3_PKT4_S7_PT5_21rocsparse_index_base_b
    .private_segment_fixed_size: 0
    .sgpr_count:     22
    .sgpr_spill_count: 0
    .symbol:         _ZN9rocsparseL20bsrxmvn_17_32_kernelILj17E21rocsparse_complex_numIdEliS2_S2_S2_EEvT2_20rocsparse_direction_NS_24const_host_device_scalarIT0_EES3_PKS3_PKT1_SC_S9_PKT3_PKT4_S7_PT5_21rocsparse_index_base_b.kd
    .uniform_work_group_size: 1
    .uses_dynamic_stack: false
    .vgpr_count:     29
    .vgpr_spill_count: 0
    .wavefront_size: 32
    .workgroup_processor_mode: 1
  - .args:
      - .offset:         0
        .size:           4
        .value_kind:     by_value
      - .offset:         4
        .size:           4
        .value_kind:     by_value
      - .offset:         8
        .size:           16
        .value_kind:     by_value
      - .offset:         24
        .size:           4
        .value_kind:     by_value
      - .actual_access:  read_only
        .address_space:  global
        .offset:         32
        .size:           8
        .value_kind:     global_buffer
      - .actual_access:  read_only
        .address_space:  global
        .offset:         40
        .size:           8
        .value_kind:     global_buffer
      - .actual_access:  read_only
        .address_space:  global
        .offset:         48
        .size:           8
        .value_kind:     global_buffer
      - .actual_access:  read_only
        .address_space:  global
        .offset:         56
        .size:           8
        .value_kind:     global_buffer
      - .actual_access:  read_only
        .address_space:  global
        .offset:         64
        .size:           8
        .value_kind:     global_buffer
      - .actual_access:  read_only
        .address_space:  global
        .offset:         72
        .size:           8
        .value_kind:     global_buffer
      - .offset:         80
        .size:           16
        .value_kind:     by_value
      - .address_space:  global
        .offset:         96
        .size:           8
        .value_kind:     global_buffer
      - .offset:         104
        .size:           4
        .value_kind:     by_value
      - .offset:         108
        .size:           1
        .value_kind:     by_value
    .group_segment_fixed_size: 10368
    .kernarg_segment_align: 8
    .kernarg_segment_size: 112
    .language:       OpenCL C
    .language_version:
      - 2
      - 0
    .max_flat_workgroup_size: 324
    .name:           _ZN9rocsparseL20bsrxmvn_17_32_kernelILj18E21rocsparse_complex_numIdEliS2_S2_S2_EEvT2_20rocsparse_direction_NS_24const_host_device_scalarIT0_EES3_PKS3_PKT1_SC_S9_PKT3_PKT4_S7_PT5_21rocsparse_index_base_b
    .private_segment_fixed_size: 0
    .sgpr_count:     22
    .sgpr_spill_count: 0
    .symbol:         _ZN9rocsparseL20bsrxmvn_17_32_kernelILj18E21rocsparse_complex_numIdEliS2_S2_S2_EEvT2_20rocsparse_direction_NS_24const_host_device_scalarIT0_EES3_PKS3_PKT1_SC_S9_PKT3_PKT4_S7_PT5_21rocsparse_index_base_b.kd
    .uniform_work_group_size: 1
    .uses_dynamic_stack: false
    .vgpr_count:     29
    .vgpr_spill_count: 0
    .wavefront_size: 32
    .workgroup_processor_mode: 1
  - .args:
      - .offset:         0
        .size:           4
        .value_kind:     by_value
      - .offset:         4
        .size:           4
        .value_kind:     by_value
      - .offset:         8
        .size:           16
        .value_kind:     by_value
      - .offset:         24
        .size:           4
        .value_kind:     by_value
      - .actual_access:  read_only
        .address_space:  global
        .offset:         32
        .size:           8
        .value_kind:     global_buffer
      - .actual_access:  read_only
        .address_space:  global
        .offset:         40
        .size:           8
        .value_kind:     global_buffer
      - .actual_access:  read_only
        .address_space:  global
        .offset:         48
        .size:           8
        .value_kind:     global_buffer
      - .actual_access:  read_only
        .address_space:  global
        .offset:         56
        .size:           8
        .value_kind:     global_buffer
      - .actual_access:  read_only
        .address_space:  global
        .offset:         64
        .size:           8
        .value_kind:     global_buffer
      - .actual_access:  read_only
        .address_space:  global
        .offset:         72
        .size:           8
        .value_kind:     global_buffer
      - .offset:         80
        .size:           16
        .value_kind:     by_value
      - .address_space:  global
        .offset:         96
        .size:           8
        .value_kind:     global_buffer
      - .offset:         104
        .size:           4
        .value_kind:     by_value
      - .offset:         108
        .size:           1
        .value_kind:     by_value
    .group_segment_fixed_size: 11552
    .kernarg_segment_align: 8
    .kernarg_segment_size: 112
    .language:       OpenCL C
    .language_version:
      - 2
      - 0
    .max_flat_workgroup_size: 361
    .name:           _ZN9rocsparseL20bsrxmvn_17_32_kernelILj19E21rocsparse_complex_numIdEliS2_S2_S2_EEvT2_20rocsparse_direction_NS_24const_host_device_scalarIT0_EES3_PKS3_PKT1_SC_S9_PKT3_PKT4_S7_PT5_21rocsparse_index_base_b
    .private_segment_fixed_size: 0
    .sgpr_count:     22
    .sgpr_spill_count: 0
    .symbol:         _ZN9rocsparseL20bsrxmvn_17_32_kernelILj19E21rocsparse_complex_numIdEliS2_S2_S2_EEvT2_20rocsparse_direction_NS_24const_host_device_scalarIT0_EES3_PKS3_PKT1_SC_S9_PKT3_PKT4_S7_PT5_21rocsparse_index_base_b.kd
    .uniform_work_group_size: 1
    .uses_dynamic_stack: false
    .vgpr_count:     29
    .vgpr_spill_count: 0
    .wavefront_size: 32
    .workgroup_processor_mode: 1
  - .args:
      - .offset:         0
        .size:           4
        .value_kind:     by_value
      - .offset:         4
        .size:           4
        .value_kind:     by_value
      - .offset:         8
        .size:           16
        .value_kind:     by_value
      - .offset:         24
        .size:           4
        .value_kind:     by_value
      - .actual_access:  read_only
        .address_space:  global
        .offset:         32
        .size:           8
        .value_kind:     global_buffer
      - .actual_access:  read_only
        .address_space:  global
        .offset:         40
        .size:           8
        .value_kind:     global_buffer
      - .actual_access:  read_only
        .address_space:  global
        .offset:         48
        .size:           8
        .value_kind:     global_buffer
      - .actual_access:  read_only
        .address_space:  global
        .offset:         56
        .size:           8
        .value_kind:     global_buffer
      - .actual_access:  read_only
        .address_space:  global
        .offset:         64
        .size:           8
        .value_kind:     global_buffer
      - .actual_access:  read_only
        .address_space:  global
        .offset:         72
        .size:           8
        .value_kind:     global_buffer
      - .offset:         80
        .size:           16
        .value_kind:     by_value
      - .address_space:  global
        .offset:         96
        .size:           8
        .value_kind:     global_buffer
      - .offset:         104
        .size:           4
        .value_kind:     by_value
      - .offset:         108
        .size:           1
        .value_kind:     by_value
    .group_segment_fixed_size: 12800
    .kernarg_segment_align: 8
    .kernarg_segment_size: 112
    .language:       OpenCL C
    .language_version:
      - 2
      - 0
    .max_flat_workgroup_size: 400
    .name:           _ZN9rocsparseL20bsrxmvn_17_32_kernelILj20E21rocsparse_complex_numIdEliS2_S2_S2_EEvT2_20rocsparse_direction_NS_24const_host_device_scalarIT0_EES3_PKS3_PKT1_SC_S9_PKT3_PKT4_S7_PT5_21rocsparse_index_base_b
    .private_segment_fixed_size: 0
    .sgpr_count:     22
    .sgpr_spill_count: 0
    .symbol:         _ZN9rocsparseL20bsrxmvn_17_32_kernelILj20E21rocsparse_complex_numIdEliS2_S2_S2_EEvT2_20rocsparse_direction_NS_24const_host_device_scalarIT0_EES3_PKS3_PKT1_SC_S9_PKT3_PKT4_S7_PT5_21rocsparse_index_base_b.kd
    .uniform_work_group_size: 1
    .uses_dynamic_stack: false
    .vgpr_count:     29
    .vgpr_spill_count: 0
    .wavefront_size: 32
    .workgroup_processor_mode: 1
  - .args:
      - .offset:         0
        .size:           4
        .value_kind:     by_value
      - .offset:         4
        .size:           4
        .value_kind:     by_value
      - .offset:         8
        .size:           16
        .value_kind:     by_value
      - .offset:         24
        .size:           4
        .value_kind:     by_value
      - .actual_access:  read_only
        .address_space:  global
        .offset:         32
        .size:           8
        .value_kind:     global_buffer
      - .actual_access:  read_only
        .address_space:  global
        .offset:         40
        .size:           8
        .value_kind:     global_buffer
      - .actual_access:  read_only
        .address_space:  global
        .offset:         48
        .size:           8
        .value_kind:     global_buffer
      - .actual_access:  read_only
        .address_space:  global
        .offset:         56
        .size:           8
        .value_kind:     global_buffer
      - .actual_access:  read_only
        .address_space:  global
        .offset:         64
        .size:           8
        .value_kind:     global_buffer
      - .actual_access:  read_only
        .address_space:  global
        .offset:         72
        .size:           8
        .value_kind:     global_buffer
      - .offset:         80
        .size:           16
        .value_kind:     by_value
      - .address_space:  global
        .offset:         96
        .size:           8
        .value_kind:     global_buffer
      - .offset:         104
        .size:           4
        .value_kind:     by_value
      - .offset:         108
        .size:           1
        .value_kind:     by_value
    .group_segment_fixed_size: 14112
    .kernarg_segment_align: 8
    .kernarg_segment_size: 112
    .language:       OpenCL C
    .language_version:
      - 2
      - 0
    .max_flat_workgroup_size: 441
    .name:           _ZN9rocsparseL20bsrxmvn_17_32_kernelILj21E21rocsparse_complex_numIdEliS2_S2_S2_EEvT2_20rocsparse_direction_NS_24const_host_device_scalarIT0_EES3_PKS3_PKT1_SC_S9_PKT3_PKT4_S7_PT5_21rocsparse_index_base_b
    .private_segment_fixed_size: 0
    .sgpr_count:     22
    .sgpr_spill_count: 0
    .symbol:         _ZN9rocsparseL20bsrxmvn_17_32_kernelILj21E21rocsparse_complex_numIdEliS2_S2_S2_EEvT2_20rocsparse_direction_NS_24const_host_device_scalarIT0_EES3_PKS3_PKT1_SC_S9_PKT3_PKT4_S7_PT5_21rocsparse_index_base_b.kd
    .uniform_work_group_size: 1
    .uses_dynamic_stack: false
    .vgpr_count:     29
    .vgpr_spill_count: 0
    .wavefront_size: 32
    .workgroup_processor_mode: 1
  - .args:
      - .offset:         0
        .size:           4
        .value_kind:     by_value
      - .offset:         4
        .size:           4
        .value_kind:     by_value
      - .offset:         8
        .size:           16
        .value_kind:     by_value
      - .offset:         24
        .size:           4
        .value_kind:     by_value
      - .actual_access:  read_only
        .address_space:  global
        .offset:         32
        .size:           8
        .value_kind:     global_buffer
      - .actual_access:  read_only
        .address_space:  global
        .offset:         40
        .size:           8
        .value_kind:     global_buffer
      - .actual_access:  read_only
        .address_space:  global
        .offset:         48
        .size:           8
        .value_kind:     global_buffer
      - .actual_access:  read_only
        .address_space:  global
        .offset:         56
        .size:           8
        .value_kind:     global_buffer
      - .actual_access:  read_only
        .address_space:  global
        .offset:         64
        .size:           8
        .value_kind:     global_buffer
      - .actual_access:  read_only
        .address_space:  global
        .offset:         72
        .size:           8
        .value_kind:     global_buffer
      - .offset:         80
        .size:           16
        .value_kind:     by_value
      - .address_space:  global
        .offset:         96
        .size:           8
        .value_kind:     global_buffer
      - .offset:         104
        .size:           4
        .value_kind:     by_value
      - .offset:         108
        .size:           1
        .value_kind:     by_value
    .group_segment_fixed_size: 15488
    .kernarg_segment_align: 8
    .kernarg_segment_size: 112
    .language:       OpenCL C
    .language_version:
      - 2
      - 0
    .max_flat_workgroup_size: 484
    .name:           _ZN9rocsparseL20bsrxmvn_17_32_kernelILj22E21rocsparse_complex_numIdEliS2_S2_S2_EEvT2_20rocsparse_direction_NS_24const_host_device_scalarIT0_EES3_PKS3_PKT1_SC_S9_PKT3_PKT4_S7_PT5_21rocsparse_index_base_b
    .private_segment_fixed_size: 0
    .sgpr_count:     22
    .sgpr_spill_count: 0
    .symbol:         _ZN9rocsparseL20bsrxmvn_17_32_kernelILj22E21rocsparse_complex_numIdEliS2_S2_S2_EEvT2_20rocsparse_direction_NS_24const_host_device_scalarIT0_EES3_PKS3_PKT1_SC_S9_PKT3_PKT4_S7_PT5_21rocsparse_index_base_b.kd
    .uniform_work_group_size: 1
    .uses_dynamic_stack: false
    .vgpr_count:     29
    .vgpr_spill_count: 0
    .wavefront_size: 32
    .workgroup_processor_mode: 1
  - .args:
      - .offset:         0
        .size:           4
        .value_kind:     by_value
      - .offset:         4
        .size:           4
        .value_kind:     by_value
      - .offset:         8
        .size:           16
        .value_kind:     by_value
      - .offset:         24
        .size:           4
        .value_kind:     by_value
      - .actual_access:  read_only
        .address_space:  global
        .offset:         32
        .size:           8
        .value_kind:     global_buffer
      - .actual_access:  read_only
        .address_space:  global
        .offset:         40
        .size:           8
        .value_kind:     global_buffer
      - .actual_access:  read_only
        .address_space:  global
        .offset:         48
        .size:           8
        .value_kind:     global_buffer
      - .actual_access:  read_only
        .address_space:  global
        .offset:         56
        .size:           8
        .value_kind:     global_buffer
      - .actual_access:  read_only
        .address_space:  global
        .offset:         64
        .size:           8
        .value_kind:     global_buffer
      - .actual_access:  read_only
        .address_space:  global
        .offset:         72
        .size:           8
        .value_kind:     global_buffer
      - .offset:         80
        .size:           16
        .value_kind:     by_value
      - .address_space:  global
        .offset:         96
        .size:           8
        .value_kind:     global_buffer
      - .offset:         104
        .size:           4
        .value_kind:     by_value
      - .offset:         108
        .size:           1
        .value_kind:     by_value
    .group_segment_fixed_size: 16928
    .kernarg_segment_align: 8
    .kernarg_segment_size: 112
    .language:       OpenCL C
    .language_version:
      - 2
      - 0
    .max_flat_workgroup_size: 529
    .name:           _ZN9rocsparseL20bsrxmvn_17_32_kernelILj23E21rocsparse_complex_numIdEliS2_S2_S2_EEvT2_20rocsparse_direction_NS_24const_host_device_scalarIT0_EES3_PKS3_PKT1_SC_S9_PKT3_PKT4_S7_PT5_21rocsparse_index_base_b
    .private_segment_fixed_size: 0
    .sgpr_count:     24
    .sgpr_spill_count: 0
    .symbol:         _ZN9rocsparseL20bsrxmvn_17_32_kernelILj23E21rocsparse_complex_numIdEliS2_S2_S2_EEvT2_20rocsparse_direction_NS_24const_host_device_scalarIT0_EES3_PKS3_PKT1_SC_S9_PKT3_PKT4_S7_PT5_21rocsparse_index_base_b.kd
    .uniform_work_group_size: 1
    .uses_dynamic_stack: false
    .vgpr_count:     26
    .vgpr_spill_count: 0
    .wavefront_size: 32
    .workgroup_processor_mode: 1
  - .args:
      - .offset:         0
        .size:           4
        .value_kind:     by_value
      - .offset:         4
        .size:           4
        .value_kind:     by_value
      - .offset:         8
        .size:           16
        .value_kind:     by_value
      - .offset:         24
        .size:           4
        .value_kind:     by_value
      - .actual_access:  read_only
        .address_space:  global
        .offset:         32
        .size:           8
        .value_kind:     global_buffer
      - .actual_access:  read_only
        .address_space:  global
        .offset:         40
        .size:           8
        .value_kind:     global_buffer
      - .actual_access:  read_only
        .address_space:  global
        .offset:         48
        .size:           8
        .value_kind:     global_buffer
      - .actual_access:  read_only
        .address_space:  global
        .offset:         56
        .size:           8
        .value_kind:     global_buffer
      - .actual_access:  read_only
        .address_space:  global
        .offset:         64
        .size:           8
        .value_kind:     global_buffer
      - .actual_access:  read_only
        .address_space:  global
        .offset:         72
        .size:           8
        .value_kind:     global_buffer
      - .offset:         80
        .size:           16
        .value_kind:     by_value
      - .address_space:  global
        .offset:         96
        .size:           8
        .value_kind:     global_buffer
      - .offset:         104
        .size:           4
        .value_kind:     by_value
      - .offset:         108
        .size:           1
        .value_kind:     by_value
    .group_segment_fixed_size: 18432
    .kernarg_segment_align: 8
    .kernarg_segment_size: 112
    .language:       OpenCL C
    .language_version:
      - 2
      - 0
    .max_flat_workgroup_size: 576
    .name:           _ZN9rocsparseL20bsrxmvn_17_32_kernelILj24E21rocsparse_complex_numIdEliS2_S2_S2_EEvT2_20rocsparse_direction_NS_24const_host_device_scalarIT0_EES3_PKS3_PKT1_SC_S9_PKT3_PKT4_S7_PT5_21rocsparse_index_base_b
    .private_segment_fixed_size: 0
    .sgpr_count:     24
    .sgpr_spill_count: 0
    .symbol:         _ZN9rocsparseL20bsrxmvn_17_32_kernelILj24E21rocsparse_complex_numIdEliS2_S2_S2_EEvT2_20rocsparse_direction_NS_24const_host_device_scalarIT0_EES3_PKS3_PKT1_SC_S9_PKT3_PKT4_S7_PT5_21rocsparse_index_base_b.kd
    .uniform_work_group_size: 1
    .uses_dynamic_stack: false
    .vgpr_count:     26
    .vgpr_spill_count: 0
    .wavefront_size: 32
    .workgroup_processor_mode: 1
  - .args:
      - .offset:         0
        .size:           4
        .value_kind:     by_value
      - .offset:         4
        .size:           4
        .value_kind:     by_value
      - .offset:         8
        .size:           16
        .value_kind:     by_value
      - .offset:         24
        .size:           4
        .value_kind:     by_value
      - .actual_access:  read_only
        .address_space:  global
        .offset:         32
        .size:           8
        .value_kind:     global_buffer
      - .actual_access:  read_only
        .address_space:  global
        .offset:         40
        .size:           8
        .value_kind:     global_buffer
      - .actual_access:  read_only
        .address_space:  global
        .offset:         48
        .size:           8
        .value_kind:     global_buffer
      - .actual_access:  read_only
        .address_space:  global
        .offset:         56
        .size:           8
        .value_kind:     global_buffer
      - .actual_access:  read_only
        .address_space:  global
        .offset:         64
        .size:           8
        .value_kind:     global_buffer
      - .actual_access:  read_only
        .address_space:  global
        .offset:         72
        .size:           8
        .value_kind:     global_buffer
      - .offset:         80
        .size:           16
        .value_kind:     by_value
      - .address_space:  global
        .offset:         96
        .size:           8
        .value_kind:     global_buffer
      - .offset:         104
        .size:           4
        .value_kind:     by_value
      - .offset:         108
        .size:           1
        .value_kind:     by_value
    .group_segment_fixed_size: 20000
    .kernarg_segment_align: 8
    .kernarg_segment_size: 112
    .language:       OpenCL C
    .language_version:
      - 2
      - 0
    .max_flat_workgroup_size: 625
    .name:           _ZN9rocsparseL20bsrxmvn_17_32_kernelILj25E21rocsparse_complex_numIdEliS2_S2_S2_EEvT2_20rocsparse_direction_NS_24const_host_device_scalarIT0_EES3_PKS3_PKT1_SC_S9_PKT3_PKT4_S7_PT5_21rocsparse_index_base_b
    .private_segment_fixed_size: 0
    .sgpr_count:     24
    .sgpr_spill_count: 0
    .symbol:         _ZN9rocsparseL20bsrxmvn_17_32_kernelILj25E21rocsparse_complex_numIdEliS2_S2_S2_EEvT2_20rocsparse_direction_NS_24const_host_device_scalarIT0_EES3_PKS3_PKT1_SC_S9_PKT3_PKT4_S7_PT5_21rocsparse_index_base_b.kd
    .uniform_work_group_size: 1
    .uses_dynamic_stack: false
    .vgpr_count:     26
    .vgpr_spill_count: 0
    .wavefront_size: 32
    .workgroup_processor_mode: 1
  - .args:
      - .offset:         0
        .size:           4
        .value_kind:     by_value
      - .offset:         4
        .size:           4
        .value_kind:     by_value
      - .offset:         8
        .size:           16
        .value_kind:     by_value
      - .offset:         24
        .size:           4
        .value_kind:     by_value
      - .actual_access:  read_only
        .address_space:  global
        .offset:         32
        .size:           8
        .value_kind:     global_buffer
      - .actual_access:  read_only
        .address_space:  global
        .offset:         40
        .size:           8
        .value_kind:     global_buffer
      - .actual_access:  read_only
        .address_space:  global
        .offset:         48
        .size:           8
        .value_kind:     global_buffer
      - .actual_access:  read_only
        .address_space:  global
        .offset:         56
        .size:           8
        .value_kind:     global_buffer
      - .actual_access:  read_only
        .address_space:  global
        .offset:         64
        .size:           8
        .value_kind:     global_buffer
      - .actual_access:  read_only
        .address_space:  global
        .offset:         72
        .size:           8
        .value_kind:     global_buffer
      - .offset:         80
        .size:           16
        .value_kind:     by_value
      - .address_space:  global
        .offset:         96
        .size:           8
        .value_kind:     global_buffer
      - .offset:         104
        .size:           4
        .value_kind:     by_value
      - .offset:         108
        .size:           1
        .value_kind:     by_value
    .group_segment_fixed_size: 21632
    .kernarg_segment_align: 8
    .kernarg_segment_size: 112
    .language:       OpenCL C
    .language_version:
      - 2
      - 0
    .max_flat_workgroup_size: 676
    .name:           _ZN9rocsparseL20bsrxmvn_17_32_kernelILj26E21rocsparse_complex_numIdEliS2_S2_S2_EEvT2_20rocsparse_direction_NS_24const_host_device_scalarIT0_EES3_PKS3_PKT1_SC_S9_PKT3_PKT4_S7_PT5_21rocsparse_index_base_b
    .private_segment_fixed_size: 0
    .sgpr_count:     24
    .sgpr_spill_count: 0
    .symbol:         _ZN9rocsparseL20bsrxmvn_17_32_kernelILj26E21rocsparse_complex_numIdEliS2_S2_S2_EEvT2_20rocsparse_direction_NS_24const_host_device_scalarIT0_EES3_PKS3_PKT1_SC_S9_PKT3_PKT4_S7_PT5_21rocsparse_index_base_b.kd
    .uniform_work_group_size: 1
    .uses_dynamic_stack: false
    .vgpr_count:     26
    .vgpr_spill_count: 0
    .wavefront_size: 32
    .workgroup_processor_mode: 1
  - .args:
      - .offset:         0
        .size:           4
        .value_kind:     by_value
      - .offset:         4
        .size:           4
        .value_kind:     by_value
      - .offset:         8
        .size:           16
        .value_kind:     by_value
      - .offset:         24
        .size:           4
        .value_kind:     by_value
      - .actual_access:  read_only
        .address_space:  global
        .offset:         32
        .size:           8
        .value_kind:     global_buffer
      - .actual_access:  read_only
        .address_space:  global
        .offset:         40
        .size:           8
        .value_kind:     global_buffer
      - .actual_access:  read_only
        .address_space:  global
        .offset:         48
        .size:           8
        .value_kind:     global_buffer
      - .actual_access:  read_only
        .address_space:  global
        .offset:         56
        .size:           8
        .value_kind:     global_buffer
      - .actual_access:  read_only
        .address_space:  global
        .offset:         64
        .size:           8
        .value_kind:     global_buffer
      - .actual_access:  read_only
        .address_space:  global
        .offset:         72
        .size:           8
        .value_kind:     global_buffer
      - .offset:         80
        .size:           16
        .value_kind:     by_value
      - .address_space:  global
        .offset:         96
        .size:           8
        .value_kind:     global_buffer
      - .offset:         104
        .size:           4
        .value_kind:     by_value
      - .offset:         108
        .size:           1
        .value_kind:     by_value
    .group_segment_fixed_size: 23328
    .kernarg_segment_align: 8
    .kernarg_segment_size: 112
    .language:       OpenCL C
    .language_version:
      - 2
      - 0
    .max_flat_workgroup_size: 729
    .name:           _ZN9rocsparseL20bsrxmvn_17_32_kernelILj27E21rocsparse_complex_numIdEliS2_S2_S2_EEvT2_20rocsparse_direction_NS_24const_host_device_scalarIT0_EES3_PKS3_PKT1_SC_S9_PKT3_PKT4_S7_PT5_21rocsparse_index_base_b
    .private_segment_fixed_size: 0
    .sgpr_count:     24
    .sgpr_spill_count: 0
    .symbol:         _ZN9rocsparseL20bsrxmvn_17_32_kernelILj27E21rocsparse_complex_numIdEliS2_S2_S2_EEvT2_20rocsparse_direction_NS_24const_host_device_scalarIT0_EES3_PKS3_PKT1_SC_S9_PKT3_PKT4_S7_PT5_21rocsparse_index_base_b.kd
    .uniform_work_group_size: 1
    .uses_dynamic_stack: false
    .vgpr_count:     26
    .vgpr_spill_count: 0
    .wavefront_size: 32
    .workgroup_processor_mode: 1
  - .args:
      - .offset:         0
        .size:           4
        .value_kind:     by_value
      - .offset:         4
        .size:           4
        .value_kind:     by_value
      - .offset:         8
        .size:           16
        .value_kind:     by_value
      - .offset:         24
        .size:           4
        .value_kind:     by_value
      - .actual_access:  read_only
        .address_space:  global
        .offset:         32
        .size:           8
        .value_kind:     global_buffer
      - .actual_access:  read_only
        .address_space:  global
        .offset:         40
        .size:           8
        .value_kind:     global_buffer
      - .actual_access:  read_only
        .address_space:  global
        .offset:         48
        .size:           8
        .value_kind:     global_buffer
      - .actual_access:  read_only
        .address_space:  global
        .offset:         56
        .size:           8
        .value_kind:     global_buffer
      - .actual_access:  read_only
        .address_space:  global
        .offset:         64
        .size:           8
        .value_kind:     global_buffer
      - .actual_access:  read_only
        .address_space:  global
        .offset:         72
        .size:           8
        .value_kind:     global_buffer
      - .offset:         80
        .size:           16
        .value_kind:     by_value
      - .address_space:  global
        .offset:         96
        .size:           8
        .value_kind:     global_buffer
      - .offset:         104
        .size:           4
        .value_kind:     by_value
      - .offset:         108
        .size:           1
        .value_kind:     by_value
    .group_segment_fixed_size: 25088
    .kernarg_segment_align: 8
    .kernarg_segment_size: 112
    .language:       OpenCL C
    .language_version:
      - 2
      - 0
    .max_flat_workgroup_size: 784
    .name:           _ZN9rocsparseL20bsrxmvn_17_32_kernelILj28E21rocsparse_complex_numIdEliS2_S2_S2_EEvT2_20rocsparse_direction_NS_24const_host_device_scalarIT0_EES3_PKS3_PKT1_SC_S9_PKT3_PKT4_S7_PT5_21rocsparse_index_base_b
    .private_segment_fixed_size: 0
    .sgpr_count:     24
    .sgpr_spill_count: 0
    .symbol:         _ZN9rocsparseL20bsrxmvn_17_32_kernelILj28E21rocsparse_complex_numIdEliS2_S2_S2_EEvT2_20rocsparse_direction_NS_24const_host_device_scalarIT0_EES3_PKS3_PKT1_SC_S9_PKT3_PKT4_S7_PT5_21rocsparse_index_base_b.kd
    .uniform_work_group_size: 1
    .uses_dynamic_stack: false
    .vgpr_count:     26
    .vgpr_spill_count: 0
    .wavefront_size: 32
    .workgroup_processor_mode: 1
  - .args:
      - .offset:         0
        .size:           4
        .value_kind:     by_value
      - .offset:         4
        .size:           4
        .value_kind:     by_value
      - .offset:         8
        .size:           16
        .value_kind:     by_value
      - .offset:         24
        .size:           4
        .value_kind:     by_value
      - .actual_access:  read_only
        .address_space:  global
        .offset:         32
        .size:           8
        .value_kind:     global_buffer
      - .actual_access:  read_only
        .address_space:  global
        .offset:         40
        .size:           8
        .value_kind:     global_buffer
      - .actual_access:  read_only
        .address_space:  global
        .offset:         48
        .size:           8
        .value_kind:     global_buffer
      - .actual_access:  read_only
        .address_space:  global
        .offset:         56
        .size:           8
        .value_kind:     global_buffer
      - .actual_access:  read_only
        .address_space:  global
        .offset:         64
        .size:           8
        .value_kind:     global_buffer
      - .actual_access:  read_only
        .address_space:  global
        .offset:         72
        .size:           8
        .value_kind:     global_buffer
      - .offset:         80
        .size:           16
        .value_kind:     by_value
      - .address_space:  global
        .offset:         96
        .size:           8
        .value_kind:     global_buffer
      - .offset:         104
        .size:           4
        .value_kind:     by_value
      - .offset:         108
        .size:           1
        .value_kind:     by_value
    .group_segment_fixed_size: 26912
    .kernarg_segment_align: 8
    .kernarg_segment_size: 112
    .language:       OpenCL C
    .language_version:
      - 2
      - 0
    .max_flat_workgroup_size: 841
    .name:           _ZN9rocsparseL20bsrxmvn_17_32_kernelILj29E21rocsparse_complex_numIdEliS2_S2_S2_EEvT2_20rocsparse_direction_NS_24const_host_device_scalarIT0_EES3_PKS3_PKT1_SC_S9_PKT3_PKT4_S7_PT5_21rocsparse_index_base_b
    .private_segment_fixed_size: 0
    .sgpr_count:     24
    .sgpr_spill_count: 0
    .symbol:         _ZN9rocsparseL20bsrxmvn_17_32_kernelILj29E21rocsparse_complex_numIdEliS2_S2_S2_EEvT2_20rocsparse_direction_NS_24const_host_device_scalarIT0_EES3_PKS3_PKT1_SC_S9_PKT3_PKT4_S7_PT5_21rocsparse_index_base_b.kd
    .uniform_work_group_size: 1
    .uses_dynamic_stack: false
    .vgpr_count:     26
    .vgpr_spill_count: 0
    .wavefront_size: 32
    .workgroup_processor_mode: 1
  - .args:
      - .offset:         0
        .size:           4
        .value_kind:     by_value
      - .offset:         4
        .size:           4
        .value_kind:     by_value
      - .offset:         8
        .size:           16
        .value_kind:     by_value
      - .offset:         24
        .size:           4
        .value_kind:     by_value
      - .actual_access:  read_only
        .address_space:  global
        .offset:         32
        .size:           8
        .value_kind:     global_buffer
      - .actual_access:  read_only
        .address_space:  global
        .offset:         40
        .size:           8
        .value_kind:     global_buffer
      - .actual_access:  read_only
        .address_space:  global
        .offset:         48
        .size:           8
        .value_kind:     global_buffer
      - .actual_access:  read_only
        .address_space:  global
        .offset:         56
        .size:           8
        .value_kind:     global_buffer
      - .actual_access:  read_only
        .address_space:  global
        .offset:         64
        .size:           8
        .value_kind:     global_buffer
      - .actual_access:  read_only
        .address_space:  global
        .offset:         72
        .size:           8
        .value_kind:     global_buffer
      - .offset:         80
        .size:           16
        .value_kind:     by_value
      - .address_space:  global
        .offset:         96
        .size:           8
        .value_kind:     global_buffer
      - .offset:         104
        .size:           4
        .value_kind:     by_value
      - .offset:         108
        .size:           1
        .value_kind:     by_value
    .group_segment_fixed_size: 28800
    .kernarg_segment_align: 8
    .kernarg_segment_size: 112
    .language:       OpenCL C
    .language_version:
      - 2
      - 0
    .max_flat_workgroup_size: 900
    .name:           _ZN9rocsparseL20bsrxmvn_17_32_kernelILj30E21rocsparse_complex_numIdEliS2_S2_S2_EEvT2_20rocsparse_direction_NS_24const_host_device_scalarIT0_EES3_PKS3_PKT1_SC_S9_PKT3_PKT4_S7_PT5_21rocsparse_index_base_b
    .private_segment_fixed_size: 0
    .sgpr_count:     24
    .sgpr_spill_count: 0
    .symbol:         _ZN9rocsparseL20bsrxmvn_17_32_kernelILj30E21rocsparse_complex_numIdEliS2_S2_S2_EEvT2_20rocsparse_direction_NS_24const_host_device_scalarIT0_EES3_PKS3_PKT1_SC_S9_PKT3_PKT4_S7_PT5_21rocsparse_index_base_b.kd
    .uniform_work_group_size: 1
    .uses_dynamic_stack: false
    .vgpr_count:     26
    .vgpr_spill_count: 0
    .wavefront_size: 32
    .workgroup_processor_mode: 1
  - .args:
      - .offset:         0
        .size:           4
        .value_kind:     by_value
      - .offset:         4
        .size:           4
        .value_kind:     by_value
      - .offset:         8
        .size:           16
        .value_kind:     by_value
      - .offset:         24
        .size:           4
        .value_kind:     by_value
      - .actual_access:  read_only
        .address_space:  global
        .offset:         32
        .size:           8
        .value_kind:     global_buffer
      - .actual_access:  read_only
        .address_space:  global
        .offset:         40
        .size:           8
        .value_kind:     global_buffer
      - .actual_access:  read_only
        .address_space:  global
        .offset:         48
        .size:           8
        .value_kind:     global_buffer
      - .actual_access:  read_only
        .address_space:  global
        .offset:         56
        .size:           8
        .value_kind:     global_buffer
      - .actual_access:  read_only
        .address_space:  global
        .offset:         64
        .size:           8
        .value_kind:     global_buffer
      - .actual_access:  read_only
        .address_space:  global
        .offset:         72
        .size:           8
        .value_kind:     global_buffer
      - .offset:         80
        .size:           16
        .value_kind:     by_value
      - .address_space:  global
        .offset:         96
        .size:           8
        .value_kind:     global_buffer
      - .offset:         104
        .size:           4
        .value_kind:     by_value
      - .offset:         108
        .size:           1
        .value_kind:     by_value
    .group_segment_fixed_size: 30752
    .kernarg_segment_align: 8
    .kernarg_segment_size: 112
    .language:       OpenCL C
    .language_version:
      - 2
      - 0
    .max_flat_workgroup_size: 961
    .name:           _ZN9rocsparseL20bsrxmvn_17_32_kernelILj31E21rocsparse_complex_numIdEliS2_S2_S2_EEvT2_20rocsparse_direction_NS_24const_host_device_scalarIT0_EES3_PKS3_PKT1_SC_S9_PKT3_PKT4_S7_PT5_21rocsparse_index_base_b
    .private_segment_fixed_size: 0
    .sgpr_count:     24
    .sgpr_spill_count: 0
    .symbol:         _ZN9rocsparseL20bsrxmvn_17_32_kernelILj31E21rocsparse_complex_numIdEliS2_S2_S2_EEvT2_20rocsparse_direction_NS_24const_host_device_scalarIT0_EES3_PKS3_PKT1_SC_S9_PKT3_PKT4_S7_PT5_21rocsparse_index_base_b.kd
    .uniform_work_group_size: 1
    .uses_dynamic_stack: false
    .vgpr_count:     26
    .vgpr_spill_count: 0
    .wavefront_size: 32
    .workgroup_processor_mode: 1
  - .args:
      - .offset:         0
        .size:           4
        .value_kind:     by_value
      - .offset:         4
        .size:           4
        .value_kind:     by_value
      - .offset:         8
        .size:           16
        .value_kind:     by_value
      - .offset:         24
        .size:           4
        .value_kind:     by_value
      - .actual_access:  read_only
        .address_space:  global
        .offset:         32
        .size:           8
        .value_kind:     global_buffer
      - .actual_access:  read_only
        .address_space:  global
        .offset:         40
        .size:           8
        .value_kind:     global_buffer
      - .actual_access:  read_only
        .address_space:  global
        .offset:         48
        .size:           8
        .value_kind:     global_buffer
      - .actual_access:  read_only
        .address_space:  global
        .offset:         56
        .size:           8
        .value_kind:     global_buffer
      - .actual_access:  read_only
        .address_space:  global
        .offset:         64
        .size:           8
        .value_kind:     global_buffer
      - .actual_access:  read_only
        .address_space:  global
        .offset:         72
        .size:           8
        .value_kind:     global_buffer
      - .offset:         80
        .size:           16
        .value_kind:     by_value
      - .address_space:  global
        .offset:         96
        .size:           8
        .value_kind:     global_buffer
      - .offset:         104
        .size:           4
        .value_kind:     by_value
      - .offset:         108
        .size:           1
        .value_kind:     by_value
    .group_segment_fixed_size: 32768
    .kernarg_segment_align: 8
    .kernarg_segment_size: 112
    .language:       OpenCL C
    .language_version:
      - 2
      - 0
    .max_flat_workgroup_size: 1024
    .name:           _ZN9rocsparseL20bsrxmvn_17_32_kernelILj32E21rocsparse_complex_numIdEliS2_S2_S2_EEvT2_20rocsparse_direction_NS_24const_host_device_scalarIT0_EES3_PKS3_PKT1_SC_S9_PKT3_PKT4_S7_PT5_21rocsparse_index_base_b
    .private_segment_fixed_size: 0
    .sgpr_count:     28
    .sgpr_spill_count: 0
    .symbol:         _ZN9rocsparseL20bsrxmvn_17_32_kernelILj32E21rocsparse_complex_numIdEliS2_S2_S2_EEvT2_20rocsparse_direction_NS_24const_host_device_scalarIT0_EES3_PKS3_PKT1_SC_S9_PKT3_PKT4_S7_PT5_21rocsparse_index_base_b.kd
    .uniform_work_group_size: 1
    .uses_dynamic_stack: false
    .vgpr_count:     26
    .vgpr_spill_count: 0
    .wavefront_size: 32
    .workgroup_processor_mode: 1
  - .args:
      - .offset:         0
        .size:           8
        .value_kind:     by_value
      - .offset:         8
        .size:           4
        .value_kind:     by_value
      - .offset:         16
        .size:           8
        .value_kind:     by_value
      - .offset:         24
        .size:           8
        .value_kind:     by_value
      - .actual_access:  read_only
        .address_space:  global
        .offset:         32
        .size:           8
        .value_kind:     global_buffer
      - .actual_access:  read_only
        .address_space:  global
        .offset:         40
        .size:           8
        .value_kind:     global_buffer
      - .actual_access:  read_only
        .address_space:  global
        .offset:         48
        .size:           8
        .value_kind:     global_buffer
      - .actual_access:  read_only
        .address_space:  global
        .offset:         56
        .size:           8
        .value_kind:     global_buffer
      - .actual_access:  read_only
        .address_space:  global
        .offset:         64
        .size:           8
        .value_kind:     global_buffer
      - .actual_access:  read_only
        .address_space:  global
        .offset:         72
        .size:           8
        .value_kind:     global_buffer
      - .offset:         80
        .size:           8
        .value_kind:     by_value
      - .address_space:  global
        .offset:         88
        .size:           8
        .value_kind:     global_buffer
      - .offset:         96
        .size:           4
        .value_kind:     by_value
      - .offset:         100
        .size:           1
        .value_kind:     by_value
    .group_segment_fixed_size: 1156
    .kernarg_segment_align: 8
    .kernarg_segment_size: 104
    .language:       OpenCL C
    .language_version:
      - 2
      - 0
    .max_flat_workgroup_size: 289
    .name:           _ZN9rocsparseL20bsrxmvn_17_32_kernelILj17EfllfffEEvT2_20rocsparse_direction_NS_24const_host_device_scalarIT0_EES1_PKS1_PKT1_SA_S7_PKT3_PKT4_S5_PT5_21rocsparse_index_base_b
    .private_segment_fixed_size: 0
    .sgpr_count:     26
    .sgpr_spill_count: 0
    .symbol:         _ZN9rocsparseL20bsrxmvn_17_32_kernelILj17EfllfffEEvT2_20rocsparse_direction_NS_24const_host_device_scalarIT0_EES1_PKS1_PKT1_SA_S7_PKT3_PKT4_S5_PT5_21rocsparse_index_base_b.kd
    .uniform_work_group_size: 1
    .uses_dynamic_stack: false
    .vgpr_count:     16
    .vgpr_spill_count: 0
    .wavefront_size: 32
    .workgroup_processor_mode: 1
  - .args:
      - .offset:         0
        .size:           8
        .value_kind:     by_value
      - .offset:         8
        .size:           4
        .value_kind:     by_value
      - .offset:         16
        .size:           8
        .value_kind:     by_value
      - .offset:         24
        .size:           8
        .value_kind:     by_value
      - .actual_access:  read_only
        .address_space:  global
        .offset:         32
        .size:           8
        .value_kind:     global_buffer
      - .actual_access:  read_only
        .address_space:  global
        .offset:         40
        .size:           8
        .value_kind:     global_buffer
      - .actual_access:  read_only
        .address_space:  global
        .offset:         48
        .size:           8
        .value_kind:     global_buffer
      - .actual_access:  read_only
        .address_space:  global
        .offset:         56
        .size:           8
        .value_kind:     global_buffer
      - .actual_access:  read_only
        .address_space:  global
        .offset:         64
        .size:           8
        .value_kind:     global_buffer
      - .actual_access:  read_only
        .address_space:  global
        .offset:         72
        .size:           8
        .value_kind:     global_buffer
      - .offset:         80
        .size:           8
        .value_kind:     by_value
      - .address_space:  global
        .offset:         88
        .size:           8
        .value_kind:     global_buffer
      - .offset:         96
        .size:           4
        .value_kind:     by_value
      - .offset:         100
        .size:           1
        .value_kind:     by_value
    .group_segment_fixed_size: 1296
    .kernarg_segment_align: 8
    .kernarg_segment_size: 104
    .language:       OpenCL C
    .language_version:
      - 2
      - 0
    .max_flat_workgroup_size: 324
    .name:           _ZN9rocsparseL20bsrxmvn_17_32_kernelILj18EfllfffEEvT2_20rocsparse_direction_NS_24const_host_device_scalarIT0_EES1_PKS1_PKT1_SA_S7_PKT3_PKT4_S5_PT5_21rocsparse_index_base_b
    .private_segment_fixed_size: 0
    .sgpr_count:     26
    .sgpr_spill_count: 0
    .symbol:         _ZN9rocsparseL20bsrxmvn_17_32_kernelILj18EfllfffEEvT2_20rocsparse_direction_NS_24const_host_device_scalarIT0_EES1_PKS1_PKT1_SA_S7_PKT3_PKT4_S5_PT5_21rocsparse_index_base_b.kd
    .uniform_work_group_size: 1
    .uses_dynamic_stack: false
    .vgpr_count:     16
    .vgpr_spill_count: 0
    .wavefront_size: 32
    .workgroup_processor_mode: 1
  - .args:
      - .offset:         0
        .size:           8
        .value_kind:     by_value
      - .offset:         8
        .size:           4
        .value_kind:     by_value
      - .offset:         16
        .size:           8
        .value_kind:     by_value
      - .offset:         24
        .size:           8
        .value_kind:     by_value
      - .actual_access:  read_only
        .address_space:  global
        .offset:         32
        .size:           8
        .value_kind:     global_buffer
      - .actual_access:  read_only
        .address_space:  global
        .offset:         40
        .size:           8
        .value_kind:     global_buffer
      - .actual_access:  read_only
        .address_space:  global
        .offset:         48
        .size:           8
        .value_kind:     global_buffer
      - .actual_access:  read_only
        .address_space:  global
        .offset:         56
        .size:           8
        .value_kind:     global_buffer
      - .actual_access:  read_only
        .address_space:  global
        .offset:         64
        .size:           8
        .value_kind:     global_buffer
      - .actual_access:  read_only
        .address_space:  global
        .offset:         72
        .size:           8
        .value_kind:     global_buffer
      - .offset:         80
        .size:           8
        .value_kind:     by_value
      - .address_space:  global
        .offset:         88
        .size:           8
        .value_kind:     global_buffer
      - .offset:         96
        .size:           4
        .value_kind:     by_value
      - .offset:         100
        .size:           1
        .value_kind:     by_value
    .group_segment_fixed_size: 1444
    .kernarg_segment_align: 8
    .kernarg_segment_size: 104
    .language:       OpenCL C
    .language_version:
      - 2
      - 0
    .max_flat_workgroup_size: 361
    .name:           _ZN9rocsparseL20bsrxmvn_17_32_kernelILj19EfllfffEEvT2_20rocsparse_direction_NS_24const_host_device_scalarIT0_EES1_PKS1_PKT1_SA_S7_PKT3_PKT4_S5_PT5_21rocsparse_index_base_b
    .private_segment_fixed_size: 0
    .sgpr_count:     26
    .sgpr_spill_count: 0
    .symbol:         _ZN9rocsparseL20bsrxmvn_17_32_kernelILj19EfllfffEEvT2_20rocsparse_direction_NS_24const_host_device_scalarIT0_EES1_PKS1_PKT1_SA_S7_PKT3_PKT4_S5_PT5_21rocsparse_index_base_b.kd
    .uniform_work_group_size: 1
    .uses_dynamic_stack: false
    .vgpr_count:     16
    .vgpr_spill_count: 0
    .wavefront_size: 32
    .workgroup_processor_mode: 1
  - .args:
      - .offset:         0
        .size:           8
        .value_kind:     by_value
      - .offset:         8
        .size:           4
        .value_kind:     by_value
      - .offset:         16
        .size:           8
        .value_kind:     by_value
      - .offset:         24
        .size:           8
        .value_kind:     by_value
      - .actual_access:  read_only
        .address_space:  global
        .offset:         32
        .size:           8
        .value_kind:     global_buffer
      - .actual_access:  read_only
        .address_space:  global
        .offset:         40
        .size:           8
        .value_kind:     global_buffer
      - .actual_access:  read_only
        .address_space:  global
        .offset:         48
        .size:           8
        .value_kind:     global_buffer
      - .actual_access:  read_only
        .address_space:  global
        .offset:         56
        .size:           8
        .value_kind:     global_buffer
      - .actual_access:  read_only
        .address_space:  global
        .offset:         64
        .size:           8
        .value_kind:     global_buffer
      - .actual_access:  read_only
        .address_space:  global
        .offset:         72
        .size:           8
        .value_kind:     global_buffer
      - .offset:         80
        .size:           8
        .value_kind:     by_value
      - .address_space:  global
        .offset:         88
        .size:           8
        .value_kind:     global_buffer
      - .offset:         96
        .size:           4
        .value_kind:     by_value
      - .offset:         100
        .size:           1
        .value_kind:     by_value
    .group_segment_fixed_size: 1600
    .kernarg_segment_align: 8
    .kernarg_segment_size: 104
    .language:       OpenCL C
    .language_version:
      - 2
      - 0
    .max_flat_workgroup_size: 400
    .name:           _ZN9rocsparseL20bsrxmvn_17_32_kernelILj20EfllfffEEvT2_20rocsparse_direction_NS_24const_host_device_scalarIT0_EES1_PKS1_PKT1_SA_S7_PKT3_PKT4_S5_PT5_21rocsparse_index_base_b
    .private_segment_fixed_size: 0
    .sgpr_count:     26
    .sgpr_spill_count: 0
    .symbol:         _ZN9rocsparseL20bsrxmvn_17_32_kernelILj20EfllfffEEvT2_20rocsparse_direction_NS_24const_host_device_scalarIT0_EES1_PKS1_PKT1_SA_S7_PKT3_PKT4_S5_PT5_21rocsparse_index_base_b.kd
    .uniform_work_group_size: 1
    .uses_dynamic_stack: false
    .vgpr_count:     16
    .vgpr_spill_count: 0
    .wavefront_size: 32
    .workgroup_processor_mode: 1
  - .args:
      - .offset:         0
        .size:           8
        .value_kind:     by_value
      - .offset:         8
        .size:           4
        .value_kind:     by_value
      - .offset:         16
        .size:           8
        .value_kind:     by_value
      - .offset:         24
        .size:           8
        .value_kind:     by_value
      - .actual_access:  read_only
        .address_space:  global
        .offset:         32
        .size:           8
        .value_kind:     global_buffer
      - .actual_access:  read_only
        .address_space:  global
        .offset:         40
        .size:           8
        .value_kind:     global_buffer
      - .actual_access:  read_only
        .address_space:  global
        .offset:         48
        .size:           8
        .value_kind:     global_buffer
      - .actual_access:  read_only
        .address_space:  global
        .offset:         56
        .size:           8
        .value_kind:     global_buffer
      - .actual_access:  read_only
        .address_space:  global
        .offset:         64
        .size:           8
        .value_kind:     global_buffer
      - .actual_access:  read_only
        .address_space:  global
        .offset:         72
        .size:           8
        .value_kind:     global_buffer
      - .offset:         80
        .size:           8
        .value_kind:     by_value
      - .address_space:  global
        .offset:         88
        .size:           8
        .value_kind:     global_buffer
      - .offset:         96
        .size:           4
        .value_kind:     by_value
      - .offset:         100
        .size:           1
        .value_kind:     by_value
    .group_segment_fixed_size: 1764
    .kernarg_segment_align: 8
    .kernarg_segment_size: 104
    .language:       OpenCL C
    .language_version:
      - 2
      - 0
    .max_flat_workgroup_size: 441
    .name:           _ZN9rocsparseL20bsrxmvn_17_32_kernelILj21EfllfffEEvT2_20rocsparse_direction_NS_24const_host_device_scalarIT0_EES1_PKS1_PKT1_SA_S7_PKT3_PKT4_S5_PT5_21rocsparse_index_base_b
    .private_segment_fixed_size: 0
    .sgpr_count:     26
    .sgpr_spill_count: 0
    .symbol:         _ZN9rocsparseL20bsrxmvn_17_32_kernelILj21EfllfffEEvT2_20rocsparse_direction_NS_24const_host_device_scalarIT0_EES1_PKS1_PKT1_SA_S7_PKT3_PKT4_S5_PT5_21rocsparse_index_base_b.kd
    .uniform_work_group_size: 1
    .uses_dynamic_stack: false
    .vgpr_count:     16
    .vgpr_spill_count: 0
    .wavefront_size: 32
    .workgroup_processor_mode: 1
  - .args:
      - .offset:         0
        .size:           8
        .value_kind:     by_value
      - .offset:         8
        .size:           4
        .value_kind:     by_value
      - .offset:         16
        .size:           8
        .value_kind:     by_value
      - .offset:         24
        .size:           8
        .value_kind:     by_value
      - .actual_access:  read_only
        .address_space:  global
        .offset:         32
        .size:           8
        .value_kind:     global_buffer
      - .actual_access:  read_only
        .address_space:  global
        .offset:         40
        .size:           8
        .value_kind:     global_buffer
      - .actual_access:  read_only
        .address_space:  global
        .offset:         48
        .size:           8
        .value_kind:     global_buffer
      - .actual_access:  read_only
        .address_space:  global
        .offset:         56
        .size:           8
        .value_kind:     global_buffer
      - .actual_access:  read_only
        .address_space:  global
        .offset:         64
        .size:           8
        .value_kind:     global_buffer
      - .actual_access:  read_only
        .address_space:  global
        .offset:         72
        .size:           8
        .value_kind:     global_buffer
      - .offset:         80
        .size:           8
        .value_kind:     by_value
      - .address_space:  global
        .offset:         88
        .size:           8
        .value_kind:     global_buffer
      - .offset:         96
        .size:           4
        .value_kind:     by_value
      - .offset:         100
        .size:           1
        .value_kind:     by_value
    .group_segment_fixed_size: 1936
    .kernarg_segment_align: 8
    .kernarg_segment_size: 104
    .language:       OpenCL C
    .language_version:
      - 2
      - 0
    .max_flat_workgroup_size: 484
    .name:           _ZN9rocsparseL20bsrxmvn_17_32_kernelILj22EfllfffEEvT2_20rocsparse_direction_NS_24const_host_device_scalarIT0_EES1_PKS1_PKT1_SA_S7_PKT3_PKT4_S5_PT5_21rocsparse_index_base_b
    .private_segment_fixed_size: 0
    .sgpr_count:     26
    .sgpr_spill_count: 0
    .symbol:         _ZN9rocsparseL20bsrxmvn_17_32_kernelILj22EfllfffEEvT2_20rocsparse_direction_NS_24const_host_device_scalarIT0_EES1_PKS1_PKT1_SA_S7_PKT3_PKT4_S5_PT5_21rocsparse_index_base_b.kd
    .uniform_work_group_size: 1
    .uses_dynamic_stack: false
    .vgpr_count:     16
    .vgpr_spill_count: 0
    .wavefront_size: 32
    .workgroup_processor_mode: 1
  - .args:
      - .offset:         0
        .size:           8
        .value_kind:     by_value
      - .offset:         8
        .size:           4
        .value_kind:     by_value
      - .offset:         16
        .size:           8
        .value_kind:     by_value
      - .offset:         24
        .size:           8
        .value_kind:     by_value
      - .actual_access:  read_only
        .address_space:  global
        .offset:         32
        .size:           8
        .value_kind:     global_buffer
      - .actual_access:  read_only
        .address_space:  global
        .offset:         40
        .size:           8
        .value_kind:     global_buffer
      - .actual_access:  read_only
        .address_space:  global
        .offset:         48
        .size:           8
        .value_kind:     global_buffer
      - .actual_access:  read_only
        .address_space:  global
        .offset:         56
        .size:           8
        .value_kind:     global_buffer
      - .actual_access:  read_only
        .address_space:  global
        .offset:         64
        .size:           8
        .value_kind:     global_buffer
      - .actual_access:  read_only
        .address_space:  global
        .offset:         72
        .size:           8
        .value_kind:     global_buffer
      - .offset:         80
        .size:           8
        .value_kind:     by_value
      - .address_space:  global
        .offset:         88
        .size:           8
        .value_kind:     global_buffer
      - .offset:         96
        .size:           4
        .value_kind:     by_value
      - .offset:         100
        .size:           1
        .value_kind:     by_value
    .group_segment_fixed_size: 2116
    .kernarg_segment_align: 8
    .kernarg_segment_size: 104
    .language:       OpenCL C
    .language_version:
      - 2
      - 0
    .max_flat_workgroup_size: 529
    .name:           _ZN9rocsparseL20bsrxmvn_17_32_kernelILj23EfllfffEEvT2_20rocsparse_direction_NS_24const_host_device_scalarIT0_EES1_PKS1_PKT1_SA_S7_PKT3_PKT4_S5_PT5_21rocsparse_index_base_b
    .private_segment_fixed_size: 0
    .sgpr_count:     26
    .sgpr_spill_count: 0
    .symbol:         _ZN9rocsparseL20bsrxmvn_17_32_kernelILj23EfllfffEEvT2_20rocsparse_direction_NS_24const_host_device_scalarIT0_EES1_PKS1_PKT1_SA_S7_PKT3_PKT4_S5_PT5_21rocsparse_index_base_b.kd
    .uniform_work_group_size: 1
    .uses_dynamic_stack: false
    .vgpr_count:     16
    .vgpr_spill_count: 0
    .wavefront_size: 32
    .workgroup_processor_mode: 1
  - .args:
      - .offset:         0
        .size:           8
        .value_kind:     by_value
      - .offset:         8
        .size:           4
        .value_kind:     by_value
      - .offset:         16
        .size:           8
        .value_kind:     by_value
      - .offset:         24
        .size:           8
        .value_kind:     by_value
      - .actual_access:  read_only
        .address_space:  global
        .offset:         32
        .size:           8
        .value_kind:     global_buffer
      - .actual_access:  read_only
        .address_space:  global
        .offset:         40
        .size:           8
        .value_kind:     global_buffer
      - .actual_access:  read_only
        .address_space:  global
        .offset:         48
        .size:           8
        .value_kind:     global_buffer
      - .actual_access:  read_only
        .address_space:  global
        .offset:         56
        .size:           8
        .value_kind:     global_buffer
      - .actual_access:  read_only
        .address_space:  global
        .offset:         64
        .size:           8
        .value_kind:     global_buffer
      - .actual_access:  read_only
        .address_space:  global
        .offset:         72
        .size:           8
        .value_kind:     global_buffer
      - .offset:         80
        .size:           8
        .value_kind:     by_value
      - .address_space:  global
        .offset:         88
        .size:           8
        .value_kind:     global_buffer
      - .offset:         96
        .size:           4
        .value_kind:     by_value
      - .offset:         100
        .size:           1
        .value_kind:     by_value
    .group_segment_fixed_size: 2304
    .kernarg_segment_align: 8
    .kernarg_segment_size: 104
    .language:       OpenCL C
    .language_version:
      - 2
      - 0
    .max_flat_workgroup_size: 576
    .name:           _ZN9rocsparseL20bsrxmvn_17_32_kernelILj24EfllfffEEvT2_20rocsparse_direction_NS_24const_host_device_scalarIT0_EES1_PKS1_PKT1_SA_S7_PKT3_PKT4_S5_PT5_21rocsparse_index_base_b
    .private_segment_fixed_size: 0
    .sgpr_count:     26
    .sgpr_spill_count: 0
    .symbol:         _ZN9rocsparseL20bsrxmvn_17_32_kernelILj24EfllfffEEvT2_20rocsparse_direction_NS_24const_host_device_scalarIT0_EES1_PKS1_PKT1_SA_S7_PKT3_PKT4_S5_PT5_21rocsparse_index_base_b.kd
    .uniform_work_group_size: 1
    .uses_dynamic_stack: false
    .vgpr_count:     16
    .vgpr_spill_count: 0
    .wavefront_size: 32
    .workgroup_processor_mode: 1
  - .args:
      - .offset:         0
        .size:           8
        .value_kind:     by_value
      - .offset:         8
        .size:           4
        .value_kind:     by_value
      - .offset:         16
        .size:           8
        .value_kind:     by_value
      - .offset:         24
        .size:           8
        .value_kind:     by_value
      - .actual_access:  read_only
        .address_space:  global
        .offset:         32
        .size:           8
        .value_kind:     global_buffer
      - .actual_access:  read_only
        .address_space:  global
        .offset:         40
        .size:           8
        .value_kind:     global_buffer
      - .actual_access:  read_only
        .address_space:  global
        .offset:         48
        .size:           8
        .value_kind:     global_buffer
      - .actual_access:  read_only
        .address_space:  global
        .offset:         56
        .size:           8
        .value_kind:     global_buffer
      - .actual_access:  read_only
        .address_space:  global
        .offset:         64
        .size:           8
        .value_kind:     global_buffer
      - .actual_access:  read_only
        .address_space:  global
        .offset:         72
        .size:           8
        .value_kind:     global_buffer
      - .offset:         80
        .size:           8
        .value_kind:     by_value
      - .address_space:  global
        .offset:         88
        .size:           8
        .value_kind:     global_buffer
      - .offset:         96
        .size:           4
        .value_kind:     by_value
      - .offset:         100
        .size:           1
        .value_kind:     by_value
    .group_segment_fixed_size: 2500
    .kernarg_segment_align: 8
    .kernarg_segment_size: 104
    .language:       OpenCL C
    .language_version:
      - 2
      - 0
    .max_flat_workgroup_size: 625
    .name:           _ZN9rocsparseL20bsrxmvn_17_32_kernelILj25EfllfffEEvT2_20rocsparse_direction_NS_24const_host_device_scalarIT0_EES1_PKS1_PKT1_SA_S7_PKT3_PKT4_S5_PT5_21rocsparse_index_base_b
    .private_segment_fixed_size: 0
    .sgpr_count:     26
    .sgpr_spill_count: 0
    .symbol:         _ZN9rocsparseL20bsrxmvn_17_32_kernelILj25EfllfffEEvT2_20rocsparse_direction_NS_24const_host_device_scalarIT0_EES1_PKS1_PKT1_SA_S7_PKT3_PKT4_S5_PT5_21rocsparse_index_base_b.kd
    .uniform_work_group_size: 1
    .uses_dynamic_stack: false
    .vgpr_count:     16
    .vgpr_spill_count: 0
    .wavefront_size: 32
    .workgroup_processor_mode: 1
  - .args:
      - .offset:         0
        .size:           8
        .value_kind:     by_value
      - .offset:         8
        .size:           4
        .value_kind:     by_value
      - .offset:         16
        .size:           8
        .value_kind:     by_value
      - .offset:         24
        .size:           8
        .value_kind:     by_value
      - .actual_access:  read_only
        .address_space:  global
        .offset:         32
        .size:           8
        .value_kind:     global_buffer
      - .actual_access:  read_only
        .address_space:  global
        .offset:         40
        .size:           8
        .value_kind:     global_buffer
      - .actual_access:  read_only
        .address_space:  global
        .offset:         48
        .size:           8
        .value_kind:     global_buffer
      - .actual_access:  read_only
        .address_space:  global
        .offset:         56
        .size:           8
        .value_kind:     global_buffer
      - .actual_access:  read_only
        .address_space:  global
        .offset:         64
        .size:           8
        .value_kind:     global_buffer
      - .actual_access:  read_only
        .address_space:  global
        .offset:         72
        .size:           8
        .value_kind:     global_buffer
      - .offset:         80
        .size:           8
        .value_kind:     by_value
      - .address_space:  global
        .offset:         88
        .size:           8
        .value_kind:     global_buffer
      - .offset:         96
        .size:           4
        .value_kind:     by_value
      - .offset:         100
        .size:           1
        .value_kind:     by_value
    .group_segment_fixed_size: 2704
    .kernarg_segment_align: 8
    .kernarg_segment_size: 104
    .language:       OpenCL C
    .language_version:
      - 2
      - 0
    .max_flat_workgroup_size: 676
    .name:           _ZN9rocsparseL20bsrxmvn_17_32_kernelILj26EfllfffEEvT2_20rocsparse_direction_NS_24const_host_device_scalarIT0_EES1_PKS1_PKT1_SA_S7_PKT3_PKT4_S5_PT5_21rocsparse_index_base_b
    .private_segment_fixed_size: 0
    .sgpr_count:     26
    .sgpr_spill_count: 0
    .symbol:         _ZN9rocsparseL20bsrxmvn_17_32_kernelILj26EfllfffEEvT2_20rocsparse_direction_NS_24const_host_device_scalarIT0_EES1_PKS1_PKT1_SA_S7_PKT3_PKT4_S5_PT5_21rocsparse_index_base_b.kd
    .uniform_work_group_size: 1
    .uses_dynamic_stack: false
    .vgpr_count:     16
    .vgpr_spill_count: 0
    .wavefront_size: 32
    .workgroup_processor_mode: 1
  - .args:
      - .offset:         0
        .size:           8
        .value_kind:     by_value
      - .offset:         8
        .size:           4
        .value_kind:     by_value
      - .offset:         16
        .size:           8
        .value_kind:     by_value
      - .offset:         24
        .size:           8
        .value_kind:     by_value
      - .actual_access:  read_only
        .address_space:  global
        .offset:         32
        .size:           8
        .value_kind:     global_buffer
      - .actual_access:  read_only
        .address_space:  global
        .offset:         40
        .size:           8
        .value_kind:     global_buffer
      - .actual_access:  read_only
        .address_space:  global
        .offset:         48
        .size:           8
        .value_kind:     global_buffer
      - .actual_access:  read_only
        .address_space:  global
        .offset:         56
        .size:           8
        .value_kind:     global_buffer
      - .actual_access:  read_only
        .address_space:  global
        .offset:         64
        .size:           8
        .value_kind:     global_buffer
      - .actual_access:  read_only
        .address_space:  global
        .offset:         72
        .size:           8
        .value_kind:     global_buffer
      - .offset:         80
        .size:           8
        .value_kind:     by_value
      - .address_space:  global
        .offset:         88
        .size:           8
        .value_kind:     global_buffer
      - .offset:         96
        .size:           4
        .value_kind:     by_value
      - .offset:         100
        .size:           1
        .value_kind:     by_value
    .group_segment_fixed_size: 2916
    .kernarg_segment_align: 8
    .kernarg_segment_size: 104
    .language:       OpenCL C
    .language_version:
      - 2
      - 0
    .max_flat_workgroup_size: 729
    .name:           _ZN9rocsparseL20bsrxmvn_17_32_kernelILj27EfllfffEEvT2_20rocsparse_direction_NS_24const_host_device_scalarIT0_EES1_PKS1_PKT1_SA_S7_PKT3_PKT4_S5_PT5_21rocsparse_index_base_b
    .private_segment_fixed_size: 0
    .sgpr_count:     26
    .sgpr_spill_count: 0
    .symbol:         _ZN9rocsparseL20bsrxmvn_17_32_kernelILj27EfllfffEEvT2_20rocsparse_direction_NS_24const_host_device_scalarIT0_EES1_PKS1_PKT1_SA_S7_PKT3_PKT4_S5_PT5_21rocsparse_index_base_b.kd
    .uniform_work_group_size: 1
    .uses_dynamic_stack: false
    .vgpr_count:     16
    .vgpr_spill_count: 0
    .wavefront_size: 32
    .workgroup_processor_mode: 1
  - .args:
      - .offset:         0
        .size:           8
        .value_kind:     by_value
      - .offset:         8
        .size:           4
        .value_kind:     by_value
      - .offset:         16
        .size:           8
        .value_kind:     by_value
      - .offset:         24
        .size:           8
        .value_kind:     by_value
      - .actual_access:  read_only
        .address_space:  global
        .offset:         32
        .size:           8
        .value_kind:     global_buffer
      - .actual_access:  read_only
        .address_space:  global
        .offset:         40
        .size:           8
        .value_kind:     global_buffer
      - .actual_access:  read_only
        .address_space:  global
        .offset:         48
        .size:           8
        .value_kind:     global_buffer
      - .actual_access:  read_only
        .address_space:  global
        .offset:         56
        .size:           8
        .value_kind:     global_buffer
      - .actual_access:  read_only
        .address_space:  global
        .offset:         64
        .size:           8
        .value_kind:     global_buffer
      - .actual_access:  read_only
        .address_space:  global
        .offset:         72
        .size:           8
        .value_kind:     global_buffer
      - .offset:         80
        .size:           8
        .value_kind:     by_value
      - .address_space:  global
        .offset:         88
        .size:           8
        .value_kind:     global_buffer
      - .offset:         96
        .size:           4
        .value_kind:     by_value
      - .offset:         100
        .size:           1
        .value_kind:     by_value
    .group_segment_fixed_size: 3136
    .kernarg_segment_align: 8
    .kernarg_segment_size: 104
    .language:       OpenCL C
    .language_version:
      - 2
      - 0
    .max_flat_workgroup_size: 784
    .name:           _ZN9rocsparseL20bsrxmvn_17_32_kernelILj28EfllfffEEvT2_20rocsparse_direction_NS_24const_host_device_scalarIT0_EES1_PKS1_PKT1_SA_S7_PKT3_PKT4_S5_PT5_21rocsparse_index_base_b
    .private_segment_fixed_size: 0
    .sgpr_count:     26
    .sgpr_spill_count: 0
    .symbol:         _ZN9rocsparseL20bsrxmvn_17_32_kernelILj28EfllfffEEvT2_20rocsparse_direction_NS_24const_host_device_scalarIT0_EES1_PKS1_PKT1_SA_S7_PKT3_PKT4_S5_PT5_21rocsparse_index_base_b.kd
    .uniform_work_group_size: 1
    .uses_dynamic_stack: false
    .vgpr_count:     16
    .vgpr_spill_count: 0
    .wavefront_size: 32
    .workgroup_processor_mode: 1
  - .args:
      - .offset:         0
        .size:           8
        .value_kind:     by_value
      - .offset:         8
        .size:           4
        .value_kind:     by_value
      - .offset:         16
        .size:           8
        .value_kind:     by_value
      - .offset:         24
        .size:           8
        .value_kind:     by_value
      - .actual_access:  read_only
        .address_space:  global
        .offset:         32
        .size:           8
        .value_kind:     global_buffer
      - .actual_access:  read_only
        .address_space:  global
        .offset:         40
        .size:           8
        .value_kind:     global_buffer
      - .actual_access:  read_only
        .address_space:  global
        .offset:         48
        .size:           8
        .value_kind:     global_buffer
      - .actual_access:  read_only
        .address_space:  global
        .offset:         56
        .size:           8
        .value_kind:     global_buffer
      - .actual_access:  read_only
        .address_space:  global
        .offset:         64
        .size:           8
        .value_kind:     global_buffer
      - .actual_access:  read_only
        .address_space:  global
        .offset:         72
        .size:           8
        .value_kind:     global_buffer
      - .offset:         80
        .size:           8
        .value_kind:     by_value
      - .address_space:  global
        .offset:         88
        .size:           8
        .value_kind:     global_buffer
      - .offset:         96
        .size:           4
        .value_kind:     by_value
      - .offset:         100
        .size:           1
        .value_kind:     by_value
    .group_segment_fixed_size: 3364
    .kernarg_segment_align: 8
    .kernarg_segment_size: 104
    .language:       OpenCL C
    .language_version:
      - 2
      - 0
    .max_flat_workgroup_size: 841
    .name:           _ZN9rocsparseL20bsrxmvn_17_32_kernelILj29EfllfffEEvT2_20rocsparse_direction_NS_24const_host_device_scalarIT0_EES1_PKS1_PKT1_SA_S7_PKT3_PKT4_S5_PT5_21rocsparse_index_base_b
    .private_segment_fixed_size: 0
    .sgpr_count:     26
    .sgpr_spill_count: 0
    .symbol:         _ZN9rocsparseL20bsrxmvn_17_32_kernelILj29EfllfffEEvT2_20rocsparse_direction_NS_24const_host_device_scalarIT0_EES1_PKS1_PKT1_SA_S7_PKT3_PKT4_S5_PT5_21rocsparse_index_base_b.kd
    .uniform_work_group_size: 1
    .uses_dynamic_stack: false
    .vgpr_count:     16
    .vgpr_spill_count: 0
    .wavefront_size: 32
    .workgroup_processor_mode: 1
  - .args:
      - .offset:         0
        .size:           8
        .value_kind:     by_value
      - .offset:         8
        .size:           4
        .value_kind:     by_value
      - .offset:         16
        .size:           8
        .value_kind:     by_value
      - .offset:         24
        .size:           8
        .value_kind:     by_value
      - .actual_access:  read_only
        .address_space:  global
        .offset:         32
        .size:           8
        .value_kind:     global_buffer
      - .actual_access:  read_only
        .address_space:  global
        .offset:         40
        .size:           8
        .value_kind:     global_buffer
      - .actual_access:  read_only
        .address_space:  global
        .offset:         48
        .size:           8
        .value_kind:     global_buffer
      - .actual_access:  read_only
        .address_space:  global
        .offset:         56
        .size:           8
        .value_kind:     global_buffer
      - .actual_access:  read_only
        .address_space:  global
        .offset:         64
        .size:           8
        .value_kind:     global_buffer
      - .actual_access:  read_only
        .address_space:  global
        .offset:         72
        .size:           8
        .value_kind:     global_buffer
      - .offset:         80
        .size:           8
        .value_kind:     by_value
      - .address_space:  global
        .offset:         88
        .size:           8
        .value_kind:     global_buffer
      - .offset:         96
        .size:           4
        .value_kind:     by_value
      - .offset:         100
        .size:           1
        .value_kind:     by_value
    .group_segment_fixed_size: 3600
    .kernarg_segment_align: 8
    .kernarg_segment_size: 104
    .language:       OpenCL C
    .language_version:
      - 2
      - 0
    .max_flat_workgroup_size: 900
    .name:           _ZN9rocsparseL20bsrxmvn_17_32_kernelILj30EfllfffEEvT2_20rocsparse_direction_NS_24const_host_device_scalarIT0_EES1_PKS1_PKT1_SA_S7_PKT3_PKT4_S5_PT5_21rocsparse_index_base_b
    .private_segment_fixed_size: 0
    .sgpr_count:     26
    .sgpr_spill_count: 0
    .symbol:         _ZN9rocsparseL20bsrxmvn_17_32_kernelILj30EfllfffEEvT2_20rocsparse_direction_NS_24const_host_device_scalarIT0_EES1_PKS1_PKT1_SA_S7_PKT3_PKT4_S5_PT5_21rocsparse_index_base_b.kd
    .uniform_work_group_size: 1
    .uses_dynamic_stack: false
    .vgpr_count:     16
    .vgpr_spill_count: 0
    .wavefront_size: 32
    .workgroup_processor_mode: 1
  - .args:
      - .offset:         0
        .size:           8
        .value_kind:     by_value
      - .offset:         8
        .size:           4
        .value_kind:     by_value
      - .offset:         16
        .size:           8
        .value_kind:     by_value
      - .offset:         24
        .size:           8
        .value_kind:     by_value
      - .actual_access:  read_only
        .address_space:  global
        .offset:         32
        .size:           8
        .value_kind:     global_buffer
      - .actual_access:  read_only
        .address_space:  global
        .offset:         40
        .size:           8
        .value_kind:     global_buffer
      - .actual_access:  read_only
        .address_space:  global
        .offset:         48
        .size:           8
        .value_kind:     global_buffer
      - .actual_access:  read_only
        .address_space:  global
        .offset:         56
        .size:           8
        .value_kind:     global_buffer
      - .actual_access:  read_only
        .address_space:  global
        .offset:         64
        .size:           8
        .value_kind:     global_buffer
      - .actual_access:  read_only
        .address_space:  global
        .offset:         72
        .size:           8
        .value_kind:     global_buffer
      - .offset:         80
        .size:           8
        .value_kind:     by_value
      - .address_space:  global
        .offset:         88
        .size:           8
        .value_kind:     global_buffer
      - .offset:         96
        .size:           4
        .value_kind:     by_value
      - .offset:         100
        .size:           1
        .value_kind:     by_value
    .group_segment_fixed_size: 3844
    .kernarg_segment_align: 8
    .kernarg_segment_size: 104
    .language:       OpenCL C
    .language_version:
      - 2
      - 0
    .max_flat_workgroup_size: 961
    .name:           _ZN9rocsparseL20bsrxmvn_17_32_kernelILj31EfllfffEEvT2_20rocsparse_direction_NS_24const_host_device_scalarIT0_EES1_PKS1_PKT1_SA_S7_PKT3_PKT4_S5_PT5_21rocsparse_index_base_b
    .private_segment_fixed_size: 0
    .sgpr_count:     26
    .sgpr_spill_count: 0
    .symbol:         _ZN9rocsparseL20bsrxmvn_17_32_kernelILj31EfllfffEEvT2_20rocsparse_direction_NS_24const_host_device_scalarIT0_EES1_PKS1_PKT1_SA_S7_PKT3_PKT4_S5_PT5_21rocsparse_index_base_b.kd
    .uniform_work_group_size: 1
    .uses_dynamic_stack: false
    .vgpr_count:     16
    .vgpr_spill_count: 0
    .wavefront_size: 32
    .workgroup_processor_mode: 1
  - .args:
      - .offset:         0
        .size:           8
        .value_kind:     by_value
      - .offset:         8
        .size:           4
        .value_kind:     by_value
      - .offset:         16
        .size:           8
        .value_kind:     by_value
      - .offset:         24
        .size:           8
        .value_kind:     by_value
      - .actual_access:  read_only
        .address_space:  global
        .offset:         32
        .size:           8
        .value_kind:     global_buffer
      - .actual_access:  read_only
        .address_space:  global
        .offset:         40
        .size:           8
        .value_kind:     global_buffer
      - .actual_access:  read_only
        .address_space:  global
        .offset:         48
        .size:           8
        .value_kind:     global_buffer
      - .actual_access:  read_only
        .address_space:  global
        .offset:         56
        .size:           8
        .value_kind:     global_buffer
      - .actual_access:  read_only
        .address_space:  global
        .offset:         64
        .size:           8
        .value_kind:     global_buffer
      - .actual_access:  read_only
        .address_space:  global
        .offset:         72
        .size:           8
        .value_kind:     global_buffer
      - .offset:         80
        .size:           8
        .value_kind:     by_value
      - .address_space:  global
        .offset:         88
        .size:           8
        .value_kind:     global_buffer
      - .offset:         96
        .size:           4
        .value_kind:     by_value
      - .offset:         100
        .size:           1
        .value_kind:     by_value
    .group_segment_fixed_size: 4096
    .kernarg_segment_align: 8
    .kernarg_segment_size: 104
    .language:       OpenCL C
    .language_version:
      - 2
      - 0
    .max_flat_workgroup_size: 1024
    .name:           _ZN9rocsparseL20bsrxmvn_17_32_kernelILj32EfllfffEEvT2_20rocsparse_direction_NS_24const_host_device_scalarIT0_EES1_PKS1_PKT1_SA_S7_PKT3_PKT4_S5_PT5_21rocsparse_index_base_b
    .private_segment_fixed_size: 0
    .sgpr_count:     28
    .sgpr_spill_count: 0
    .symbol:         _ZN9rocsparseL20bsrxmvn_17_32_kernelILj32EfllfffEEvT2_20rocsparse_direction_NS_24const_host_device_scalarIT0_EES1_PKS1_PKT1_SA_S7_PKT3_PKT4_S5_PT5_21rocsparse_index_base_b.kd
    .uniform_work_group_size: 1
    .uses_dynamic_stack: false
    .vgpr_count:     10
    .vgpr_spill_count: 0
    .wavefront_size: 32
    .workgroup_processor_mode: 1
  - .args:
      - .offset:         0
        .size:           8
        .value_kind:     by_value
      - .offset:         8
        .size:           4
        .value_kind:     by_value
      - .offset:         16
        .size:           8
        .value_kind:     by_value
      - .offset:         24
        .size:           8
        .value_kind:     by_value
      - .actual_access:  read_only
        .address_space:  global
        .offset:         32
        .size:           8
        .value_kind:     global_buffer
      - .actual_access:  read_only
        .address_space:  global
        .offset:         40
        .size:           8
        .value_kind:     global_buffer
      - .actual_access:  read_only
        .address_space:  global
        .offset:         48
        .size:           8
        .value_kind:     global_buffer
      - .actual_access:  read_only
        .address_space:  global
        .offset:         56
        .size:           8
        .value_kind:     global_buffer
      - .actual_access:  read_only
        .address_space:  global
        .offset:         64
        .size:           8
        .value_kind:     global_buffer
      - .actual_access:  read_only
        .address_space:  global
        .offset:         72
        .size:           8
        .value_kind:     global_buffer
      - .offset:         80
        .size:           8
        .value_kind:     by_value
      - .address_space:  global
        .offset:         88
        .size:           8
        .value_kind:     global_buffer
      - .offset:         96
        .size:           4
        .value_kind:     by_value
      - .offset:         100
        .size:           1
        .value_kind:     by_value
    .group_segment_fixed_size: 2312
    .kernarg_segment_align: 8
    .kernarg_segment_size: 104
    .language:       OpenCL C
    .language_version:
      - 2
      - 0
    .max_flat_workgroup_size: 289
    .name:           _ZN9rocsparseL20bsrxmvn_17_32_kernelILj17EdlldddEEvT2_20rocsparse_direction_NS_24const_host_device_scalarIT0_EES1_PKS1_PKT1_SA_S7_PKT3_PKT4_S5_PT5_21rocsparse_index_base_b
    .private_segment_fixed_size: 0
    .sgpr_count:     24
    .sgpr_spill_count: 0
    .symbol:         _ZN9rocsparseL20bsrxmvn_17_32_kernelILj17EdlldddEEvT2_20rocsparse_direction_NS_24const_host_device_scalarIT0_EES1_PKS1_PKT1_SA_S7_PKT3_PKT4_S5_PT5_21rocsparse_index_base_b.kd
    .uniform_work_group_size: 1
    .uses_dynamic_stack: false
    .vgpr_count:     21
    .vgpr_spill_count: 0
    .wavefront_size: 32
    .workgroup_processor_mode: 1
  - .args:
      - .offset:         0
        .size:           8
        .value_kind:     by_value
      - .offset:         8
        .size:           4
        .value_kind:     by_value
      - .offset:         16
        .size:           8
        .value_kind:     by_value
      - .offset:         24
        .size:           8
        .value_kind:     by_value
      - .actual_access:  read_only
        .address_space:  global
        .offset:         32
        .size:           8
        .value_kind:     global_buffer
      - .actual_access:  read_only
        .address_space:  global
        .offset:         40
        .size:           8
        .value_kind:     global_buffer
      - .actual_access:  read_only
        .address_space:  global
        .offset:         48
        .size:           8
        .value_kind:     global_buffer
      - .actual_access:  read_only
        .address_space:  global
        .offset:         56
        .size:           8
        .value_kind:     global_buffer
      - .actual_access:  read_only
        .address_space:  global
        .offset:         64
        .size:           8
        .value_kind:     global_buffer
      - .actual_access:  read_only
        .address_space:  global
        .offset:         72
        .size:           8
        .value_kind:     global_buffer
      - .offset:         80
        .size:           8
        .value_kind:     by_value
      - .address_space:  global
        .offset:         88
        .size:           8
        .value_kind:     global_buffer
      - .offset:         96
        .size:           4
        .value_kind:     by_value
      - .offset:         100
        .size:           1
        .value_kind:     by_value
    .group_segment_fixed_size: 2592
    .kernarg_segment_align: 8
    .kernarg_segment_size: 104
    .language:       OpenCL C
    .language_version:
      - 2
      - 0
    .max_flat_workgroup_size: 324
    .name:           _ZN9rocsparseL20bsrxmvn_17_32_kernelILj18EdlldddEEvT2_20rocsparse_direction_NS_24const_host_device_scalarIT0_EES1_PKS1_PKT1_SA_S7_PKT3_PKT4_S5_PT5_21rocsparse_index_base_b
    .private_segment_fixed_size: 0
    .sgpr_count:     24
    .sgpr_spill_count: 0
    .symbol:         _ZN9rocsparseL20bsrxmvn_17_32_kernelILj18EdlldddEEvT2_20rocsparse_direction_NS_24const_host_device_scalarIT0_EES1_PKS1_PKT1_SA_S7_PKT3_PKT4_S5_PT5_21rocsparse_index_base_b.kd
    .uniform_work_group_size: 1
    .uses_dynamic_stack: false
    .vgpr_count:     21
    .vgpr_spill_count: 0
    .wavefront_size: 32
    .workgroup_processor_mode: 1
  - .args:
      - .offset:         0
        .size:           8
        .value_kind:     by_value
      - .offset:         8
        .size:           4
        .value_kind:     by_value
      - .offset:         16
        .size:           8
        .value_kind:     by_value
      - .offset:         24
        .size:           8
        .value_kind:     by_value
      - .actual_access:  read_only
        .address_space:  global
        .offset:         32
        .size:           8
        .value_kind:     global_buffer
      - .actual_access:  read_only
        .address_space:  global
        .offset:         40
        .size:           8
        .value_kind:     global_buffer
      - .actual_access:  read_only
        .address_space:  global
        .offset:         48
        .size:           8
        .value_kind:     global_buffer
      - .actual_access:  read_only
        .address_space:  global
        .offset:         56
        .size:           8
        .value_kind:     global_buffer
      - .actual_access:  read_only
        .address_space:  global
        .offset:         64
        .size:           8
        .value_kind:     global_buffer
      - .actual_access:  read_only
        .address_space:  global
        .offset:         72
        .size:           8
        .value_kind:     global_buffer
      - .offset:         80
        .size:           8
        .value_kind:     by_value
      - .address_space:  global
        .offset:         88
        .size:           8
        .value_kind:     global_buffer
      - .offset:         96
        .size:           4
        .value_kind:     by_value
      - .offset:         100
        .size:           1
        .value_kind:     by_value
    .group_segment_fixed_size: 2888
    .kernarg_segment_align: 8
    .kernarg_segment_size: 104
    .language:       OpenCL C
    .language_version:
      - 2
      - 0
    .max_flat_workgroup_size: 361
    .name:           _ZN9rocsparseL20bsrxmvn_17_32_kernelILj19EdlldddEEvT2_20rocsparse_direction_NS_24const_host_device_scalarIT0_EES1_PKS1_PKT1_SA_S7_PKT3_PKT4_S5_PT5_21rocsparse_index_base_b
    .private_segment_fixed_size: 0
    .sgpr_count:     24
    .sgpr_spill_count: 0
    .symbol:         _ZN9rocsparseL20bsrxmvn_17_32_kernelILj19EdlldddEEvT2_20rocsparse_direction_NS_24const_host_device_scalarIT0_EES1_PKS1_PKT1_SA_S7_PKT3_PKT4_S5_PT5_21rocsparse_index_base_b.kd
    .uniform_work_group_size: 1
    .uses_dynamic_stack: false
    .vgpr_count:     21
    .vgpr_spill_count: 0
    .wavefront_size: 32
    .workgroup_processor_mode: 1
  - .args:
      - .offset:         0
        .size:           8
        .value_kind:     by_value
      - .offset:         8
        .size:           4
        .value_kind:     by_value
      - .offset:         16
        .size:           8
        .value_kind:     by_value
      - .offset:         24
        .size:           8
        .value_kind:     by_value
      - .actual_access:  read_only
        .address_space:  global
        .offset:         32
        .size:           8
        .value_kind:     global_buffer
      - .actual_access:  read_only
        .address_space:  global
        .offset:         40
        .size:           8
        .value_kind:     global_buffer
      - .actual_access:  read_only
        .address_space:  global
        .offset:         48
        .size:           8
        .value_kind:     global_buffer
      - .actual_access:  read_only
        .address_space:  global
        .offset:         56
        .size:           8
        .value_kind:     global_buffer
      - .actual_access:  read_only
        .address_space:  global
        .offset:         64
        .size:           8
        .value_kind:     global_buffer
      - .actual_access:  read_only
        .address_space:  global
        .offset:         72
        .size:           8
        .value_kind:     global_buffer
      - .offset:         80
        .size:           8
        .value_kind:     by_value
      - .address_space:  global
        .offset:         88
        .size:           8
        .value_kind:     global_buffer
      - .offset:         96
        .size:           4
        .value_kind:     by_value
      - .offset:         100
        .size:           1
        .value_kind:     by_value
    .group_segment_fixed_size: 3200
    .kernarg_segment_align: 8
    .kernarg_segment_size: 104
    .language:       OpenCL C
    .language_version:
      - 2
      - 0
    .max_flat_workgroup_size: 400
    .name:           _ZN9rocsparseL20bsrxmvn_17_32_kernelILj20EdlldddEEvT2_20rocsparse_direction_NS_24const_host_device_scalarIT0_EES1_PKS1_PKT1_SA_S7_PKT3_PKT4_S5_PT5_21rocsparse_index_base_b
    .private_segment_fixed_size: 0
    .sgpr_count:     24
    .sgpr_spill_count: 0
    .symbol:         _ZN9rocsparseL20bsrxmvn_17_32_kernelILj20EdlldddEEvT2_20rocsparse_direction_NS_24const_host_device_scalarIT0_EES1_PKS1_PKT1_SA_S7_PKT3_PKT4_S5_PT5_21rocsparse_index_base_b.kd
    .uniform_work_group_size: 1
    .uses_dynamic_stack: false
    .vgpr_count:     21
    .vgpr_spill_count: 0
    .wavefront_size: 32
    .workgroup_processor_mode: 1
  - .args:
      - .offset:         0
        .size:           8
        .value_kind:     by_value
      - .offset:         8
        .size:           4
        .value_kind:     by_value
      - .offset:         16
        .size:           8
        .value_kind:     by_value
      - .offset:         24
        .size:           8
        .value_kind:     by_value
      - .actual_access:  read_only
        .address_space:  global
        .offset:         32
        .size:           8
        .value_kind:     global_buffer
      - .actual_access:  read_only
        .address_space:  global
        .offset:         40
        .size:           8
        .value_kind:     global_buffer
      - .actual_access:  read_only
        .address_space:  global
        .offset:         48
        .size:           8
        .value_kind:     global_buffer
      - .actual_access:  read_only
        .address_space:  global
        .offset:         56
        .size:           8
        .value_kind:     global_buffer
      - .actual_access:  read_only
        .address_space:  global
        .offset:         64
        .size:           8
        .value_kind:     global_buffer
      - .actual_access:  read_only
        .address_space:  global
        .offset:         72
        .size:           8
        .value_kind:     global_buffer
      - .offset:         80
        .size:           8
        .value_kind:     by_value
      - .address_space:  global
        .offset:         88
        .size:           8
        .value_kind:     global_buffer
      - .offset:         96
        .size:           4
        .value_kind:     by_value
      - .offset:         100
        .size:           1
        .value_kind:     by_value
    .group_segment_fixed_size: 3528
    .kernarg_segment_align: 8
    .kernarg_segment_size: 104
    .language:       OpenCL C
    .language_version:
      - 2
      - 0
    .max_flat_workgroup_size: 441
    .name:           _ZN9rocsparseL20bsrxmvn_17_32_kernelILj21EdlldddEEvT2_20rocsparse_direction_NS_24const_host_device_scalarIT0_EES1_PKS1_PKT1_SA_S7_PKT3_PKT4_S5_PT5_21rocsparse_index_base_b
    .private_segment_fixed_size: 0
    .sgpr_count:     24
    .sgpr_spill_count: 0
    .symbol:         _ZN9rocsparseL20bsrxmvn_17_32_kernelILj21EdlldddEEvT2_20rocsparse_direction_NS_24const_host_device_scalarIT0_EES1_PKS1_PKT1_SA_S7_PKT3_PKT4_S5_PT5_21rocsparse_index_base_b.kd
    .uniform_work_group_size: 1
    .uses_dynamic_stack: false
    .vgpr_count:     21
    .vgpr_spill_count: 0
    .wavefront_size: 32
    .workgroup_processor_mode: 1
  - .args:
      - .offset:         0
        .size:           8
        .value_kind:     by_value
      - .offset:         8
        .size:           4
        .value_kind:     by_value
      - .offset:         16
        .size:           8
        .value_kind:     by_value
      - .offset:         24
        .size:           8
        .value_kind:     by_value
      - .actual_access:  read_only
        .address_space:  global
        .offset:         32
        .size:           8
        .value_kind:     global_buffer
      - .actual_access:  read_only
        .address_space:  global
        .offset:         40
        .size:           8
        .value_kind:     global_buffer
      - .actual_access:  read_only
        .address_space:  global
        .offset:         48
        .size:           8
        .value_kind:     global_buffer
      - .actual_access:  read_only
        .address_space:  global
        .offset:         56
        .size:           8
        .value_kind:     global_buffer
      - .actual_access:  read_only
        .address_space:  global
        .offset:         64
        .size:           8
        .value_kind:     global_buffer
      - .actual_access:  read_only
        .address_space:  global
        .offset:         72
        .size:           8
        .value_kind:     global_buffer
      - .offset:         80
        .size:           8
        .value_kind:     by_value
      - .address_space:  global
        .offset:         88
        .size:           8
        .value_kind:     global_buffer
      - .offset:         96
        .size:           4
        .value_kind:     by_value
      - .offset:         100
        .size:           1
        .value_kind:     by_value
    .group_segment_fixed_size: 3872
    .kernarg_segment_align: 8
    .kernarg_segment_size: 104
    .language:       OpenCL C
    .language_version:
      - 2
      - 0
    .max_flat_workgroup_size: 484
    .name:           _ZN9rocsparseL20bsrxmvn_17_32_kernelILj22EdlldddEEvT2_20rocsparse_direction_NS_24const_host_device_scalarIT0_EES1_PKS1_PKT1_SA_S7_PKT3_PKT4_S5_PT5_21rocsparse_index_base_b
    .private_segment_fixed_size: 0
    .sgpr_count:     24
    .sgpr_spill_count: 0
    .symbol:         _ZN9rocsparseL20bsrxmvn_17_32_kernelILj22EdlldddEEvT2_20rocsparse_direction_NS_24const_host_device_scalarIT0_EES1_PKS1_PKT1_SA_S7_PKT3_PKT4_S5_PT5_21rocsparse_index_base_b.kd
    .uniform_work_group_size: 1
    .uses_dynamic_stack: false
    .vgpr_count:     21
    .vgpr_spill_count: 0
    .wavefront_size: 32
    .workgroup_processor_mode: 1
  - .args:
      - .offset:         0
        .size:           8
        .value_kind:     by_value
      - .offset:         8
        .size:           4
        .value_kind:     by_value
      - .offset:         16
        .size:           8
        .value_kind:     by_value
      - .offset:         24
        .size:           8
        .value_kind:     by_value
      - .actual_access:  read_only
        .address_space:  global
        .offset:         32
        .size:           8
        .value_kind:     global_buffer
      - .actual_access:  read_only
        .address_space:  global
        .offset:         40
        .size:           8
        .value_kind:     global_buffer
      - .actual_access:  read_only
        .address_space:  global
        .offset:         48
        .size:           8
        .value_kind:     global_buffer
      - .actual_access:  read_only
        .address_space:  global
        .offset:         56
        .size:           8
        .value_kind:     global_buffer
      - .actual_access:  read_only
        .address_space:  global
        .offset:         64
        .size:           8
        .value_kind:     global_buffer
      - .actual_access:  read_only
        .address_space:  global
        .offset:         72
        .size:           8
        .value_kind:     global_buffer
      - .offset:         80
        .size:           8
        .value_kind:     by_value
      - .address_space:  global
        .offset:         88
        .size:           8
        .value_kind:     global_buffer
      - .offset:         96
        .size:           4
        .value_kind:     by_value
      - .offset:         100
        .size:           1
        .value_kind:     by_value
    .group_segment_fixed_size: 4232
    .kernarg_segment_align: 8
    .kernarg_segment_size: 104
    .language:       OpenCL C
    .language_version:
      - 2
      - 0
    .max_flat_workgroup_size: 529
    .name:           _ZN9rocsparseL20bsrxmvn_17_32_kernelILj23EdlldddEEvT2_20rocsparse_direction_NS_24const_host_device_scalarIT0_EES1_PKS1_PKT1_SA_S7_PKT3_PKT4_S5_PT5_21rocsparse_index_base_b
    .private_segment_fixed_size: 0
    .sgpr_count:     22
    .sgpr_spill_count: 0
    .symbol:         _ZN9rocsparseL20bsrxmvn_17_32_kernelILj23EdlldddEEvT2_20rocsparse_direction_NS_24const_host_device_scalarIT0_EES1_PKS1_PKT1_SA_S7_PKT3_PKT4_S5_PT5_21rocsparse_index_base_b.kd
    .uniform_work_group_size: 1
    .uses_dynamic_stack: false
    .vgpr_count:     21
    .vgpr_spill_count: 0
    .wavefront_size: 32
    .workgroup_processor_mode: 1
  - .args:
      - .offset:         0
        .size:           8
        .value_kind:     by_value
      - .offset:         8
        .size:           4
        .value_kind:     by_value
      - .offset:         16
        .size:           8
        .value_kind:     by_value
      - .offset:         24
        .size:           8
        .value_kind:     by_value
      - .actual_access:  read_only
        .address_space:  global
        .offset:         32
        .size:           8
        .value_kind:     global_buffer
      - .actual_access:  read_only
        .address_space:  global
        .offset:         40
        .size:           8
        .value_kind:     global_buffer
      - .actual_access:  read_only
        .address_space:  global
        .offset:         48
        .size:           8
        .value_kind:     global_buffer
      - .actual_access:  read_only
        .address_space:  global
        .offset:         56
        .size:           8
        .value_kind:     global_buffer
      - .actual_access:  read_only
        .address_space:  global
        .offset:         64
        .size:           8
        .value_kind:     global_buffer
      - .actual_access:  read_only
        .address_space:  global
        .offset:         72
        .size:           8
        .value_kind:     global_buffer
      - .offset:         80
        .size:           8
        .value_kind:     by_value
      - .address_space:  global
        .offset:         88
        .size:           8
        .value_kind:     global_buffer
      - .offset:         96
        .size:           4
        .value_kind:     by_value
      - .offset:         100
        .size:           1
        .value_kind:     by_value
    .group_segment_fixed_size: 4608
    .kernarg_segment_align: 8
    .kernarg_segment_size: 104
    .language:       OpenCL C
    .language_version:
      - 2
      - 0
    .max_flat_workgroup_size: 576
    .name:           _ZN9rocsparseL20bsrxmvn_17_32_kernelILj24EdlldddEEvT2_20rocsparse_direction_NS_24const_host_device_scalarIT0_EES1_PKS1_PKT1_SA_S7_PKT3_PKT4_S5_PT5_21rocsparse_index_base_b
    .private_segment_fixed_size: 0
    .sgpr_count:     22
    .sgpr_spill_count: 0
    .symbol:         _ZN9rocsparseL20bsrxmvn_17_32_kernelILj24EdlldddEEvT2_20rocsparse_direction_NS_24const_host_device_scalarIT0_EES1_PKS1_PKT1_SA_S7_PKT3_PKT4_S5_PT5_21rocsparse_index_base_b.kd
    .uniform_work_group_size: 1
    .uses_dynamic_stack: false
    .vgpr_count:     21
    .vgpr_spill_count: 0
    .wavefront_size: 32
    .workgroup_processor_mode: 1
  - .args:
      - .offset:         0
        .size:           8
        .value_kind:     by_value
      - .offset:         8
        .size:           4
        .value_kind:     by_value
      - .offset:         16
        .size:           8
        .value_kind:     by_value
      - .offset:         24
        .size:           8
        .value_kind:     by_value
      - .actual_access:  read_only
        .address_space:  global
        .offset:         32
        .size:           8
        .value_kind:     global_buffer
      - .actual_access:  read_only
        .address_space:  global
        .offset:         40
        .size:           8
        .value_kind:     global_buffer
      - .actual_access:  read_only
        .address_space:  global
        .offset:         48
        .size:           8
        .value_kind:     global_buffer
      - .actual_access:  read_only
        .address_space:  global
        .offset:         56
        .size:           8
        .value_kind:     global_buffer
      - .actual_access:  read_only
        .address_space:  global
        .offset:         64
        .size:           8
        .value_kind:     global_buffer
      - .actual_access:  read_only
        .address_space:  global
        .offset:         72
        .size:           8
        .value_kind:     global_buffer
      - .offset:         80
        .size:           8
        .value_kind:     by_value
      - .address_space:  global
        .offset:         88
        .size:           8
        .value_kind:     global_buffer
      - .offset:         96
        .size:           4
        .value_kind:     by_value
      - .offset:         100
        .size:           1
        .value_kind:     by_value
    .group_segment_fixed_size: 5000
    .kernarg_segment_align: 8
    .kernarg_segment_size: 104
    .language:       OpenCL C
    .language_version:
      - 2
      - 0
    .max_flat_workgroup_size: 625
    .name:           _ZN9rocsparseL20bsrxmvn_17_32_kernelILj25EdlldddEEvT2_20rocsparse_direction_NS_24const_host_device_scalarIT0_EES1_PKS1_PKT1_SA_S7_PKT3_PKT4_S5_PT5_21rocsparse_index_base_b
    .private_segment_fixed_size: 0
    .sgpr_count:     22
    .sgpr_spill_count: 0
    .symbol:         _ZN9rocsparseL20bsrxmvn_17_32_kernelILj25EdlldddEEvT2_20rocsparse_direction_NS_24const_host_device_scalarIT0_EES1_PKS1_PKT1_SA_S7_PKT3_PKT4_S5_PT5_21rocsparse_index_base_b.kd
    .uniform_work_group_size: 1
    .uses_dynamic_stack: false
    .vgpr_count:     21
    .vgpr_spill_count: 0
    .wavefront_size: 32
    .workgroup_processor_mode: 1
  - .args:
      - .offset:         0
        .size:           8
        .value_kind:     by_value
      - .offset:         8
        .size:           4
        .value_kind:     by_value
      - .offset:         16
        .size:           8
        .value_kind:     by_value
      - .offset:         24
        .size:           8
        .value_kind:     by_value
      - .actual_access:  read_only
        .address_space:  global
        .offset:         32
        .size:           8
        .value_kind:     global_buffer
      - .actual_access:  read_only
        .address_space:  global
        .offset:         40
        .size:           8
        .value_kind:     global_buffer
      - .actual_access:  read_only
        .address_space:  global
        .offset:         48
        .size:           8
        .value_kind:     global_buffer
      - .actual_access:  read_only
        .address_space:  global
        .offset:         56
        .size:           8
        .value_kind:     global_buffer
      - .actual_access:  read_only
        .address_space:  global
        .offset:         64
        .size:           8
        .value_kind:     global_buffer
      - .actual_access:  read_only
        .address_space:  global
        .offset:         72
        .size:           8
        .value_kind:     global_buffer
      - .offset:         80
        .size:           8
        .value_kind:     by_value
      - .address_space:  global
        .offset:         88
        .size:           8
        .value_kind:     global_buffer
      - .offset:         96
        .size:           4
        .value_kind:     by_value
      - .offset:         100
        .size:           1
        .value_kind:     by_value
    .group_segment_fixed_size: 5408
    .kernarg_segment_align: 8
    .kernarg_segment_size: 104
    .language:       OpenCL C
    .language_version:
      - 2
      - 0
    .max_flat_workgroup_size: 676
    .name:           _ZN9rocsparseL20bsrxmvn_17_32_kernelILj26EdlldddEEvT2_20rocsparse_direction_NS_24const_host_device_scalarIT0_EES1_PKS1_PKT1_SA_S7_PKT3_PKT4_S5_PT5_21rocsparse_index_base_b
    .private_segment_fixed_size: 0
    .sgpr_count:     22
    .sgpr_spill_count: 0
    .symbol:         _ZN9rocsparseL20bsrxmvn_17_32_kernelILj26EdlldddEEvT2_20rocsparse_direction_NS_24const_host_device_scalarIT0_EES1_PKS1_PKT1_SA_S7_PKT3_PKT4_S5_PT5_21rocsparse_index_base_b.kd
    .uniform_work_group_size: 1
    .uses_dynamic_stack: false
    .vgpr_count:     21
    .vgpr_spill_count: 0
    .wavefront_size: 32
    .workgroup_processor_mode: 1
  - .args:
      - .offset:         0
        .size:           8
        .value_kind:     by_value
      - .offset:         8
        .size:           4
        .value_kind:     by_value
      - .offset:         16
        .size:           8
        .value_kind:     by_value
      - .offset:         24
        .size:           8
        .value_kind:     by_value
      - .actual_access:  read_only
        .address_space:  global
        .offset:         32
        .size:           8
        .value_kind:     global_buffer
      - .actual_access:  read_only
        .address_space:  global
        .offset:         40
        .size:           8
        .value_kind:     global_buffer
      - .actual_access:  read_only
        .address_space:  global
        .offset:         48
        .size:           8
        .value_kind:     global_buffer
      - .actual_access:  read_only
        .address_space:  global
        .offset:         56
        .size:           8
        .value_kind:     global_buffer
      - .actual_access:  read_only
        .address_space:  global
        .offset:         64
        .size:           8
        .value_kind:     global_buffer
      - .actual_access:  read_only
        .address_space:  global
        .offset:         72
        .size:           8
        .value_kind:     global_buffer
      - .offset:         80
        .size:           8
        .value_kind:     by_value
      - .address_space:  global
        .offset:         88
        .size:           8
        .value_kind:     global_buffer
      - .offset:         96
        .size:           4
        .value_kind:     by_value
      - .offset:         100
        .size:           1
        .value_kind:     by_value
    .group_segment_fixed_size: 5832
    .kernarg_segment_align: 8
    .kernarg_segment_size: 104
    .language:       OpenCL C
    .language_version:
      - 2
      - 0
    .max_flat_workgroup_size: 729
    .name:           _ZN9rocsparseL20bsrxmvn_17_32_kernelILj27EdlldddEEvT2_20rocsparse_direction_NS_24const_host_device_scalarIT0_EES1_PKS1_PKT1_SA_S7_PKT3_PKT4_S5_PT5_21rocsparse_index_base_b
    .private_segment_fixed_size: 0
    .sgpr_count:     22
    .sgpr_spill_count: 0
    .symbol:         _ZN9rocsparseL20bsrxmvn_17_32_kernelILj27EdlldddEEvT2_20rocsparse_direction_NS_24const_host_device_scalarIT0_EES1_PKS1_PKT1_SA_S7_PKT3_PKT4_S5_PT5_21rocsparse_index_base_b.kd
    .uniform_work_group_size: 1
    .uses_dynamic_stack: false
    .vgpr_count:     21
    .vgpr_spill_count: 0
    .wavefront_size: 32
    .workgroup_processor_mode: 1
  - .args:
      - .offset:         0
        .size:           8
        .value_kind:     by_value
      - .offset:         8
        .size:           4
        .value_kind:     by_value
      - .offset:         16
        .size:           8
        .value_kind:     by_value
      - .offset:         24
        .size:           8
        .value_kind:     by_value
      - .actual_access:  read_only
        .address_space:  global
        .offset:         32
        .size:           8
        .value_kind:     global_buffer
      - .actual_access:  read_only
        .address_space:  global
        .offset:         40
        .size:           8
        .value_kind:     global_buffer
      - .actual_access:  read_only
        .address_space:  global
        .offset:         48
        .size:           8
        .value_kind:     global_buffer
      - .actual_access:  read_only
        .address_space:  global
        .offset:         56
        .size:           8
        .value_kind:     global_buffer
      - .actual_access:  read_only
        .address_space:  global
        .offset:         64
        .size:           8
        .value_kind:     global_buffer
      - .actual_access:  read_only
        .address_space:  global
        .offset:         72
        .size:           8
        .value_kind:     global_buffer
      - .offset:         80
        .size:           8
        .value_kind:     by_value
      - .address_space:  global
        .offset:         88
        .size:           8
        .value_kind:     global_buffer
      - .offset:         96
        .size:           4
        .value_kind:     by_value
      - .offset:         100
        .size:           1
        .value_kind:     by_value
    .group_segment_fixed_size: 6272
    .kernarg_segment_align: 8
    .kernarg_segment_size: 104
    .language:       OpenCL C
    .language_version:
      - 2
      - 0
    .max_flat_workgroup_size: 784
    .name:           _ZN9rocsparseL20bsrxmvn_17_32_kernelILj28EdlldddEEvT2_20rocsparse_direction_NS_24const_host_device_scalarIT0_EES1_PKS1_PKT1_SA_S7_PKT3_PKT4_S5_PT5_21rocsparse_index_base_b
    .private_segment_fixed_size: 0
    .sgpr_count:     22
    .sgpr_spill_count: 0
    .symbol:         _ZN9rocsparseL20bsrxmvn_17_32_kernelILj28EdlldddEEvT2_20rocsparse_direction_NS_24const_host_device_scalarIT0_EES1_PKS1_PKT1_SA_S7_PKT3_PKT4_S5_PT5_21rocsparse_index_base_b.kd
    .uniform_work_group_size: 1
    .uses_dynamic_stack: false
    .vgpr_count:     21
    .vgpr_spill_count: 0
    .wavefront_size: 32
    .workgroup_processor_mode: 1
  - .args:
      - .offset:         0
        .size:           8
        .value_kind:     by_value
      - .offset:         8
        .size:           4
        .value_kind:     by_value
      - .offset:         16
        .size:           8
        .value_kind:     by_value
      - .offset:         24
        .size:           8
        .value_kind:     by_value
      - .actual_access:  read_only
        .address_space:  global
        .offset:         32
        .size:           8
        .value_kind:     global_buffer
      - .actual_access:  read_only
        .address_space:  global
        .offset:         40
        .size:           8
        .value_kind:     global_buffer
      - .actual_access:  read_only
        .address_space:  global
        .offset:         48
        .size:           8
        .value_kind:     global_buffer
      - .actual_access:  read_only
        .address_space:  global
        .offset:         56
        .size:           8
        .value_kind:     global_buffer
      - .actual_access:  read_only
        .address_space:  global
        .offset:         64
        .size:           8
        .value_kind:     global_buffer
      - .actual_access:  read_only
        .address_space:  global
        .offset:         72
        .size:           8
        .value_kind:     global_buffer
      - .offset:         80
        .size:           8
        .value_kind:     by_value
      - .address_space:  global
        .offset:         88
        .size:           8
        .value_kind:     global_buffer
      - .offset:         96
        .size:           4
        .value_kind:     by_value
      - .offset:         100
        .size:           1
        .value_kind:     by_value
    .group_segment_fixed_size: 6728
    .kernarg_segment_align: 8
    .kernarg_segment_size: 104
    .language:       OpenCL C
    .language_version:
      - 2
      - 0
    .max_flat_workgroup_size: 841
    .name:           _ZN9rocsparseL20bsrxmvn_17_32_kernelILj29EdlldddEEvT2_20rocsparse_direction_NS_24const_host_device_scalarIT0_EES1_PKS1_PKT1_SA_S7_PKT3_PKT4_S5_PT5_21rocsparse_index_base_b
    .private_segment_fixed_size: 0
    .sgpr_count:     22
    .sgpr_spill_count: 0
    .symbol:         _ZN9rocsparseL20bsrxmvn_17_32_kernelILj29EdlldddEEvT2_20rocsparse_direction_NS_24const_host_device_scalarIT0_EES1_PKS1_PKT1_SA_S7_PKT3_PKT4_S5_PT5_21rocsparse_index_base_b.kd
    .uniform_work_group_size: 1
    .uses_dynamic_stack: false
    .vgpr_count:     21
    .vgpr_spill_count: 0
    .wavefront_size: 32
    .workgroup_processor_mode: 1
  - .args:
      - .offset:         0
        .size:           8
        .value_kind:     by_value
      - .offset:         8
        .size:           4
        .value_kind:     by_value
      - .offset:         16
        .size:           8
        .value_kind:     by_value
      - .offset:         24
        .size:           8
        .value_kind:     by_value
      - .actual_access:  read_only
        .address_space:  global
        .offset:         32
        .size:           8
        .value_kind:     global_buffer
      - .actual_access:  read_only
        .address_space:  global
        .offset:         40
        .size:           8
        .value_kind:     global_buffer
      - .actual_access:  read_only
        .address_space:  global
        .offset:         48
        .size:           8
        .value_kind:     global_buffer
      - .actual_access:  read_only
        .address_space:  global
        .offset:         56
        .size:           8
        .value_kind:     global_buffer
      - .actual_access:  read_only
        .address_space:  global
        .offset:         64
        .size:           8
        .value_kind:     global_buffer
      - .actual_access:  read_only
        .address_space:  global
        .offset:         72
        .size:           8
        .value_kind:     global_buffer
      - .offset:         80
        .size:           8
        .value_kind:     by_value
      - .address_space:  global
        .offset:         88
        .size:           8
        .value_kind:     global_buffer
      - .offset:         96
        .size:           4
        .value_kind:     by_value
      - .offset:         100
        .size:           1
        .value_kind:     by_value
    .group_segment_fixed_size: 7200
    .kernarg_segment_align: 8
    .kernarg_segment_size: 104
    .language:       OpenCL C
    .language_version:
      - 2
      - 0
    .max_flat_workgroup_size: 900
    .name:           _ZN9rocsparseL20bsrxmvn_17_32_kernelILj30EdlldddEEvT2_20rocsparse_direction_NS_24const_host_device_scalarIT0_EES1_PKS1_PKT1_SA_S7_PKT3_PKT4_S5_PT5_21rocsparse_index_base_b
    .private_segment_fixed_size: 0
    .sgpr_count:     22
    .sgpr_spill_count: 0
    .symbol:         _ZN9rocsparseL20bsrxmvn_17_32_kernelILj30EdlldddEEvT2_20rocsparse_direction_NS_24const_host_device_scalarIT0_EES1_PKS1_PKT1_SA_S7_PKT3_PKT4_S5_PT5_21rocsparse_index_base_b.kd
    .uniform_work_group_size: 1
    .uses_dynamic_stack: false
    .vgpr_count:     21
    .vgpr_spill_count: 0
    .wavefront_size: 32
    .workgroup_processor_mode: 1
  - .args:
      - .offset:         0
        .size:           8
        .value_kind:     by_value
      - .offset:         8
        .size:           4
        .value_kind:     by_value
      - .offset:         16
        .size:           8
        .value_kind:     by_value
      - .offset:         24
        .size:           8
        .value_kind:     by_value
      - .actual_access:  read_only
        .address_space:  global
        .offset:         32
        .size:           8
        .value_kind:     global_buffer
      - .actual_access:  read_only
        .address_space:  global
        .offset:         40
        .size:           8
        .value_kind:     global_buffer
      - .actual_access:  read_only
        .address_space:  global
        .offset:         48
        .size:           8
        .value_kind:     global_buffer
      - .actual_access:  read_only
        .address_space:  global
        .offset:         56
        .size:           8
        .value_kind:     global_buffer
      - .actual_access:  read_only
        .address_space:  global
        .offset:         64
        .size:           8
        .value_kind:     global_buffer
      - .actual_access:  read_only
        .address_space:  global
        .offset:         72
        .size:           8
        .value_kind:     global_buffer
      - .offset:         80
        .size:           8
        .value_kind:     by_value
      - .address_space:  global
        .offset:         88
        .size:           8
        .value_kind:     global_buffer
      - .offset:         96
        .size:           4
        .value_kind:     by_value
      - .offset:         100
        .size:           1
        .value_kind:     by_value
    .group_segment_fixed_size: 7688
    .kernarg_segment_align: 8
    .kernarg_segment_size: 104
    .language:       OpenCL C
    .language_version:
      - 2
      - 0
    .max_flat_workgroup_size: 961
    .name:           _ZN9rocsparseL20bsrxmvn_17_32_kernelILj31EdlldddEEvT2_20rocsparse_direction_NS_24const_host_device_scalarIT0_EES1_PKS1_PKT1_SA_S7_PKT3_PKT4_S5_PT5_21rocsparse_index_base_b
    .private_segment_fixed_size: 0
    .sgpr_count:     22
    .sgpr_spill_count: 0
    .symbol:         _ZN9rocsparseL20bsrxmvn_17_32_kernelILj31EdlldddEEvT2_20rocsparse_direction_NS_24const_host_device_scalarIT0_EES1_PKS1_PKT1_SA_S7_PKT3_PKT4_S5_PT5_21rocsparse_index_base_b.kd
    .uniform_work_group_size: 1
    .uses_dynamic_stack: false
    .vgpr_count:     21
    .vgpr_spill_count: 0
    .wavefront_size: 32
    .workgroup_processor_mode: 1
  - .args:
      - .offset:         0
        .size:           8
        .value_kind:     by_value
      - .offset:         8
        .size:           4
        .value_kind:     by_value
      - .offset:         16
        .size:           8
        .value_kind:     by_value
      - .offset:         24
        .size:           8
        .value_kind:     by_value
      - .actual_access:  read_only
        .address_space:  global
        .offset:         32
        .size:           8
        .value_kind:     global_buffer
      - .actual_access:  read_only
        .address_space:  global
        .offset:         40
        .size:           8
        .value_kind:     global_buffer
      - .actual_access:  read_only
        .address_space:  global
        .offset:         48
        .size:           8
        .value_kind:     global_buffer
      - .actual_access:  read_only
        .address_space:  global
        .offset:         56
        .size:           8
        .value_kind:     global_buffer
      - .actual_access:  read_only
        .address_space:  global
        .offset:         64
        .size:           8
        .value_kind:     global_buffer
      - .actual_access:  read_only
        .address_space:  global
        .offset:         72
        .size:           8
        .value_kind:     global_buffer
      - .offset:         80
        .size:           8
        .value_kind:     by_value
      - .address_space:  global
        .offset:         88
        .size:           8
        .value_kind:     global_buffer
      - .offset:         96
        .size:           4
        .value_kind:     by_value
      - .offset:         100
        .size:           1
        .value_kind:     by_value
    .group_segment_fixed_size: 8192
    .kernarg_segment_align: 8
    .kernarg_segment_size: 104
    .language:       OpenCL C
    .language_version:
      - 2
      - 0
    .max_flat_workgroup_size: 1024
    .name:           _ZN9rocsparseL20bsrxmvn_17_32_kernelILj32EdlldddEEvT2_20rocsparse_direction_NS_24const_host_device_scalarIT0_EES1_PKS1_PKT1_SA_S7_PKT3_PKT4_S5_PT5_21rocsparse_index_base_b
    .private_segment_fixed_size: 0
    .sgpr_count:     24
    .sgpr_spill_count: 0
    .symbol:         _ZN9rocsparseL20bsrxmvn_17_32_kernelILj32EdlldddEEvT2_20rocsparse_direction_NS_24const_host_device_scalarIT0_EES1_PKS1_PKT1_SA_S7_PKT3_PKT4_S5_PT5_21rocsparse_index_base_b.kd
    .uniform_work_group_size: 1
    .uses_dynamic_stack: false
    .vgpr_count:     16
    .vgpr_spill_count: 0
    .wavefront_size: 32
    .workgroup_processor_mode: 1
  - .args:
      - .offset:         0
        .size:           8
        .value_kind:     by_value
      - .offset:         8
        .size:           4
        .value_kind:     by_value
      - .offset:         16
        .size:           8
        .value_kind:     by_value
      - .offset:         24
        .size:           8
        .value_kind:     by_value
      - .actual_access:  read_only
        .address_space:  global
        .offset:         32
        .size:           8
        .value_kind:     global_buffer
      - .actual_access:  read_only
        .address_space:  global
        .offset:         40
        .size:           8
        .value_kind:     global_buffer
      - .actual_access:  read_only
        .address_space:  global
        .offset:         48
        .size:           8
        .value_kind:     global_buffer
      - .actual_access:  read_only
        .address_space:  global
        .offset:         56
        .size:           8
        .value_kind:     global_buffer
      - .actual_access:  read_only
        .address_space:  global
        .offset:         64
        .size:           8
        .value_kind:     global_buffer
      - .actual_access:  read_only
        .address_space:  global
        .offset:         72
        .size:           8
        .value_kind:     global_buffer
      - .offset:         80
        .size:           8
        .value_kind:     by_value
      - .address_space:  global
        .offset:         88
        .size:           8
        .value_kind:     global_buffer
      - .offset:         96
        .size:           4
        .value_kind:     by_value
      - .offset:         100
        .size:           1
        .value_kind:     by_value
    .group_segment_fixed_size: 2312
    .kernarg_segment_align: 8
    .kernarg_segment_size: 104
    .language:       OpenCL C
    .language_version:
      - 2
      - 0
    .max_flat_workgroup_size: 289
    .name:           _ZN9rocsparseL20bsrxmvn_17_32_kernelILj17E21rocsparse_complex_numIfEllS2_S2_S2_EEvT2_20rocsparse_direction_NS_24const_host_device_scalarIT0_EES3_PKS3_PKT1_SC_S9_PKT3_PKT4_S7_PT5_21rocsparse_index_base_b
    .private_segment_fixed_size: 0
    .sgpr_count:     24
    .sgpr_spill_count: 0
    .symbol:         _ZN9rocsparseL20bsrxmvn_17_32_kernelILj17E21rocsparse_complex_numIfEllS2_S2_S2_EEvT2_20rocsparse_direction_NS_24const_host_device_scalarIT0_EES3_PKS3_PKT1_SC_S9_PKT3_PKT4_S7_PT5_21rocsparse_index_base_b.kd
    .uniform_work_group_size: 1
    .uses_dynamic_stack: false
    .vgpr_count:     21
    .vgpr_spill_count: 0
    .wavefront_size: 32
    .workgroup_processor_mode: 1
  - .args:
      - .offset:         0
        .size:           8
        .value_kind:     by_value
      - .offset:         8
        .size:           4
        .value_kind:     by_value
      - .offset:         16
        .size:           8
        .value_kind:     by_value
      - .offset:         24
        .size:           8
        .value_kind:     by_value
      - .actual_access:  read_only
        .address_space:  global
        .offset:         32
        .size:           8
        .value_kind:     global_buffer
      - .actual_access:  read_only
        .address_space:  global
        .offset:         40
        .size:           8
        .value_kind:     global_buffer
      - .actual_access:  read_only
        .address_space:  global
        .offset:         48
        .size:           8
        .value_kind:     global_buffer
      - .actual_access:  read_only
        .address_space:  global
        .offset:         56
        .size:           8
        .value_kind:     global_buffer
      - .actual_access:  read_only
        .address_space:  global
        .offset:         64
        .size:           8
        .value_kind:     global_buffer
      - .actual_access:  read_only
        .address_space:  global
        .offset:         72
        .size:           8
        .value_kind:     global_buffer
      - .offset:         80
        .size:           8
        .value_kind:     by_value
      - .address_space:  global
        .offset:         88
        .size:           8
        .value_kind:     global_buffer
      - .offset:         96
        .size:           4
        .value_kind:     by_value
      - .offset:         100
        .size:           1
        .value_kind:     by_value
    .group_segment_fixed_size: 2592
    .kernarg_segment_align: 8
    .kernarg_segment_size: 104
    .language:       OpenCL C
    .language_version:
      - 2
      - 0
    .max_flat_workgroup_size: 324
    .name:           _ZN9rocsparseL20bsrxmvn_17_32_kernelILj18E21rocsparse_complex_numIfEllS2_S2_S2_EEvT2_20rocsparse_direction_NS_24const_host_device_scalarIT0_EES3_PKS3_PKT1_SC_S9_PKT3_PKT4_S7_PT5_21rocsparse_index_base_b
    .private_segment_fixed_size: 0
    .sgpr_count:     24
    .sgpr_spill_count: 0
    .symbol:         _ZN9rocsparseL20bsrxmvn_17_32_kernelILj18E21rocsparse_complex_numIfEllS2_S2_S2_EEvT2_20rocsparse_direction_NS_24const_host_device_scalarIT0_EES3_PKS3_PKT1_SC_S9_PKT3_PKT4_S7_PT5_21rocsparse_index_base_b.kd
    .uniform_work_group_size: 1
    .uses_dynamic_stack: false
    .vgpr_count:     21
    .vgpr_spill_count: 0
    .wavefront_size: 32
    .workgroup_processor_mode: 1
  - .args:
      - .offset:         0
        .size:           8
        .value_kind:     by_value
      - .offset:         8
        .size:           4
        .value_kind:     by_value
      - .offset:         16
        .size:           8
        .value_kind:     by_value
      - .offset:         24
        .size:           8
        .value_kind:     by_value
      - .actual_access:  read_only
        .address_space:  global
        .offset:         32
        .size:           8
        .value_kind:     global_buffer
      - .actual_access:  read_only
        .address_space:  global
        .offset:         40
        .size:           8
        .value_kind:     global_buffer
      - .actual_access:  read_only
        .address_space:  global
        .offset:         48
        .size:           8
        .value_kind:     global_buffer
      - .actual_access:  read_only
        .address_space:  global
        .offset:         56
        .size:           8
        .value_kind:     global_buffer
      - .actual_access:  read_only
        .address_space:  global
        .offset:         64
        .size:           8
        .value_kind:     global_buffer
      - .actual_access:  read_only
        .address_space:  global
        .offset:         72
        .size:           8
        .value_kind:     global_buffer
      - .offset:         80
        .size:           8
        .value_kind:     by_value
      - .address_space:  global
        .offset:         88
        .size:           8
        .value_kind:     global_buffer
      - .offset:         96
        .size:           4
        .value_kind:     by_value
      - .offset:         100
        .size:           1
        .value_kind:     by_value
    .group_segment_fixed_size: 2888
    .kernarg_segment_align: 8
    .kernarg_segment_size: 104
    .language:       OpenCL C
    .language_version:
      - 2
      - 0
    .max_flat_workgroup_size: 361
    .name:           _ZN9rocsparseL20bsrxmvn_17_32_kernelILj19E21rocsparse_complex_numIfEllS2_S2_S2_EEvT2_20rocsparse_direction_NS_24const_host_device_scalarIT0_EES3_PKS3_PKT1_SC_S9_PKT3_PKT4_S7_PT5_21rocsparse_index_base_b
    .private_segment_fixed_size: 0
    .sgpr_count:     24
    .sgpr_spill_count: 0
    .symbol:         _ZN9rocsparseL20bsrxmvn_17_32_kernelILj19E21rocsparse_complex_numIfEllS2_S2_S2_EEvT2_20rocsparse_direction_NS_24const_host_device_scalarIT0_EES3_PKS3_PKT1_SC_S9_PKT3_PKT4_S7_PT5_21rocsparse_index_base_b.kd
    .uniform_work_group_size: 1
    .uses_dynamic_stack: false
    .vgpr_count:     21
    .vgpr_spill_count: 0
    .wavefront_size: 32
    .workgroup_processor_mode: 1
  - .args:
      - .offset:         0
        .size:           8
        .value_kind:     by_value
      - .offset:         8
        .size:           4
        .value_kind:     by_value
      - .offset:         16
        .size:           8
        .value_kind:     by_value
      - .offset:         24
        .size:           8
        .value_kind:     by_value
      - .actual_access:  read_only
        .address_space:  global
        .offset:         32
        .size:           8
        .value_kind:     global_buffer
      - .actual_access:  read_only
        .address_space:  global
        .offset:         40
        .size:           8
        .value_kind:     global_buffer
      - .actual_access:  read_only
        .address_space:  global
        .offset:         48
        .size:           8
        .value_kind:     global_buffer
      - .actual_access:  read_only
        .address_space:  global
        .offset:         56
        .size:           8
        .value_kind:     global_buffer
      - .actual_access:  read_only
        .address_space:  global
        .offset:         64
        .size:           8
        .value_kind:     global_buffer
      - .actual_access:  read_only
        .address_space:  global
        .offset:         72
        .size:           8
        .value_kind:     global_buffer
      - .offset:         80
        .size:           8
        .value_kind:     by_value
      - .address_space:  global
        .offset:         88
        .size:           8
        .value_kind:     global_buffer
      - .offset:         96
        .size:           4
        .value_kind:     by_value
      - .offset:         100
        .size:           1
        .value_kind:     by_value
    .group_segment_fixed_size: 3200
    .kernarg_segment_align: 8
    .kernarg_segment_size: 104
    .language:       OpenCL C
    .language_version:
      - 2
      - 0
    .max_flat_workgroup_size: 400
    .name:           _ZN9rocsparseL20bsrxmvn_17_32_kernelILj20E21rocsparse_complex_numIfEllS2_S2_S2_EEvT2_20rocsparse_direction_NS_24const_host_device_scalarIT0_EES3_PKS3_PKT1_SC_S9_PKT3_PKT4_S7_PT5_21rocsparse_index_base_b
    .private_segment_fixed_size: 0
    .sgpr_count:     24
    .sgpr_spill_count: 0
    .symbol:         _ZN9rocsparseL20bsrxmvn_17_32_kernelILj20E21rocsparse_complex_numIfEllS2_S2_S2_EEvT2_20rocsparse_direction_NS_24const_host_device_scalarIT0_EES3_PKS3_PKT1_SC_S9_PKT3_PKT4_S7_PT5_21rocsparse_index_base_b.kd
    .uniform_work_group_size: 1
    .uses_dynamic_stack: false
    .vgpr_count:     21
    .vgpr_spill_count: 0
    .wavefront_size: 32
    .workgroup_processor_mode: 1
  - .args:
      - .offset:         0
        .size:           8
        .value_kind:     by_value
      - .offset:         8
        .size:           4
        .value_kind:     by_value
      - .offset:         16
        .size:           8
        .value_kind:     by_value
      - .offset:         24
        .size:           8
        .value_kind:     by_value
      - .actual_access:  read_only
        .address_space:  global
        .offset:         32
        .size:           8
        .value_kind:     global_buffer
      - .actual_access:  read_only
        .address_space:  global
        .offset:         40
        .size:           8
        .value_kind:     global_buffer
      - .actual_access:  read_only
        .address_space:  global
        .offset:         48
        .size:           8
        .value_kind:     global_buffer
      - .actual_access:  read_only
        .address_space:  global
        .offset:         56
        .size:           8
        .value_kind:     global_buffer
      - .actual_access:  read_only
        .address_space:  global
        .offset:         64
        .size:           8
        .value_kind:     global_buffer
      - .actual_access:  read_only
        .address_space:  global
        .offset:         72
        .size:           8
        .value_kind:     global_buffer
      - .offset:         80
        .size:           8
        .value_kind:     by_value
      - .address_space:  global
        .offset:         88
        .size:           8
        .value_kind:     global_buffer
      - .offset:         96
        .size:           4
        .value_kind:     by_value
      - .offset:         100
        .size:           1
        .value_kind:     by_value
    .group_segment_fixed_size: 3528
    .kernarg_segment_align: 8
    .kernarg_segment_size: 104
    .language:       OpenCL C
    .language_version:
      - 2
      - 0
    .max_flat_workgroup_size: 441
    .name:           _ZN9rocsparseL20bsrxmvn_17_32_kernelILj21E21rocsparse_complex_numIfEllS2_S2_S2_EEvT2_20rocsparse_direction_NS_24const_host_device_scalarIT0_EES3_PKS3_PKT1_SC_S9_PKT3_PKT4_S7_PT5_21rocsparse_index_base_b
    .private_segment_fixed_size: 0
    .sgpr_count:     24
    .sgpr_spill_count: 0
    .symbol:         _ZN9rocsparseL20bsrxmvn_17_32_kernelILj21E21rocsparse_complex_numIfEllS2_S2_S2_EEvT2_20rocsparse_direction_NS_24const_host_device_scalarIT0_EES3_PKS3_PKT1_SC_S9_PKT3_PKT4_S7_PT5_21rocsparse_index_base_b.kd
    .uniform_work_group_size: 1
    .uses_dynamic_stack: false
    .vgpr_count:     21
    .vgpr_spill_count: 0
    .wavefront_size: 32
    .workgroup_processor_mode: 1
  - .args:
      - .offset:         0
        .size:           8
        .value_kind:     by_value
      - .offset:         8
        .size:           4
        .value_kind:     by_value
      - .offset:         16
        .size:           8
        .value_kind:     by_value
      - .offset:         24
        .size:           8
        .value_kind:     by_value
      - .actual_access:  read_only
        .address_space:  global
        .offset:         32
        .size:           8
        .value_kind:     global_buffer
      - .actual_access:  read_only
        .address_space:  global
        .offset:         40
        .size:           8
        .value_kind:     global_buffer
      - .actual_access:  read_only
        .address_space:  global
        .offset:         48
        .size:           8
        .value_kind:     global_buffer
      - .actual_access:  read_only
        .address_space:  global
        .offset:         56
        .size:           8
        .value_kind:     global_buffer
      - .actual_access:  read_only
        .address_space:  global
        .offset:         64
        .size:           8
        .value_kind:     global_buffer
      - .actual_access:  read_only
        .address_space:  global
        .offset:         72
        .size:           8
        .value_kind:     global_buffer
      - .offset:         80
        .size:           8
        .value_kind:     by_value
      - .address_space:  global
        .offset:         88
        .size:           8
        .value_kind:     global_buffer
      - .offset:         96
        .size:           4
        .value_kind:     by_value
      - .offset:         100
        .size:           1
        .value_kind:     by_value
    .group_segment_fixed_size: 3872
    .kernarg_segment_align: 8
    .kernarg_segment_size: 104
    .language:       OpenCL C
    .language_version:
      - 2
      - 0
    .max_flat_workgroup_size: 484
    .name:           _ZN9rocsparseL20bsrxmvn_17_32_kernelILj22E21rocsparse_complex_numIfEllS2_S2_S2_EEvT2_20rocsparse_direction_NS_24const_host_device_scalarIT0_EES3_PKS3_PKT1_SC_S9_PKT3_PKT4_S7_PT5_21rocsparse_index_base_b
    .private_segment_fixed_size: 0
    .sgpr_count:     24
    .sgpr_spill_count: 0
    .symbol:         _ZN9rocsparseL20bsrxmvn_17_32_kernelILj22E21rocsparse_complex_numIfEllS2_S2_S2_EEvT2_20rocsparse_direction_NS_24const_host_device_scalarIT0_EES3_PKS3_PKT1_SC_S9_PKT3_PKT4_S7_PT5_21rocsparse_index_base_b.kd
    .uniform_work_group_size: 1
    .uses_dynamic_stack: false
    .vgpr_count:     21
    .vgpr_spill_count: 0
    .wavefront_size: 32
    .workgroup_processor_mode: 1
  - .args:
      - .offset:         0
        .size:           8
        .value_kind:     by_value
      - .offset:         8
        .size:           4
        .value_kind:     by_value
      - .offset:         16
        .size:           8
        .value_kind:     by_value
      - .offset:         24
        .size:           8
        .value_kind:     by_value
      - .actual_access:  read_only
        .address_space:  global
        .offset:         32
        .size:           8
        .value_kind:     global_buffer
      - .actual_access:  read_only
        .address_space:  global
        .offset:         40
        .size:           8
        .value_kind:     global_buffer
      - .actual_access:  read_only
        .address_space:  global
        .offset:         48
        .size:           8
        .value_kind:     global_buffer
      - .actual_access:  read_only
        .address_space:  global
        .offset:         56
        .size:           8
        .value_kind:     global_buffer
      - .actual_access:  read_only
        .address_space:  global
        .offset:         64
        .size:           8
        .value_kind:     global_buffer
      - .actual_access:  read_only
        .address_space:  global
        .offset:         72
        .size:           8
        .value_kind:     global_buffer
      - .offset:         80
        .size:           8
        .value_kind:     by_value
      - .address_space:  global
        .offset:         88
        .size:           8
        .value_kind:     global_buffer
      - .offset:         96
        .size:           4
        .value_kind:     by_value
      - .offset:         100
        .size:           1
        .value_kind:     by_value
    .group_segment_fixed_size: 4232
    .kernarg_segment_align: 8
    .kernarg_segment_size: 104
    .language:       OpenCL C
    .language_version:
      - 2
      - 0
    .max_flat_workgroup_size: 529
    .name:           _ZN9rocsparseL20bsrxmvn_17_32_kernelILj23E21rocsparse_complex_numIfEllS2_S2_S2_EEvT2_20rocsparse_direction_NS_24const_host_device_scalarIT0_EES3_PKS3_PKT1_SC_S9_PKT3_PKT4_S7_PT5_21rocsparse_index_base_b
    .private_segment_fixed_size: 0
    .sgpr_count:     22
    .sgpr_spill_count: 0
    .symbol:         _ZN9rocsparseL20bsrxmvn_17_32_kernelILj23E21rocsparse_complex_numIfEllS2_S2_S2_EEvT2_20rocsparse_direction_NS_24const_host_device_scalarIT0_EES3_PKS3_PKT1_SC_S9_PKT3_PKT4_S7_PT5_21rocsparse_index_base_b.kd
    .uniform_work_group_size: 1
    .uses_dynamic_stack: false
    .vgpr_count:     21
    .vgpr_spill_count: 0
    .wavefront_size: 32
    .workgroup_processor_mode: 1
  - .args:
      - .offset:         0
        .size:           8
        .value_kind:     by_value
      - .offset:         8
        .size:           4
        .value_kind:     by_value
      - .offset:         16
        .size:           8
        .value_kind:     by_value
      - .offset:         24
        .size:           8
        .value_kind:     by_value
      - .actual_access:  read_only
        .address_space:  global
        .offset:         32
        .size:           8
        .value_kind:     global_buffer
      - .actual_access:  read_only
        .address_space:  global
        .offset:         40
        .size:           8
        .value_kind:     global_buffer
      - .actual_access:  read_only
        .address_space:  global
        .offset:         48
        .size:           8
        .value_kind:     global_buffer
      - .actual_access:  read_only
        .address_space:  global
        .offset:         56
        .size:           8
        .value_kind:     global_buffer
      - .actual_access:  read_only
        .address_space:  global
        .offset:         64
        .size:           8
        .value_kind:     global_buffer
      - .actual_access:  read_only
        .address_space:  global
        .offset:         72
        .size:           8
        .value_kind:     global_buffer
      - .offset:         80
        .size:           8
        .value_kind:     by_value
      - .address_space:  global
        .offset:         88
        .size:           8
        .value_kind:     global_buffer
      - .offset:         96
        .size:           4
        .value_kind:     by_value
      - .offset:         100
        .size:           1
        .value_kind:     by_value
    .group_segment_fixed_size: 4608
    .kernarg_segment_align: 8
    .kernarg_segment_size: 104
    .language:       OpenCL C
    .language_version:
      - 2
      - 0
    .max_flat_workgroup_size: 576
    .name:           _ZN9rocsparseL20bsrxmvn_17_32_kernelILj24E21rocsparse_complex_numIfEllS2_S2_S2_EEvT2_20rocsparse_direction_NS_24const_host_device_scalarIT0_EES3_PKS3_PKT1_SC_S9_PKT3_PKT4_S7_PT5_21rocsparse_index_base_b
    .private_segment_fixed_size: 0
    .sgpr_count:     22
    .sgpr_spill_count: 0
    .symbol:         _ZN9rocsparseL20bsrxmvn_17_32_kernelILj24E21rocsparse_complex_numIfEllS2_S2_S2_EEvT2_20rocsparse_direction_NS_24const_host_device_scalarIT0_EES3_PKS3_PKT1_SC_S9_PKT3_PKT4_S7_PT5_21rocsparse_index_base_b.kd
    .uniform_work_group_size: 1
    .uses_dynamic_stack: false
    .vgpr_count:     21
    .vgpr_spill_count: 0
    .wavefront_size: 32
    .workgroup_processor_mode: 1
  - .args:
      - .offset:         0
        .size:           8
        .value_kind:     by_value
      - .offset:         8
        .size:           4
        .value_kind:     by_value
      - .offset:         16
        .size:           8
        .value_kind:     by_value
      - .offset:         24
        .size:           8
        .value_kind:     by_value
      - .actual_access:  read_only
        .address_space:  global
        .offset:         32
        .size:           8
        .value_kind:     global_buffer
      - .actual_access:  read_only
        .address_space:  global
        .offset:         40
        .size:           8
        .value_kind:     global_buffer
      - .actual_access:  read_only
        .address_space:  global
        .offset:         48
        .size:           8
        .value_kind:     global_buffer
      - .actual_access:  read_only
        .address_space:  global
        .offset:         56
        .size:           8
        .value_kind:     global_buffer
      - .actual_access:  read_only
        .address_space:  global
        .offset:         64
        .size:           8
        .value_kind:     global_buffer
      - .actual_access:  read_only
        .address_space:  global
        .offset:         72
        .size:           8
        .value_kind:     global_buffer
      - .offset:         80
        .size:           8
        .value_kind:     by_value
      - .address_space:  global
        .offset:         88
        .size:           8
        .value_kind:     global_buffer
      - .offset:         96
        .size:           4
        .value_kind:     by_value
      - .offset:         100
        .size:           1
        .value_kind:     by_value
    .group_segment_fixed_size: 5000
    .kernarg_segment_align: 8
    .kernarg_segment_size: 104
    .language:       OpenCL C
    .language_version:
      - 2
      - 0
    .max_flat_workgroup_size: 625
    .name:           _ZN9rocsparseL20bsrxmvn_17_32_kernelILj25E21rocsparse_complex_numIfEllS2_S2_S2_EEvT2_20rocsparse_direction_NS_24const_host_device_scalarIT0_EES3_PKS3_PKT1_SC_S9_PKT3_PKT4_S7_PT5_21rocsparse_index_base_b
    .private_segment_fixed_size: 0
    .sgpr_count:     22
    .sgpr_spill_count: 0
    .symbol:         _ZN9rocsparseL20bsrxmvn_17_32_kernelILj25E21rocsparse_complex_numIfEllS2_S2_S2_EEvT2_20rocsparse_direction_NS_24const_host_device_scalarIT0_EES3_PKS3_PKT1_SC_S9_PKT3_PKT4_S7_PT5_21rocsparse_index_base_b.kd
    .uniform_work_group_size: 1
    .uses_dynamic_stack: false
    .vgpr_count:     21
    .vgpr_spill_count: 0
    .wavefront_size: 32
    .workgroup_processor_mode: 1
  - .args:
      - .offset:         0
        .size:           8
        .value_kind:     by_value
      - .offset:         8
        .size:           4
        .value_kind:     by_value
      - .offset:         16
        .size:           8
        .value_kind:     by_value
      - .offset:         24
        .size:           8
        .value_kind:     by_value
      - .actual_access:  read_only
        .address_space:  global
        .offset:         32
        .size:           8
        .value_kind:     global_buffer
      - .actual_access:  read_only
        .address_space:  global
        .offset:         40
        .size:           8
        .value_kind:     global_buffer
      - .actual_access:  read_only
        .address_space:  global
        .offset:         48
        .size:           8
        .value_kind:     global_buffer
      - .actual_access:  read_only
        .address_space:  global
        .offset:         56
        .size:           8
        .value_kind:     global_buffer
      - .actual_access:  read_only
        .address_space:  global
        .offset:         64
        .size:           8
        .value_kind:     global_buffer
      - .actual_access:  read_only
        .address_space:  global
        .offset:         72
        .size:           8
        .value_kind:     global_buffer
      - .offset:         80
        .size:           8
        .value_kind:     by_value
      - .address_space:  global
        .offset:         88
        .size:           8
        .value_kind:     global_buffer
      - .offset:         96
        .size:           4
        .value_kind:     by_value
      - .offset:         100
        .size:           1
        .value_kind:     by_value
    .group_segment_fixed_size: 5408
    .kernarg_segment_align: 8
    .kernarg_segment_size: 104
    .language:       OpenCL C
    .language_version:
      - 2
      - 0
    .max_flat_workgroup_size: 676
    .name:           _ZN9rocsparseL20bsrxmvn_17_32_kernelILj26E21rocsparse_complex_numIfEllS2_S2_S2_EEvT2_20rocsparse_direction_NS_24const_host_device_scalarIT0_EES3_PKS3_PKT1_SC_S9_PKT3_PKT4_S7_PT5_21rocsparse_index_base_b
    .private_segment_fixed_size: 0
    .sgpr_count:     22
    .sgpr_spill_count: 0
    .symbol:         _ZN9rocsparseL20bsrxmvn_17_32_kernelILj26E21rocsparse_complex_numIfEllS2_S2_S2_EEvT2_20rocsparse_direction_NS_24const_host_device_scalarIT0_EES3_PKS3_PKT1_SC_S9_PKT3_PKT4_S7_PT5_21rocsparse_index_base_b.kd
    .uniform_work_group_size: 1
    .uses_dynamic_stack: false
    .vgpr_count:     21
    .vgpr_spill_count: 0
    .wavefront_size: 32
    .workgroup_processor_mode: 1
  - .args:
      - .offset:         0
        .size:           8
        .value_kind:     by_value
      - .offset:         8
        .size:           4
        .value_kind:     by_value
      - .offset:         16
        .size:           8
        .value_kind:     by_value
      - .offset:         24
        .size:           8
        .value_kind:     by_value
      - .actual_access:  read_only
        .address_space:  global
        .offset:         32
        .size:           8
        .value_kind:     global_buffer
      - .actual_access:  read_only
        .address_space:  global
        .offset:         40
        .size:           8
        .value_kind:     global_buffer
      - .actual_access:  read_only
        .address_space:  global
        .offset:         48
        .size:           8
        .value_kind:     global_buffer
      - .actual_access:  read_only
        .address_space:  global
        .offset:         56
        .size:           8
        .value_kind:     global_buffer
      - .actual_access:  read_only
        .address_space:  global
        .offset:         64
        .size:           8
        .value_kind:     global_buffer
      - .actual_access:  read_only
        .address_space:  global
        .offset:         72
        .size:           8
        .value_kind:     global_buffer
      - .offset:         80
        .size:           8
        .value_kind:     by_value
      - .address_space:  global
        .offset:         88
        .size:           8
        .value_kind:     global_buffer
      - .offset:         96
        .size:           4
        .value_kind:     by_value
      - .offset:         100
        .size:           1
        .value_kind:     by_value
    .group_segment_fixed_size: 5832
    .kernarg_segment_align: 8
    .kernarg_segment_size: 104
    .language:       OpenCL C
    .language_version:
      - 2
      - 0
    .max_flat_workgroup_size: 729
    .name:           _ZN9rocsparseL20bsrxmvn_17_32_kernelILj27E21rocsparse_complex_numIfEllS2_S2_S2_EEvT2_20rocsparse_direction_NS_24const_host_device_scalarIT0_EES3_PKS3_PKT1_SC_S9_PKT3_PKT4_S7_PT5_21rocsparse_index_base_b
    .private_segment_fixed_size: 0
    .sgpr_count:     22
    .sgpr_spill_count: 0
    .symbol:         _ZN9rocsparseL20bsrxmvn_17_32_kernelILj27E21rocsparse_complex_numIfEllS2_S2_S2_EEvT2_20rocsparse_direction_NS_24const_host_device_scalarIT0_EES3_PKS3_PKT1_SC_S9_PKT3_PKT4_S7_PT5_21rocsparse_index_base_b.kd
    .uniform_work_group_size: 1
    .uses_dynamic_stack: false
    .vgpr_count:     21
    .vgpr_spill_count: 0
    .wavefront_size: 32
    .workgroup_processor_mode: 1
  - .args:
      - .offset:         0
        .size:           8
        .value_kind:     by_value
      - .offset:         8
        .size:           4
        .value_kind:     by_value
      - .offset:         16
        .size:           8
        .value_kind:     by_value
      - .offset:         24
        .size:           8
        .value_kind:     by_value
      - .actual_access:  read_only
        .address_space:  global
        .offset:         32
        .size:           8
        .value_kind:     global_buffer
      - .actual_access:  read_only
        .address_space:  global
        .offset:         40
        .size:           8
        .value_kind:     global_buffer
      - .actual_access:  read_only
        .address_space:  global
        .offset:         48
        .size:           8
        .value_kind:     global_buffer
      - .actual_access:  read_only
        .address_space:  global
        .offset:         56
        .size:           8
        .value_kind:     global_buffer
      - .actual_access:  read_only
        .address_space:  global
        .offset:         64
        .size:           8
        .value_kind:     global_buffer
      - .actual_access:  read_only
        .address_space:  global
        .offset:         72
        .size:           8
        .value_kind:     global_buffer
      - .offset:         80
        .size:           8
        .value_kind:     by_value
      - .address_space:  global
        .offset:         88
        .size:           8
        .value_kind:     global_buffer
      - .offset:         96
        .size:           4
        .value_kind:     by_value
      - .offset:         100
        .size:           1
        .value_kind:     by_value
    .group_segment_fixed_size: 6272
    .kernarg_segment_align: 8
    .kernarg_segment_size: 104
    .language:       OpenCL C
    .language_version:
      - 2
      - 0
    .max_flat_workgroup_size: 784
    .name:           _ZN9rocsparseL20bsrxmvn_17_32_kernelILj28E21rocsparse_complex_numIfEllS2_S2_S2_EEvT2_20rocsparse_direction_NS_24const_host_device_scalarIT0_EES3_PKS3_PKT1_SC_S9_PKT3_PKT4_S7_PT5_21rocsparse_index_base_b
    .private_segment_fixed_size: 0
    .sgpr_count:     22
    .sgpr_spill_count: 0
    .symbol:         _ZN9rocsparseL20bsrxmvn_17_32_kernelILj28E21rocsparse_complex_numIfEllS2_S2_S2_EEvT2_20rocsparse_direction_NS_24const_host_device_scalarIT0_EES3_PKS3_PKT1_SC_S9_PKT3_PKT4_S7_PT5_21rocsparse_index_base_b.kd
    .uniform_work_group_size: 1
    .uses_dynamic_stack: false
    .vgpr_count:     21
    .vgpr_spill_count: 0
    .wavefront_size: 32
    .workgroup_processor_mode: 1
  - .args:
      - .offset:         0
        .size:           8
        .value_kind:     by_value
      - .offset:         8
        .size:           4
        .value_kind:     by_value
      - .offset:         16
        .size:           8
        .value_kind:     by_value
      - .offset:         24
        .size:           8
        .value_kind:     by_value
      - .actual_access:  read_only
        .address_space:  global
        .offset:         32
        .size:           8
        .value_kind:     global_buffer
      - .actual_access:  read_only
        .address_space:  global
        .offset:         40
        .size:           8
        .value_kind:     global_buffer
      - .actual_access:  read_only
        .address_space:  global
        .offset:         48
        .size:           8
        .value_kind:     global_buffer
      - .actual_access:  read_only
        .address_space:  global
        .offset:         56
        .size:           8
        .value_kind:     global_buffer
      - .actual_access:  read_only
        .address_space:  global
        .offset:         64
        .size:           8
        .value_kind:     global_buffer
      - .actual_access:  read_only
        .address_space:  global
        .offset:         72
        .size:           8
        .value_kind:     global_buffer
      - .offset:         80
        .size:           8
        .value_kind:     by_value
      - .address_space:  global
        .offset:         88
        .size:           8
        .value_kind:     global_buffer
      - .offset:         96
        .size:           4
        .value_kind:     by_value
      - .offset:         100
        .size:           1
        .value_kind:     by_value
    .group_segment_fixed_size: 6728
    .kernarg_segment_align: 8
    .kernarg_segment_size: 104
    .language:       OpenCL C
    .language_version:
      - 2
      - 0
    .max_flat_workgroup_size: 841
    .name:           _ZN9rocsparseL20bsrxmvn_17_32_kernelILj29E21rocsparse_complex_numIfEllS2_S2_S2_EEvT2_20rocsparse_direction_NS_24const_host_device_scalarIT0_EES3_PKS3_PKT1_SC_S9_PKT3_PKT4_S7_PT5_21rocsparse_index_base_b
    .private_segment_fixed_size: 0
    .sgpr_count:     22
    .sgpr_spill_count: 0
    .symbol:         _ZN9rocsparseL20bsrxmvn_17_32_kernelILj29E21rocsparse_complex_numIfEllS2_S2_S2_EEvT2_20rocsparse_direction_NS_24const_host_device_scalarIT0_EES3_PKS3_PKT1_SC_S9_PKT3_PKT4_S7_PT5_21rocsparse_index_base_b.kd
    .uniform_work_group_size: 1
    .uses_dynamic_stack: false
    .vgpr_count:     21
    .vgpr_spill_count: 0
    .wavefront_size: 32
    .workgroup_processor_mode: 1
  - .args:
      - .offset:         0
        .size:           8
        .value_kind:     by_value
      - .offset:         8
        .size:           4
        .value_kind:     by_value
      - .offset:         16
        .size:           8
        .value_kind:     by_value
      - .offset:         24
        .size:           8
        .value_kind:     by_value
      - .actual_access:  read_only
        .address_space:  global
        .offset:         32
        .size:           8
        .value_kind:     global_buffer
      - .actual_access:  read_only
        .address_space:  global
        .offset:         40
        .size:           8
        .value_kind:     global_buffer
      - .actual_access:  read_only
        .address_space:  global
        .offset:         48
        .size:           8
        .value_kind:     global_buffer
      - .actual_access:  read_only
        .address_space:  global
        .offset:         56
        .size:           8
        .value_kind:     global_buffer
      - .actual_access:  read_only
        .address_space:  global
        .offset:         64
        .size:           8
        .value_kind:     global_buffer
      - .actual_access:  read_only
        .address_space:  global
        .offset:         72
        .size:           8
        .value_kind:     global_buffer
      - .offset:         80
        .size:           8
        .value_kind:     by_value
      - .address_space:  global
        .offset:         88
        .size:           8
        .value_kind:     global_buffer
      - .offset:         96
        .size:           4
        .value_kind:     by_value
      - .offset:         100
        .size:           1
        .value_kind:     by_value
    .group_segment_fixed_size: 7200
    .kernarg_segment_align: 8
    .kernarg_segment_size: 104
    .language:       OpenCL C
    .language_version:
      - 2
      - 0
    .max_flat_workgroup_size: 900
    .name:           _ZN9rocsparseL20bsrxmvn_17_32_kernelILj30E21rocsparse_complex_numIfEllS2_S2_S2_EEvT2_20rocsparse_direction_NS_24const_host_device_scalarIT0_EES3_PKS3_PKT1_SC_S9_PKT3_PKT4_S7_PT5_21rocsparse_index_base_b
    .private_segment_fixed_size: 0
    .sgpr_count:     22
    .sgpr_spill_count: 0
    .symbol:         _ZN9rocsparseL20bsrxmvn_17_32_kernelILj30E21rocsparse_complex_numIfEllS2_S2_S2_EEvT2_20rocsparse_direction_NS_24const_host_device_scalarIT0_EES3_PKS3_PKT1_SC_S9_PKT3_PKT4_S7_PT5_21rocsparse_index_base_b.kd
    .uniform_work_group_size: 1
    .uses_dynamic_stack: false
    .vgpr_count:     21
    .vgpr_spill_count: 0
    .wavefront_size: 32
    .workgroup_processor_mode: 1
  - .args:
      - .offset:         0
        .size:           8
        .value_kind:     by_value
      - .offset:         8
        .size:           4
        .value_kind:     by_value
      - .offset:         16
        .size:           8
        .value_kind:     by_value
      - .offset:         24
        .size:           8
        .value_kind:     by_value
      - .actual_access:  read_only
        .address_space:  global
        .offset:         32
        .size:           8
        .value_kind:     global_buffer
      - .actual_access:  read_only
        .address_space:  global
        .offset:         40
        .size:           8
        .value_kind:     global_buffer
      - .actual_access:  read_only
        .address_space:  global
        .offset:         48
        .size:           8
        .value_kind:     global_buffer
      - .actual_access:  read_only
        .address_space:  global
        .offset:         56
        .size:           8
        .value_kind:     global_buffer
      - .actual_access:  read_only
        .address_space:  global
        .offset:         64
        .size:           8
        .value_kind:     global_buffer
      - .actual_access:  read_only
        .address_space:  global
        .offset:         72
        .size:           8
        .value_kind:     global_buffer
      - .offset:         80
        .size:           8
        .value_kind:     by_value
      - .address_space:  global
        .offset:         88
        .size:           8
        .value_kind:     global_buffer
      - .offset:         96
        .size:           4
        .value_kind:     by_value
      - .offset:         100
        .size:           1
        .value_kind:     by_value
    .group_segment_fixed_size: 7688
    .kernarg_segment_align: 8
    .kernarg_segment_size: 104
    .language:       OpenCL C
    .language_version:
      - 2
      - 0
    .max_flat_workgroup_size: 961
    .name:           _ZN9rocsparseL20bsrxmvn_17_32_kernelILj31E21rocsparse_complex_numIfEllS2_S2_S2_EEvT2_20rocsparse_direction_NS_24const_host_device_scalarIT0_EES3_PKS3_PKT1_SC_S9_PKT3_PKT4_S7_PT5_21rocsparse_index_base_b
    .private_segment_fixed_size: 0
    .sgpr_count:     22
    .sgpr_spill_count: 0
    .symbol:         _ZN9rocsparseL20bsrxmvn_17_32_kernelILj31E21rocsparse_complex_numIfEllS2_S2_S2_EEvT2_20rocsparse_direction_NS_24const_host_device_scalarIT0_EES3_PKS3_PKT1_SC_S9_PKT3_PKT4_S7_PT5_21rocsparse_index_base_b.kd
    .uniform_work_group_size: 1
    .uses_dynamic_stack: false
    .vgpr_count:     21
    .vgpr_spill_count: 0
    .wavefront_size: 32
    .workgroup_processor_mode: 1
  - .args:
      - .offset:         0
        .size:           8
        .value_kind:     by_value
      - .offset:         8
        .size:           4
        .value_kind:     by_value
      - .offset:         16
        .size:           8
        .value_kind:     by_value
      - .offset:         24
        .size:           8
        .value_kind:     by_value
      - .actual_access:  read_only
        .address_space:  global
        .offset:         32
        .size:           8
        .value_kind:     global_buffer
      - .actual_access:  read_only
        .address_space:  global
        .offset:         40
        .size:           8
        .value_kind:     global_buffer
      - .actual_access:  read_only
        .address_space:  global
        .offset:         48
        .size:           8
        .value_kind:     global_buffer
      - .actual_access:  read_only
        .address_space:  global
        .offset:         56
        .size:           8
        .value_kind:     global_buffer
      - .actual_access:  read_only
        .address_space:  global
        .offset:         64
        .size:           8
        .value_kind:     global_buffer
      - .actual_access:  read_only
        .address_space:  global
        .offset:         72
        .size:           8
        .value_kind:     global_buffer
      - .offset:         80
        .size:           8
        .value_kind:     by_value
      - .address_space:  global
        .offset:         88
        .size:           8
        .value_kind:     global_buffer
      - .offset:         96
        .size:           4
        .value_kind:     by_value
      - .offset:         100
        .size:           1
        .value_kind:     by_value
    .group_segment_fixed_size: 8192
    .kernarg_segment_align: 8
    .kernarg_segment_size: 104
    .language:       OpenCL C
    .language_version:
      - 2
      - 0
    .max_flat_workgroup_size: 1024
    .name:           _ZN9rocsparseL20bsrxmvn_17_32_kernelILj32E21rocsparse_complex_numIfEllS2_S2_S2_EEvT2_20rocsparse_direction_NS_24const_host_device_scalarIT0_EES3_PKS3_PKT1_SC_S9_PKT3_PKT4_S7_PT5_21rocsparse_index_base_b
    .private_segment_fixed_size: 0
    .sgpr_count:     26
    .sgpr_spill_count: 0
    .symbol:         _ZN9rocsparseL20bsrxmvn_17_32_kernelILj32E21rocsparse_complex_numIfEllS2_S2_S2_EEvT2_20rocsparse_direction_NS_24const_host_device_scalarIT0_EES3_PKS3_PKT1_SC_S9_PKT3_PKT4_S7_PT5_21rocsparse_index_base_b.kd
    .uniform_work_group_size: 1
    .uses_dynamic_stack: false
    .vgpr_count:     16
    .vgpr_spill_count: 0
    .wavefront_size: 32
    .workgroup_processor_mode: 1
  - .args:
      - .offset:         0
        .size:           8
        .value_kind:     by_value
      - .offset:         8
        .size:           4
        .value_kind:     by_value
      - .offset:         16
        .size:           16
        .value_kind:     by_value
      - .offset:         32
        .size:           8
        .value_kind:     by_value
      - .actual_access:  read_only
        .address_space:  global
        .offset:         40
        .size:           8
        .value_kind:     global_buffer
      - .actual_access:  read_only
        .address_space:  global
        .offset:         48
        .size:           8
        .value_kind:     global_buffer
      - .actual_access:  read_only
        .address_space:  global
        .offset:         56
        .size:           8
        .value_kind:     global_buffer
      - .actual_access:  read_only
        .address_space:  global
        .offset:         64
        .size:           8
        .value_kind:     global_buffer
      - .actual_access:  read_only
        .address_space:  global
        .offset:         72
        .size:           8
        .value_kind:     global_buffer
      - .actual_access:  read_only
        .address_space:  global
        .offset:         80
        .size:           8
        .value_kind:     global_buffer
      - .offset:         88
        .size:           16
        .value_kind:     by_value
      - .address_space:  global
        .offset:         104
        .size:           8
        .value_kind:     global_buffer
      - .offset:         112
        .size:           4
        .value_kind:     by_value
      - .offset:         116
        .size:           1
        .value_kind:     by_value
    .group_segment_fixed_size: 9248
    .kernarg_segment_align: 8
    .kernarg_segment_size: 120
    .language:       OpenCL C
    .language_version:
      - 2
      - 0
    .max_flat_workgroup_size: 289
    .name:           _ZN9rocsparseL20bsrxmvn_17_32_kernelILj17E21rocsparse_complex_numIdEllS2_S2_S2_EEvT2_20rocsparse_direction_NS_24const_host_device_scalarIT0_EES3_PKS3_PKT1_SC_S9_PKT3_PKT4_S7_PT5_21rocsparse_index_base_b
    .private_segment_fixed_size: 0
    .sgpr_count:     24
    .sgpr_spill_count: 0
    .symbol:         _ZN9rocsparseL20bsrxmvn_17_32_kernelILj17E21rocsparse_complex_numIdEllS2_S2_S2_EEvT2_20rocsparse_direction_NS_24const_host_device_scalarIT0_EES3_PKS3_PKT1_SC_S9_PKT3_PKT4_S7_PT5_21rocsparse_index_base_b.kd
    .uniform_work_group_size: 1
    .uses_dynamic_stack: false
    .vgpr_count:     30
    .vgpr_spill_count: 0
    .wavefront_size: 32
    .workgroup_processor_mode: 1
  - .args:
      - .offset:         0
        .size:           8
        .value_kind:     by_value
      - .offset:         8
        .size:           4
        .value_kind:     by_value
      - .offset:         16
        .size:           16
        .value_kind:     by_value
      - .offset:         32
        .size:           8
        .value_kind:     by_value
      - .actual_access:  read_only
        .address_space:  global
        .offset:         40
        .size:           8
        .value_kind:     global_buffer
      - .actual_access:  read_only
        .address_space:  global
        .offset:         48
        .size:           8
        .value_kind:     global_buffer
      - .actual_access:  read_only
        .address_space:  global
        .offset:         56
        .size:           8
        .value_kind:     global_buffer
      - .actual_access:  read_only
        .address_space:  global
        .offset:         64
        .size:           8
        .value_kind:     global_buffer
      - .actual_access:  read_only
        .address_space:  global
        .offset:         72
        .size:           8
        .value_kind:     global_buffer
      - .actual_access:  read_only
        .address_space:  global
        .offset:         80
        .size:           8
        .value_kind:     global_buffer
      - .offset:         88
        .size:           16
        .value_kind:     by_value
      - .address_space:  global
        .offset:         104
        .size:           8
        .value_kind:     global_buffer
      - .offset:         112
        .size:           4
        .value_kind:     by_value
      - .offset:         116
        .size:           1
        .value_kind:     by_value
    .group_segment_fixed_size: 10368
    .kernarg_segment_align: 8
    .kernarg_segment_size: 120
    .language:       OpenCL C
    .language_version:
      - 2
      - 0
    .max_flat_workgroup_size: 324
    .name:           _ZN9rocsparseL20bsrxmvn_17_32_kernelILj18E21rocsparse_complex_numIdEllS2_S2_S2_EEvT2_20rocsparse_direction_NS_24const_host_device_scalarIT0_EES3_PKS3_PKT1_SC_S9_PKT3_PKT4_S7_PT5_21rocsparse_index_base_b
    .private_segment_fixed_size: 0
    .sgpr_count:     24
    .sgpr_spill_count: 0
    .symbol:         _ZN9rocsparseL20bsrxmvn_17_32_kernelILj18E21rocsparse_complex_numIdEllS2_S2_S2_EEvT2_20rocsparse_direction_NS_24const_host_device_scalarIT0_EES3_PKS3_PKT1_SC_S9_PKT3_PKT4_S7_PT5_21rocsparse_index_base_b.kd
    .uniform_work_group_size: 1
    .uses_dynamic_stack: false
    .vgpr_count:     30
    .vgpr_spill_count: 0
    .wavefront_size: 32
    .workgroup_processor_mode: 1
  - .args:
      - .offset:         0
        .size:           8
        .value_kind:     by_value
      - .offset:         8
        .size:           4
        .value_kind:     by_value
      - .offset:         16
        .size:           16
        .value_kind:     by_value
      - .offset:         32
        .size:           8
        .value_kind:     by_value
      - .actual_access:  read_only
        .address_space:  global
        .offset:         40
        .size:           8
        .value_kind:     global_buffer
      - .actual_access:  read_only
        .address_space:  global
        .offset:         48
        .size:           8
        .value_kind:     global_buffer
      - .actual_access:  read_only
        .address_space:  global
        .offset:         56
        .size:           8
        .value_kind:     global_buffer
      - .actual_access:  read_only
        .address_space:  global
        .offset:         64
        .size:           8
        .value_kind:     global_buffer
      - .actual_access:  read_only
        .address_space:  global
        .offset:         72
        .size:           8
        .value_kind:     global_buffer
      - .actual_access:  read_only
        .address_space:  global
        .offset:         80
        .size:           8
        .value_kind:     global_buffer
      - .offset:         88
        .size:           16
        .value_kind:     by_value
      - .address_space:  global
        .offset:         104
        .size:           8
        .value_kind:     global_buffer
      - .offset:         112
        .size:           4
        .value_kind:     by_value
      - .offset:         116
        .size:           1
        .value_kind:     by_value
    .group_segment_fixed_size: 11552
    .kernarg_segment_align: 8
    .kernarg_segment_size: 120
    .language:       OpenCL C
    .language_version:
      - 2
      - 0
    .max_flat_workgroup_size: 361
    .name:           _ZN9rocsparseL20bsrxmvn_17_32_kernelILj19E21rocsparse_complex_numIdEllS2_S2_S2_EEvT2_20rocsparse_direction_NS_24const_host_device_scalarIT0_EES3_PKS3_PKT1_SC_S9_PKT3_PKT4_S7_PT5_21rocsparse_index_base_b
    .private_segment_fixed_size: 0
    .sgpr_count:     24
    .sgpr_spill_count: 0
    .symbol:         _ZN9rocsparseL20bsrxmvn_17_32_kernelILj19E21rocsparse_complex_numIdEllS2_S2_S2_EEvT2_20rocsparse_direction_NS_24const_host_device_scalarIT0_EES3_PKS3_PKT1_SC_S9_PKT3_PKT4_S7_PT5_21rocsparse_index_base_b.kd
    .uniform_work_group_size: 1
    .uses_dynamic_stack: false
    .vgpr_count:     30
    .vgpr_spill_count: 0
    .wavefront_size: 32
    .workgroup_processor_mode: 1
  - .args:
      - .offset:         0
        .size:           8
        .value_kind:     by_value
      - .offset:         8
        .size:           4
        .value_kind:     by_value
      - .offset:         16
        .size:           16
        .value_kind:     by_value
      - .offset:         32
        .size:           8
        .value_kind:     by_value
      - .actual_access:  read_only
        .address_space:  global
        .offset:         40
        .size:           8
        .value_kind:     global_buffer
      - .actual_access:  read_only
        .address_space:  global
        .offset:         48
        .size:           8
        .value_kind:     global_buffer
      - .actual_access:  read_only
        .address_space:  global
        .offset:         56
        .size:           8
        .value_kind:     global_buffer
      - .actual_access:  read_only
        .address_space:  global
        .offset:         64
        .size:           8
        .value_kind:     global_buffer
      - .actual_access:  read_only
        .address_space:  global
        .offset:         72
        .size:           8
        .value_kind:     global_buffer
      - .actual_access:  read_only
        .address_space:  global
        .offset:         80
        .size:           8
        .value_kind:     global_buffer
      - .offset:         88
        .size:           16
        .value_kind:     by_value
      - .address_space:  global
        .offset:         104
        .size:           8
        .value_kind:     global_buffer
      - .offset:         112
        .size:           4
        .value_kind:     by_value
      - .offset:         116
        .size:           1
        .value_kind:     by_value
    .group_segment_fixed_size: 12800
    .kernarg_segment_align: 8
    .kernarg_segment_size: 120
    .language:       OpenCL C
    .language_version:
      - 2
      - 0
    .max_flat_workgroup_size: 400
    .name:           _ZN9rocsparseL20bsrxmvn_17_32_kernelILj20E21rocsparse_complex_numIdEllS2_S2_S2_EEvT2_20rocsparse_direction_NS_24const_host_device_scalarIT0_EES3_PKS3_PKT1_SC_S9_PKT3_PKT4_S7_PT5_21rocsparse_index_base_b
    .private_segment_fixed_size: 0
    .sgpr_count:     24
    .sgpr_spill_count: 0
    .symbol:         _ZN9rocsparseL20bsrxmvn_17_32_kernelILj20E21rocsparse_complex_numIdEllS2_S2_S2_EEvT2_20rocsparse_direction_NS_24const_host_device_scalarIT0_EES3_PKS3_PKT1_SC_S9_PKT3_PKT4_S7_PT5_21rocsparse_index_base_b.kd
    .uniform_work_group_size: 1
    .uses_dynamic_stack: false
    .vgpr_count:     30
    .vgpr_spill_count: 0
    .wavefront_size: 32
    .workgroup_processor_mode: 1
  - .args:
      - .offset:         0
        .size:           8
        .value_kind:     by_value
      - .offset:         8
        .size:           4
        .value_kind:     by_value
      - .offset:         16
        .size:           16
        .value_kind:     by_value
      - .offset:         32
        .size:           8
        .value_kind:     by_value
      - .actual_access:  read_only
        .address_space:  global
        .offset:         40
        .size:           8
        .value_kind:     global_buffer
      - .actual_access:  read_only
        .address_space:  global
        .offset:         48
        .size:           8
        .value_kind:     global_buffer
      - .actual_access:  read_only
        .address_space:  global
        .offset:         56
        .size:           8
        .value_kind:     global_buffer
      - .actual_access:  read_only
        .address_space:  global
        .offset:         64
        .size:           8
        .value_kind:     global_buffer
      - .actual_access:  read_only
        .address_space:  global
        .offset:         72
        .size:           8
        .value_kind:     global_buffer
      - .actual_access:  read_only
        .address_space:  global
        .offset:         80
        .size:           8
        .value_kind:     global_buffer
      - .offset:         88
        .size:           16
        .value_kind:     by_value
      - .address_space:  global
        .offset:         104
        .size:           8
        .value_kind:     global_buffer
      - .offset:         112
        .size:           4
        .value_kind:     by_value
      - .offset:         116
        .size:           1
        .value_kind:     by_value
    .group_segment_fixed_size: 14112
    .kernarg_segment_align: 8
    .kernarg_segment_size: 120
    .language:       OpenCL C
    .language_version:
      - 2
      - 0
    .max_flat_workgroup_size: 441
    .name:           _ZN9rocsparseL20bsrxmvn_17_32_kernelILj21E21rocsparse_complex_numIdEllS2_S2_S2_EEvT2_20rocsparse_direction_NS_24const_host_device_scalarIT0_EES3_PKS3_PKT1_SC_S9_PKT3_PKT4_S7_PT5_21rocsparse_index_base_b
    .private_segment_fixed_size: 0
    .sgpr_count:     24
    .sgpr_spill_count: 0
    .symbol:         _ZN9rocsparseL20bsrxmvn_17_32_kernelILj21E21rocsparse_complex_numIdEllS2_S2_S2_EEvT2_20rocsparse_direction_NS_24const_host_device_scalarIT0_EES3_PKS3_PKT1_SC_S9_PKT3_PKT4_S7_PT5_21rocsparse_index_base_b.kd
    .uniform_work_group_size: 1
    .uses_dynamic_stack: false
    .vgpr_count:     30
    .vgpr_spill_count: 0
    .wavefront_size: 32
    .workgroup_processor_mode: 1
  - .args:
      - .offset:         0
        .size:           8
        .value_kind:     by_value
      - .offset:         8
        .size:           4
        .value_kind:     by_value
      - .offset:         16
        .size:           16
        .value_kind:     by_value
      - .offset:         32
        .size:           8
        .value_kind:     by_value
      - .actual_access:  read_only
        .address_space:  global
        .offset:         40
        .size:           8
        .value_kind:     global_buffer
      - .actual_access:  read_only
        .address_space:  global
        .offset:         48
        .size:           8
        .value_kind:     global_buffer
      - .actual_access:  read_only
        .address_space:  global
        .offset:         56
        .size:           8
        .value_kind:     global_buffer
      - .actual_access:  read_only
        .address_space:  global
        .offset:         64
        .size:           8
        .value_kind:     global_buffer
      - .actual_access:  read_only
        .address_space:  global
        .offset:         72
        .size:           8
        .value_kind:     global_buffer
      - .actual_access:  read_only
        .address_space:  global
        .offset:         80
        .size:           8
        .value_kind:     global_buffer
      - .offset:         88
        .size:           16
        .value_kind:     by_value
      - .address_space:  global
        .offset:         104
        .size:           8
        .value_kind:     global_buffer
      - .offset:         112
        .size:           4
        .value_kind:     by_value
      - .offset:         116
        .size:           1
        .value_kind:     by_value
    .group_segment_fixed_size: 15488
    .kernarg_segment_align: 8
    .kernarg_segment_size: 120
    .language:       OpenCL C
    .language_version:
      - 2
      - 0
    .max_flat_workgroup_size: 484
    .name:           _ZN9rocsparseL20bsrxmvn_17_32_kernelILj22E21rocsparse_complex_numIdEllS2_S2_S2_EEvT2_20rocsparse_direction_NS_24const_host_device_scalarIT0_EES3_PKS3_PKT1_SC_S9_PKT3_PKT4_S7_PT5_21rocsparse_index_base_b
    .private_segment_fixed_size: 0
    .sgpr_count:     24
    .sgpr_spill_count: 0
    .symbol:         _ZN9rocsparseL20bsrxmvn_17_32_kernelILj22E21rocsparse_complex_numIdEllS2_S2_S2_EEvT2_20rocsparse_direction_NS_24const_host_device_scalarIT0_EES3_PKS3_PKT1_SC_S9_PKT3_PKT4_S7_PT5_21rocsparse_index_base_b.kd
    .uniform_work_group_size: 1
    .uses_dynamic_stack: false
    .vgpr_count:     30
    .vgpr_spill_count: 0
    .wavefront_size: 32
    .workgroup_processor_mode: 1
  - .args:
      - .offset:         0
        .size:           8
        .value_kind:     by_value
      - .offset:         8
        .size:           4
        .value_kind:     by_value
      - .offset:         16
        .size:           16
        .value_kind:     by_value
      - .offset:         32
        .size:           8
        .value_kind:     by_value
      - .actual_access:  read_only
        .address_space:  global
        .offset:         40
        .size:           8
        .value_kind:     global_buffer
      - .actual_access:  read_only
        .address_space:  global
        .offset:         48
        .size:           8
        .value_kind:     global_buffer
      - .actual_access:  read_only
        .address_space:  global
        .offset:         56
        .size:           8
        .value_kind:     global_buffer
      - .actual_access:  read_only
        .address_space:  global
        .offset:         64
        .size:           8
        .value_kind:     global_buffer
      - .actual_access:  read_only
        .address_space:  global
        .offset:         72
        .size:           8
        .value_kind:     global_buffer
      - .actual_access:  read_only
        .address_space:  global
        .offset:         80
        .size:           8
        .value_kind:     global_buffer
      - .offset:         88
        .size:           16
        .value_kind:     by_value
      - .address_space:  global
        .offset:         104
        .size:           8
        .value_kind:     global_buffer
      - .offset:         112
        .size:           4
        .value_kind:     by_value
      - .offset:         116
        .size:           1
        .value_kind:     by_value
    .group_segment_fixed_size: 16928
    .kernarg_segment_align: 8
    .kernarg_segment_size: 120
    .language:       OpenCL C
    .language_version:
      - 2
      - 0
    .max_flat_workgroup_size: 529
    .name:           _ZN9rocsparseL20bsrxmvn_17_32_kernelILj23E21rocsparse_complex_numIdEllS2_S2_S2_EEvT2_20rocsparse_direction_NS_24const_host_device_scalarIT0_EES3_PKS3_PKT1_SC_S9_PKT3_PKT4_S7_PT5_21rocsparse_index_base_b
    .private_segment_fixed_size: 0
    .sgpr_count:     24
    .sgpr_spill_count: 0
    .symbol:         _ZN9rocsparseL20bsrxmvn_17_32_kernelILj23E21rocsparse_complex_numIdEllS2_S2_S2_EEvT2_20rocsparse_direction_NS_24const_host_device_scalarIT0_EES3_PKS3_PKT1_SC_S9_PKT3_PKT4_S7_PT5_21rocsparse_index_base_b.kd
    .uniform_work_group_size: 1
    .uses_dynamic_stack: false
    .vgpr_count:     27
    .vgpr_spill_count: 0
    .wavefront_size: 32
    .workgroup_processor_mode: 1
  - .args:
      - .offset:         0
        .size:           8
        .value_kind:     by_value
      - .offset:         8
        .size:           4
        .value_kind:     by_value
      - .offset:         16
        .size:           16
        .value_kind:     by_value
      - .offset:         32
        .size:           8
        .value_kind:     by_value
      - .actual_access:  read_only
        .address_space:  global
        .offset:         40
        .size:           8
        .value_kind:     global_buffer
      - .actual_access:  read_only
        .address_space:  global
        .offset:         48
        .size:           8
        .value_kind:     global_buffer
      - .actual_access:  read_only
        .address_space:  global
        .offset:         56
        .size:           8
        .value_kind:     global_buffer
      - .actual_access:  read_only
        .address_space:  global
        .offset:         64
        .size:           8
        .value_kind:     global_buffer
      - .actual_access:  read_only
        .address_space:  global
        .offset:         72
        .size:           8
        .value_kind:     global_buffer
      - .actual_access:  read_only
        .address_space:  global
        .offset:         80
        .size:           8
        .value_kind:     global_buffer
      - .offset:         88
        .size:           16
        .value_kind:     by_value
      - .address_space:  global
        .offset:         104
        .size:           8
        .value_kind:     global_buffer
      - .offset:         112
        .size:           4
        .value_kind:     by_value
      - .offset:         116
        .size:           1
        .value_kind:     by_value
    .group_segment_fixed_size: 18432
    .kernarg_segment_align: 8
    .kernarg_segment_size: 120
    .language:       OpenCL C
    .language_version:
      - 2
      - 0
    .max_flat_workgroup_size: 576
    .name:           _ZN9rocsparseL20bsrxmvn_17_32_kernelILj24E21rocsparse_complex_numIdEllS2_S2_S2_EEvT2_20rocsparse_direction_NS_24const_host_device_scalarIT0_EES3_PKS3_PKT1_SC_S9_PKT3_PKT4_S7_PT5_21rocsparse_index_base_b
    .private_segment_fixed_size: 0
    .sgpr_count:     24
    .sgpr_spill_count: 0
    .symbol:         _ZN9rocsparseL20bsrxmvn_17_32_kernelILj24E21rocsparse_complex_numIdEllS2_S2_S2_EEvT2_20rocsparse_direction_NS_24const_host_device_scalarIT0_EES3_PKS3_PKT1_SC_S9_PKT3_PKT4_S7_PT5_21rocsparse_index_base_b.kd
    .uniform_work_group_size: 1
    .uses_dynamic_stack: false
    .vgpr_count:     27
    .vgpr_spill_count: 0
    .wavefront_size: 32
    .workgroup_processor_mode: 1
  - .args:
      - .offset:         0
        .size:           8
        .value_kind:     by_value
      - .offset:         8
        .size:           4
        .value_kind:     by_value
      - .offset:         16
        .size:           16
        .value_kind:     by_value
      - .offset:         32
        .size:           8
        .value_kind:     by_value
      - .actual_access:  read_only
        .address_space:  global
        .offset:         40
        .size:           8
        .value_kind:     global_buffer
      - .actual_access:  read_only
        .address_space:  global
        .offset:         48
        .size:           8
        .value_kind:     global_buffer
      - .actual_access:  read_only
        .address_space:  global
        .offset:         56
        .size:           8
        .value_kind:     global_buffer
      - .actual_access:  read_only
        .address_space:  global
        .offset:         64
        .size:           8
        .value_kind:     global_buffer
      - .actual_access:  read_only
        .address_space:  global
        .offset:         72
        .size:           8
        .value_kind:     global_buffer
      - .actual_access:  read_only
        .address_space:  global
        .offset:         80
        .size:           8
        .value_kind:     global_buffer
      - .offset:         88
        .size:           16
        .value_kind:     by_value
      - .address_space:  global
        .offset:         104
        .size:           8
        .value_kind:     global_buffer
      - .offset:         112
        .size:           4
        .value_kind:     by_value
      - .offset:         116
        .size:           1
        .value_kind:     by_value
    .group_segment_fixed_size: 20000
    .kernarg_segment_align: 8
    .kernarg_segment_size: 120
    .language:       OpenCL C
    .language_version:
      - 2
      - 0
    .max_flat_workgroup_size: 625
    .name:           _ZN9rocsparseL20bsrxmvn_17_32_kernelILj25E21rocsparse_complex_numIdEllS2_S2_S2_EEvT2_20rocsparse_direction_NS_24const_host_device_scalarIT0_EES3_PKS3_PKT1_SC_S9_PKT3_PKT4_S7_PT5_21rocsparse_index_base_b
    .private_segment_fixed_size: 0
    .sgpr_count:     24
    .sgpr_spill_count: 0
    .symbol:         _ZN9rocsparseL20bsrxmvn_17_32_kernelILj25E21rocsparse_complex_numIdEllS2_S2_S2_EEvT2_20rocsparse_direction_NS_24const_host_device_scalarIT0_EES3_PKS3_PKT1_SC_S9_PKT3_PKT4_S7_PT5_21rocsparse_index_base_b.kd
    .uniform_work_group_size: 1
    .uses_dynamic_stack: false
    .vgpr_count:     27
    .vgpr_spill_count: 0
    .wavefront_size: 32
    .workgroup_processor_mode: 1
  - .args:
      - .offset:         0
        .size:           8
        .value_kind:     by_value
      - .offset:         8
        .size:           4
        .value_kind:     by_value
      - .offset:         16
        .size:           16
        .value_kind:     by_value
      - .offset:         32
        .size:           8
        .value_kind:     by_value
      - .actual_access:  read_only
        .address_space:  global
        .offset:         40
        .size:           8
        .value_kind:     global_buffer
      - .actual_access:  read_only
        .address_space:  global
        .offset:         48
        .size:           8
        .value_kind:     global_buffer
      - .actual_access:  read_only
        .address_space:  global
        .offset:         56
        .size:           8
        .value_kind:     global_buffer
      - .actual_access:  read_only
        .address_space:  global
        .offset:         64
        .size:           8
        .value_kind:     global_buffer
      - .actual_access:  read_only
        .address_space:  global
        .offset:         72
        .size:           8
        .value_kind:     global_buffer
      - .actual_access:  read_only
        .address_space:  global
        .offset:         80
        .size:           8
        .value_kind:     global_buffer
      - .offset:         88
        .size:           16
        .value_kind:     by_value
      - .address_space:  global
        .offset:         104
        .size:           8
        .value_kind:     global_buffer
      - .offset:         112
        .size:           4
        .value_kind:     by_value
      - .offset:         116
        .size:           1
        .value_kind:     by_value
    .group_segment_fixed_size: 21632
    .kernarg_segment_align: 8
    .kernarg_segment_size: 120
    .language:       OpenCL C
    .language_version:
      - 2
      - 0
    .max_flat_workgroup_size: 676
    .name:           _ZN9rocsparseL20bsrxmvn_17_32_kernelILj26E21rocsparse_complex_numIdEllS2_S2_S2_EEvT2_20rocsparse_direction_NS_24const_host_device_scalarIT0_EES3_PKS3_PKT1_SC_S9_PKT3_PKT4_S7_PT5_21rocsparse_index_base_b
    .private_segment_fixed_size: 0
    .sgpr_count:     24
    .sgpr_spill_count: 0
    .symbol:         _ZN9rocsparseL20bsrxmvn_17_32_kernelILj26E21rocsparse_complex_numIdEllS2_S2_S2_EEvT2_20rocsparse_direction_NS_24const_host_device_scalarIT0_EES3_PKS3_PKT1_SC_S9_PKT3_PKT4_S7_PT5_21rocsparse_index_base_b.kd
    .uniform_work_group_size: 1
    .uses_dynamic_stack: false
    .vgpr_count:     27
    .vgpr_spill_count: 0
    .wavefront_size: 32
    .workgroup_processor_mode: 1
  - .args:
      - .offset:         0
        .size:           8
        .value_kind:     by_value
      - .offset:         8
        .size:           4
        .value_kind:     by_value
      - .offset:         16
        .size:           16
        .value_kind:     by_value
      - .offset:         32
        .size:           8
        .value_kind:     by_value
      - .actual_access:  read_only
        .address_space:  global
        .offset:         40
        .size:           8
        .value_kind:     global_buffer
      - .actual_access:  read_only
        .address_space:  global
        .offset:         48
        .size:           8
        .value_kind:     global_buffer
      - .actual_access:  read_only
        .address_space:  global
        .offset:         56
        .size:           8
        .value_kind:     global_buffer
      - .actual_access:  read_only
        .address_space:  global
        .offset:         64
        .size:           8
        .value_kind:     global_buffer
      - .actual_access:  read_only
        .address_space:  global
        .offset:         72
        .size:           8
        .value_kind:     global_buffer
      - .actual_access:  read_only
        .address_space:  global
        .offset:         80
        .size:           8
        .value_kind:     global_buffer
      - .offset:         88
        .size:           16
        .value_kind:     by_value
      - .address_space:  global
        .offset:         104
        .size:           8
        .value_kind:     global_buffer
      - .offset:         112
        .size:           4
        .value_kind:     by_value
      - .offset:         116
        .size:           1
        .value_kind:     by_value
    .group_segment_fixed_size: 23328
    .kernarg_segment_align: 8
    .kernarg_segment_size: 120
    .language:       OpenCL C
    .language_version:
      - 2
      - 0
    .max_flat_workgroup_size: 729
    .name:           _ZN9rocsparseL20bsrxmvn_17_32_kernelILj27E21rocsparse_complex_numIdEllS2_S2_S2_EEvT2_20rocsparse_direction_NS_24const_host_device_scalarIT0_EES3_PKS3_PKT1_SC_S9_PKT3_PKT4_S7_PT5_21rocsparse_index_base_b
    .private_segment_fixed_size: 0
    .sgpr_count:     24
    .sgpr_spill_count: 0
    .symbol:         _ZN9rocsparseL20bsrxmvn_17_32_kernelILj27E21rocsparse_complex_numIdEllS2_S2_S2_EEvT2_20rocsparse_direction_NS_24const_host_device_scalarIT0_EES3_PKS3_PKT1_SC_S9_PKT3_PKT4_S7_PT5_21rocsparse_index_base_b.kd
    .uniform_work_group_size: 1
    .uses_dynamic_stack: false
    .vgpr_count:     27
    .vgpr_spill_count: 0
    .wavefront_size: 32
    .workgroup_processor_mode: 1
  - .args:
      - .offset:         0
        .size:           8
        .value_kind:     by_value
      - .offset:         8
        .size:           4
        .value_kind:     by_value
      - .offset:         16
        .size:           16
        .value_kind:     by_value
      - .offset:         32
        .size:           8
        .value_kind:     by_value
      - .actual_access:  read_only
        .address_space:  global
        .offset:         40
        .size:           8
        .value_kind:     global_buffer
      - .actual_access:  read_only
        .address_space:  global
        .offset:         48
        .size:           8
        .value_kind:     global_buffer
      - .actual_access:  read_only
        .address_space:  global
        .offset:         56
        .size:           8
        .value_kind:     global_buffer
      - .actual_access:  read_only
        .address_space:  global
        .offset:         64
        .size:           8
        .value_kind:     global_buffer
      - .actual_access:  read_only
        .address_space:  global
        .offset:         72
        .size:           8
        .value_kind:     global_buffer
      - .actual_access:  read_only
        .address_space:  global
        .offset:         80
        .size:           8
        .value_kind:     global_buffer
      - .offset:         88
        .size:           16
        .value_kind:     by_value
      - .address_space:  global
        .offset:         104
        .size:           8
        .value_kind:     global_buffer
      - .offset:         112
        .size:           4
        .value_kind:     by_value
      - .offset:         116
        .size:           1
        .value_kind:     by_value
    .group_segment_fixed_size: 25088
    .kernarg_segment_align: 8
    .kernarg_segment_size: 120
    .language:       OpenCL C
    .language_version:
      - 2
      - 0
    .max_flat_workgroup_size: 784
    .name:           _ZN9rocsparseL20bsrxmvn_17_32_kernelILj28E21rocsparse_complex_numIdEllS2_S2_S2_EEvT2_20rocsparse_direction_NS_24const_host_device_scalarIT0_EES3_PKS3_PKT1_SC_S9_PKT3_PKT4_S7_PT5_21rocsparse_index_base_b
    .private_segment_fixed_size: 0
    .sgpr_count:     24
    .sgpr_spill_count: 0
    .symbol:         _ZN9rocsparseL20bsrxmvn_17_32_kernelILj28E21rocsparse_complex_numIdEllS2_S2_S2_EEvT2_20rocsparse_direction_NS_24const_host_device_scalarIT0_EES3_PKS3_PKT1_SC_S9_PKT3_PKT4_S7_PT5_21rocsparse_index_base_b.kd
    .uniform_work_group_size: 1
    .uses_dynamic_stack: false
    .vgpr_count:     27
    .vgpr_spill_count: 0
    .wavefront_size: 32
    .workgroup_processor_mode: 1
  - .args:
      - .offset:         0
        .size:           8
        .value_kind:     by_value
      - .offset:         8
        .size:           4
        .value_kind:     by_value
      - .offset:         16
        .size:           16
        .value_kind:     by_value
      - .offset:         32
        .size:           8
        .value_kind:     by_value
      - .actual_access:  read_only
        .address_space:  global
        .offset:         40
        .size:           8
        .value_kind:     global_buffer
      - .actual_access:  read_only
        .address_space:  global
        .offset:         48
        .size:           8
        .value_kind:     global_buffer
      - .actual_access:  read_only
        .address_space:  global
        .offset:         56
        .size:           8
        .value_kind:     global_buffer
      - .actual_access:  read_only
        .address_space:  global
        .offset:         64
        .size:           8
        .value_kind:     global_buffer
      - .actual_access:  read_only
        .address_space:  global
        .offset:         72
        .size:           8
        .value_kind:     global_buffer
      - .actual_access:  read_only
        .address_space:  global
        .offset:         80
        .size:           8
        .value_kind:     global_buffer
      - .offset:         88
        .size:           16
        .value_kind:     by_value
      - .address_space:  global
        .offset:         104
        .size:           8
        .value_kind:     global_buffer
      - .offset:         112
        .size:           4
        .value_kind:     by_value
      - .offset:         116
        .size:           1
        .value_kind:     by_value
    .group_segment_fixed_size: 26912
    .kernarg_segment_align: 8
    .kernarg_segment_size: 120
    .language:       OpenCL C
    .language_version:
      - 2
      - 0
    .max_flat_workgroup_size: 841
    .name:           _ZN9rocsparseL20bsrxmvn_17_32_kernelILj29E21rocsparse_complex_numIdEllS2_S2_S2_EEvT2_20rocsparse_direction_NS_24const_host_device_scalarIT0_EES3_PKS3_PKT1_SC_S9_PKT3_PKT4_S7_PT5_21rocsparse_index_base_b
    .private_segment_fixed_size: 0
    .sgpr_count:     24
    .sgpr_spill_count: 0
    .symbol:         _ZN9rocsparseL20bsrxmvn_17_32_kernelILj29E21rocsparse_complex_numIdEllS2_S2_S2_EEvT2_20rocsparse_direction_NS_24const_host_device_scalarIT0_EES3_PKS3_PKT1_SC_S9_PKT3_PKT4_S7_PT5_21rocsparse_index_base_b.kd
    .uniform_work_group_size: 1
    .uses_dynamic_stack: false
    .vgpr_count:     27
    .vgpr_spill_count: 0
    .wavefront_size: 32
    .workgroup_processor_mode: 1
  - .args:
      - .offset:         0
        .size:           8
        .value_kind:     by_value
      - .offset:         8
        .size:           4
        .value_kind:     by_value
      - .offset:         16
        .size:           16
        .value_kind:     by_value
      - .offset:         32
        .size:           8
        .value_kind:     by_value
      - .actual_access:  read_only
        .address_space:  global
        .offset:         40
        .size:           8
        .value_kind:     global_buffer
      - .actual_access:  read_only
        .address_space:  global
        .offset:         48
        .size:           8
        .value_kind:     global_buffer
      - .actual_access:  read_only
        .address_space:  global
        .offset:         56
        .size:           8
        .value_kind:     global_buffer
      - .actual_access:  read_only
        .address_space:  global
        .offset:         64
        .size:           8
        .value_kind:     global_buffer
      - .actual_access:  read_only
        .address_space:  global
        .offset:         72
        .size:           8
        .value_kind:     global_buffer
      - .actual_access:  read_only
        .address_space:  global
        .offset:         80
        .size:           8
        .value_kind:     global_buffer
      - .offset:         88
        .size:           16
        .value_kind:     by_value
      - .address_space:  global
        .offset:         104
        .size:           8
        .value_kind:     global_buffer
      - .offset:         112
        .size:           4
        .value_kind:     by_value
      - .offset:         116
        .size:           1
        .value_kind:     by_value
    .group_segment_fixed_size: 28800
    .kernarg_segment_align: 8
    .kernarg_segment_size: 120
    .language:       OpenCL C
    .language_version:
      - 2
      - 0
    .max_flat_workgroup_size: 900
    .name:           _ZN9rocsparseL20bsrxmvn_17_32_kernelILj30E21rocsparse_complex_numIdEllS2_S2_S2_EEvT2_20rocsparse_direction_NS_24const_host_device_scalarIT0_EES3_PKS3_PKT1_SC_S9_PKT3_PKT4_S7_PT5_21rocsparse_index_base_b
    .private_segment_fixed_size: 0
    .sgpr_count:     24
    .sgpr_spill_count: 0
    .symbol:         _ZN9rocsparseL20bsrxmvn_17_32_kernelILj30E21rocsparse_complex_numIdEllS2_S2_S2_EEvT2_20rocsparse_direction_NS_24const_host_device_scalarIT0_EES3_PKS3_PKT1_SC_S9_PKT3_PKT4_S7_PT5_21rocsparse_index_base_b.kd
    .uniform_work_group_size: 1
    .uses_dynamic_stack: false
    .vgpr_count:     27
    .vgpr_spill_count: 0
    .wavefront_size: 32
    .workgroup_processor_mode: 1
  - .args:
      - .offset:         0
        .size:           8
        .value_kind:     by_value
      - .offset:         8
        .size:           4
        .value_kind:     by_value
      - .offset:         16
        .size:           16
        .value_kind:     by_value
      - .offset:         32
        .size:           8
        .value_kind:     by_value
      - .actual_access:  read_only
        .address_space:  global
        .offset:         40
        .size:           8
        .value_kind:     global_buffer
      - .actual_access:  read_only
        .address_space:  global
        .offset:         48
        .size:           8
        .value_kind:     global_buffer
      - .actual_access:  read_only
        .address_space:  global
        .offset:         56
        .size:           8
        .value_kind:     global_buffer
      - .actual_access:  read_only
        .address_space:  global
        .offset:         64
        .size:           8
        .value_kind:     global_buffer
      - .actual_access:  read_only
        .address_space:  global
        .offset:         72
        .size:           8
        .value_kind:     global_buffer
      - .actual_access:  read_only
        .address_space:  global
        .offset:         80
        .size:           8
        .value_kind:     global_buffer
      - .offset:         88
        .size:           16
        .value_kind:     by_value
      - .address_space:  global
        .offset:         104
        .size:           8
        .value_kind:     global_buffer
      - .offset:         112
        .size:           4
        .value_kind:     by_value
      - .offset:         116
        .size:           1
        .value_kind:     by_value
    .group_segment_fixed_size: 30752
    .kernarg_segment_align: 8
    .kernarg_segment_size: 120
    .language:       OpenCL C
    .language_version:
      - 2
      - 0
    .max_flat_workgroup_size: 961
    .name:           _ZN9rocsparseL20bsrxmvn_17_32_kernelILj31E21rocsparse_complex_numIdEllS2_S2_S2_EEvT2_20rocsparse_direction_NS_24const_host_device_scalarIT0_EES3_PKS3_PKT1_SC_S9_PKT3_PKT4_S7_PT5_21rocsparse_index_base_b
    .private_segment_fixed_size: 0
    .sgpr_count:     24
    .sgpr_spill_count: 0
    .symbol:         _ZN9rocsparseL20bsrxmvn_17_32_kernelILj31E21rocsparse_complex_numIdEllS2_S2_S2_EEvT2_20rocsparse_direction_NS_24const_host_device_scalarIT0_EES3_PKS3_PKT1_SC_S9_PKT3_PKT4_S7_PT5_21rocsparse_index_base_b.kd
    .uniform_work_group_size: 1
    .uses_dynamic_stack: false
    .vgpr_count:     27
    .vgpr_spill_count: 0
    .wavefront_size: 32
    .workgroup_processor_mode: 1
  - .args:
      - .offset:         0
        .size:           8
        .value_kind:     by_value
      - .offset:         8
        .size:           4
        .value_kind:     by_value
      - .offset:         16
        .size:           16
        .value_kind:     by_value
      - .offset:         32
        .size:           8
        .value_kind:     by_value
      - .actual_access:  read_only
        .address_space:  global
        .offset:         40
        .size:           8
        .value_kind:     global_buffer
      - .actual_access:  read_only
        .address_space:  global
        .offset:         48
        .size:           8
        .value_kind:     global_buffer
      - .actual_access:  read_only
        .address_space:  global
        .offset:         56
        .size:           8
        .value_kind:     global_buffer
      - .actual_access:  read_only
        .address_space:  global
        .offset:         64
        .size:           8
        .value_kind:     global_buffer
      - .actual_access:  read_only
        .address_space:  global
        .offset:         72
        .size:           8
        .value_kind:     global_buffer
      - .actual_access:  read_only
        .address_space:  global
        .offset:         80
        .size:           8
        .value_kind:     global_buffer
      - .offset:         88
        .size:           16
        .value_kind:     by_value
      - .address_space:  global
        .offset:         104
        .size:           8
        .value_kind:     global_buffer
      - .offset:         112
        .size:           4
        .value_kind:     by_value
      - .offset:         116
        .size:           1
        .value_kind:     by_value
    .group_segment_fixed_size: 32768
    .kernarg_segment_align: 8
    .kernarg_segment_size: 120
    .language:       OpenCL C
    .language_version:
      - 2
      - 0
    .max_flat_workgroup_size: 1024
    .name:           _ZN9rocsparseL20bsrxmvn_17_32_kernelILj32E21rocsparse_complex_numIdEllS2_S2_S2_EEvT2_20rocsparse_direction_NS_24const_host_device_scalarIT0_EES3_PKS3_PKT1_SC_S9_PKT3_PKT4_S7_PT5_21rocsparse_index_base_b
    .private_segment_fixed_size: 0
    .sgpr_count:     26
    .sgpr_spill_count: 0
    .symbol:         _ZN9rocsparseL20bsrxmvn_17_32_kernelILj32E21rocsparse_complex_numIdEllS2_S2_S2_EEvT2_20rocsparse_direction_NS_24const_host_device_scalarIT0_EES3_PKS3_PKT1_SC_S9_PKT3_PKT4_S7_PT5_21rocsparse_index_base_b.kd
    .uniform_work_group_size: 1
    .uses_dynamic_stack: false
    .vgpr_count:     26
    .vgpr_spill_count: 0
    .wavefront_size: 32
    .workgroup_processor_mode: 1
  - .args:
      - .offset:         0
        .size:           4
        .value_kind:     by_value
      - .offset:         4
        .size:           4
        .value_kind:     by_value
      - .offset:         8
        .size:           8
        .value_kind:     by_value
      - .offset:         16
        .size:           4
        .value_kind:     by_value
      - .actual_access:  read_only
        .address_space:  global
        .offset:         24
        .size:           8
        .value_kind:     global_buffer
      - .actual_access:  read_only
        .address_space:  global
        .offset:         32
        .size:           8
        .value_kind:     global_buffer
      - .actual_access:  read_only
        .address_space:  global
        .offset:         40
        .size:           8
        .value_kind:     global_buffer
      - .actual_access:  read_only
        .address_space:  global
        .offset:         48
        .size:           8
        .value_kind:     global_buffer
      - .actual_access:  read_only
        .address_space:  global
        .offset:         56
        .size:           8
        .value_kind:     global_buffer
      - .actual_access:  read_only
        .address_space:  global
        .offset:         64
        .size:           8
        .value_kind:     global_buffer
      - .offset:         72
        .size:           8
        .value_kind:     by_value
      - .address_space:  global
        .offset:         80
        .size:           8
        .value_kind:     global_buffer
      - .offset:         88
        .size:           4
        .value_kind:     by_value
      - .offset:         92
        .size:           1
        .value_kind:     by_value
    .group_segment_fixed_size: 1156
    .kernarg_segment_align: 8
    .kernarg_segment_size: 96
    .language:       OpenCL C
    .language_version:
      - 2
      - 0
    .max_flat_workgroup_size: 289
    .name:           _ZN9rocsparseL20bsrxmvn_17_32_kernelILj17EiiiaaiEEvT2_20rocsparse_direction_NS_24const_host_device_scalarIT0_EES1_PKS1_PKT1_SA_S7_PKT3_PKT4_S5_PT5_21rocsparse_index_base_b
    .private_segment_fixed_size: 0
    .sgpr_count:     19
    .sgpr_spill_count: 0
    .symbol:         _ZN9rocsparseL20bsrxmvn_17_32_kernelILj17EiiiaaiEEvT2_20rocsparse_direction_NS_24const_host_device_scalarIT0_EES1_PKS1_PKT1_SA_S7_PKT3_PKT4_S5_PT5_21rocsparse_index_base_b.kd
    .uniform_work_group_size: 1
    .uses_dynamic_stack: false
    .vgpr_count:     10
    .vgpr_spill_count: 0
    .wavefront_size: 32
    .workgroup_processor_mode: 1
  - .args:
      - .offset:         0
        .size:           4
        .value_kind:     by_value
      - .offset:         4
        .size:           4
        .value_kind:     by_value
      - .offset:         8
        .size:           8
        .value_kind:     by_value
      - .offset:         16
        .size:           4
        .value_kind:     by_value
      - .actual_access:  read_only
        .address_space:  global
        .offset:         24
        .size:           8
        .value_kind:     global_buffer
      - .actual_access:  read_only
        .address_space:  global
        .offset:         32
        .size:           8
        .value_kind:     global_buffer
      - .actual_access:  read_only
        .address_space:  global
        .offset:         40
        .size:           8
        .value_kind:     global_buffer
      - .actual_access:  read_only
        .address_space:  global
        .offset:         48
        .size:           8
        .value_kind:     global_buffer
      - .actual_access:  read_only
        .address_space:  global
        .offset:         56
        .size:           8
        .value_kind:     global_buffer
      - .actual_access:  read_only
        .address_space:  global
        .offset:         64
        .size:           8
        .value_kind:     global_buffer
      - .offset:         72
        .size:           8
        .value_kind:     by_value
      - .address_space:  global
        .offset:         80
        .size:           8
        .value_kind:     global_buffer
      - .offset:         88
        .size:           4
        .value_kind:     by_value
      - .offset:         92
        .size:           1
        .value_kind:     by_value
    .group_segment_fixed_size: 1296
    .kernarg_segment_align: 8
    .kernarg_segment_size: 96
    .language:       OpenCL C
    .language_version:
      - 2
      - 0
    .max_flat_workgroup_size: 324
    .name:           _ZN9rocsparseL20bsrxmvn_17_32_kernelILj18EiiiaaiEEvT2_20rocsparse_direction_NS_24const_host_device_scalarIT0_EES1_PKS1_PKT1_SA_S7_PKT3_PKT4_S5_PT5_21rocsparse_index_base_b
    .private_segment_fixed_size: 0
    .sgpr_count:     19
    .sgpr_spill_count: 0
    .symbol:         _ZN9rocsparseL20bsrxmvn_17_32_kernelILj18EiiiaaiEEvT2_20rocsparse_direction_NS_24const_host_device_scalarIT0_EES1_PKS1_PKT1_SA_S7_PKT3_PKT4_S5_PT5_21rocsparse_index_base_b.kd
    .uniform_work_group_size: 1
    .uses_dynamic_stack: false
    .vgpr_count:     10
    .vgpr_spill_count: 0
    .wavefront_size: 32
    .workgroup_processor_mode: 1
  - .args:
      - .offset:         0
        .size:           4
        .value_kind:     by_value
      - .offset:         4
        .size:           4
        .value_kind:     by_value
      - .offset:         8
        .size:           8
        .value_kind:     by_value
      - .offset:         16
        .size:           4
        .value_kind:     by_value
      - .actual_access:  read_only
        .address_space:  global
        .offset:         24
        .size:           8
        .value_kind:     global_buffer
      - .actual_access:  read_only
        .address_space:  global
        .offset:         32
        .size:           8
        .value_kind:     global_buffer
      - .actual_access:  read_only
        .address_space:  global
        .offset:         40
        .size:           8
        .value_kind:     global_buffer
      - .actual_access:  read_only
        .address_space:  global
        .offset:         48
        .size:           8
        .value_kind:     global_buffer
      - .actual_access:  read_only
        .address_space:  global
        .offset:         56
        .size:           8
        .value_kind:     global_buffer
      - .actual_access:  read_only
        .address_space:  global
        .offset:         64
        .size:           8
        .value_kind:     global_buffer
      - .offset:         72
        .size:           8
        .value_kind:     by_value
      - .address_space:  global
        .offset:         80
        .size:           8
        .value_kind:     global_buffer
      - .offset:         88
        .size:           4
        .value_kind:     by_value
      - .offset:         92
        .size:           1
        .value_kind:     by_value
    .group_segment_fixed_size: 1444
    .kernarg_segment_align: 8
    .kernarg_segment_size: 96
    .language:       OpenCL C
    .language_version:
      - 2
      - 0
    .max_flat_workgroup_size: 361
    .name:           _ZN9rocsparseL20bsrxmvn_17_32_kernelILj19EiiiaaiEEvT2_20rocsparse_direction_NS_24const_host_device_scalarIT0_EES1_PKS1_PKT1_SA_S7_PKT3_PKT4_S5_PT5_21rocsparse_index_base_b
    .private_segment_fixed_size: 0
    .sgpr_count:     19
    .sgpr_spill_count: 0
    .symbol:         _ZN9rocsparseL20bsrxmvn_17_32_kernelILj19EiiiaaiEEvT2_20rocsparse_direction_NS_24const_host_device_scalarIT0_EES1_PKS1_PKT1_SA_S7_PKT3_PKT4_S5_PT5_21rocsparse_index_base_b.kd
    .uniform_work_group_size: 1
    .uses_dynamic_stack: false
    .vgpr_count:     10
    .vgpr_spill_count: 0
    .wavefront_size: 32
    .workgroup_processor_mode: 1
  - .args:
      - .offset:         0
        .size:           4
        .value_kind:     by_value
      - .offset:         4
        .size:           4
        .value_kind:     by_value
      - .offset:         8
        .size:           8
        .value_kind:     by_value
      - .offset:         16
        .size:           4
        .value_kind:     by_value
      - .actual_access:  read_only
        .address_space:  global
        .offset:         24
        .size:           8
        .value_kind:     global_buffer
      - .actual_access:  read_only
        .address_space:  global
        .offset:         32
        .size:           8
        .value_kind:     global_buffer
      - .actual_access:  read_only
        .address_space:  global
        .offset:         40
        .size:           8
        .value_kind:     global_buffer
      - .actual_access:  read_only
        .address_space:  global
        .offset:         48
        .size:           8
        .value_kind:     global_buffer
      - .actual_access:  read_only
        .address_space:  global
        .offset:         56
        .size:           8
        .value_kind:     global_buffer
      - .actual_access:  read_only
        .address_space:  global
        .offset:         64
        .size:           8
        .value_kind:     global_buffer
      - .offset:         72
        .size:           8
        .value_kind:     by_value
      - .address_space:  global
        .offset:         80
        .size:           8
        .value_kind:     global_buffer
      - .offset:         88
        .size:           4
        .value_kind:     by_value
      - .offset:         92
        .size:           1
        .value_kind:     by_value
    .group_segment_fixed_size: 1600
    .kernarg_segment_align: 8
    .kernarg_segment_size: 96
    .language:       OpenCL C
    .language_version:
      - 2
      - 0
    .max_flat_workgroup_size: 400
    .name:           _ZN9rocsparseL20bsrxmvn_17_32_kernelILj20EiiiaaiEEvT2_20rocsparse_direction_NS_24const_host_device_scalarIT0_EES1_PKS1_PKT1_SA_S7_PKT3_PKT4_S5_PT5_21rocsparse_index_base_b
    .private_segment_fixed_size: 0
    .sgpr_count:     19
    .sgpr_spill_count: 0
    .symbol:         _ZN9rocsparseL20bsrxmvn_17_32_kernelILj20EiiiaaiEEvT2_20rocsparse_direction_NS_24const_host_device_scalarIT0_EES1_PKS1_PKT1_SA_S7_PKT3_PKT4_S5_PT5_21rocsparse_index_base_b.kd
    .uniform_work_group_size: 1
    .uses_dynamic_stack: false
    .vgpr_count:     10
    .vgpr_spill_count: 0
    .wavefront_size: 32
    .workgroup_processor_mode: 1
  - .args:
      - .offset:         0
        .size:           4
        .value_kind:     by_value
      - .offset:         4
        .size:           4
        .value_kind:     by_value
      - .offset:         8
        .size:           8
        .value_kind:     by_value
      - .offset:         16
        .size:           4
        .value_kind:     by_value
      - .actual_access:  read_only
        .address_space:  global
        .offset:         24
        .size:           8
        .value_kind:     global_buffer
      - .actual_access:  read_only
        .address_space:  global
        .offset:         32
        .size:           8
        .value_kind:     global_buffer
      - .actual_access:  read_only
        .address_space:  global
        .offset:         40
        .size:           8
        .value_kind:     global_buffer
      - .actual_access:  read_only
        .address_space:  global
        .offset:         48
        .size:           8
        .value_kind:     global_buffer
      - .actual_access:  read_only
        .address_space:  global
        .offset:         56
        .size:           8
        .value_kind:     global_buffer
      - .actual_access:  read_only
        .address_space:  global
        .offset:         64
        .size:           8
        .value_kind:     global_buffer
      - .offset:         72
        .size:           8
        .value_kind:     by_value
      - .address_space:  global
        .offset:         80
        .size:           8
        .value_kind:     global_buffer
      - .offset:         88
        .size:           4
        .value_kind:     by_value
      - .offset:         92
        .size:           1
        .value_kind:     by_value
    .group_segment_fixed_size: 1764
    .kernarg_segment_align: 8
    .kernarg_segment_size: 96
    .language:       OpenCL C
    .language_version:
      - 2
      - 0
    .max_flat_workgroup_size: 441
    .name:           _ZN9rocsparseL20bsrxmvn_17_32_kernelILj21EiiiaaiEEvT2_20rocsparse_direction_NS_24const_host_device_scalarIT0_EES1_PKS1_PKT1_SA_S7_PKT3_PKT4_S5_PT5_21rocsparse_index_base_b
    .private_segment_fixed_size: 0
    .sgpr_count:     19
    .sgpr_spill_count: 0
    .symbol:         _ZN9rocsparseL20bsrxmvn_17_32_kernelILj21EiiiaaiEEvT2_20rocsparse_direction_NS_24const_host_device_scalarIT0_EES1_PKS1_PKT1_SA_S7_PKT3_PKT4_S5_PT5_21rocsparse_index_base_b.kd
    .uniform_work_group_size: 1
    .uses_dynamic_stack: false
    .vgpr_count:     10
    .vgpr_spill_count: 0
    .wavefront_size: 32
    .workgroup_processor_mode: 1
  - .args:
      - .offset:         0
        .size:           4
        .value_kind:     by_value
      - .offset:         4
        .size:           4
        .value_kind:     by_value
      - .offset:         8
        .size:           8
        .value_kind:     by_value
      - .offset:         16
        .size:           4
        .value_kind:     by_value
      - .actual_access:  read_only
        .address_space:  global
        .offset:         24
        .size:           8
        .value_kind:     global_buffer
      - .actual_access:  read_only
        .address_space:  global
        .offset:         32
        .size:           8
        .value_kind:     global_buffer
      - .actual_access:  read_only
        .address_space:  global
        .offset:         40
        .size:           8
        .value_kind:     global_buffer
      - .actual_access:  read_only
        .address_space:  global
        .offset:         48
        .size:           8
        .value_kind:     global_buffer
      - .actual_access:  read_only
        .address_space:  global
        .offset:         56
        .size:           8
        .value_kind:     global_buffer
      - .actual_access:  read_only
        .address_space:  global
        .offset:         64
        .size:           8
        .value_kind:     global_buffer
      - .offset:         72
        .size:           8
        .value_kind:     by_value
      - .address_space:  global
        .offset:         80
        .size:           8
        .value_kind:     global_buffer
      - .offset:         88
        .size:           4
        .value_kind:     by_value
      - .offset:         92
        .size:           1
        .value_kind:     by_value
    .group_segment_fixed_size: 1936
    .kernarg_segment_align: 8
    .kernarg_segment_size: 96
    .language:       OpenCL C
    .language_version:
      - 2
      - 0
    .max_flat_workgroup_size: 484
    .name:           _ZN9rocsparseL20bsrxmvn_17_32_kernelILj22EiiiaaiEEvT2_20rocsparse_direction_NS_24const_host_device_scalarIT0_EES1_PKS1_PKT1_SA_S7_PKT3_PKT4_S5_PT5_21rocsparse_index_base_b
    .private_segment_fixed_size: 0
    .sgpr_count:     19
    .sgpr_spill_count: 0
    .symbol:         _ZN9rocsparseL20bsrxmvn_17_32_kernelILj22EiiiaaiEEvT2_20rocsparse_direction_NS_24const_host_device_scalarIT0_EES1_PKS1_PKT1_SA_S7_PKT3_PKT4_S5_PT5_21rocsparse_index_base_b.kd
    .uniform_work_group_size: 1
    .uses_dynamic_stack: false
    .vgpr_count:     10
    .vgpr_spill_count: 0
    .wavefront_size: 32
    .workgroup_processor_mode: 1
  - .args:
      - .offset:         0
        .size:           4
        .value_kind:     by_value
      - .offset:         4
        .size:           4
        .value_kind:     by_value
      - .offset:         8
        .size:           8
        .value_kind:     by_value
      - .offset:         16
        .size:           4
        .value_kind:     by_value
      - .actual_access:  read_only
        .address_space:  global
        .offset:         24
        .size:           8
        .value_kind:     global_buffer
      - .actual_access:  read_only
        .address_space:  global
        .offset:         32
        .size:           8
        .value_kind:     global_buffer
      - .actual_access:  read_only
        .address_space:  global
        .offset:         40
        .size:           8
        .value_kind:     global_buffer
      - .actual_access:  read_only
        .address_space:  global
        .offset:         48
        .size:           8
        .value_kind:     global_buffer
      - .actual_access:  read_only
        .address_space:  global
        .offset:         56
        .size:           8
        .value_kind:     global_buffer
      - .actual_access:  read_only
        .address_space:  global
        .offset:         64
        .size:           8
        .value_kind:     global_buffer
      - .offset:         72
        .size:           8
        .value_kind:     by_value
      - .address_space:  global
        .offset:         80
        .size:           8
        .value_kind:     global_buffer
      - .offset:         88
        .size:           4
        .value_kind:     by_value
      - .offset:         92
        .size:           1
        .value_kind:     by_value
    .group_segment_fixed_size: 2116
    .kernarg_segment_align: 8
    .kernarg_segment_size: 96
    .language:       OpenCL C
    .language_version:
      - 2
      - 0
    .max_flat_workgroup_size: 529
    .name:           _ZN9rocsparseL20bsrxmvn_17_32_kernelILj23EiiiaaiEEvT2_20rocsparse_direction_NS_24const_host_device_scalarIT0_EES1_PKS1_PKT1_SA_S7_PKT3_PKT4_S5_PT5_21rocsparse_index_base_b
    .private_segment_fixed_size: 0
    .sgpr_count:     19
    .sgpr_spill_count: 0
    .symbol:         _ZN9rocsparseL20bsrxmvn_17_32_kernelILj23EiiiaaiEEvT2_20rocsparse_direction_NS_24const_host_device_scalarIT0_EES1_PKS1_PKT1_SA_S7_PKT3_PKT4_S5_PT5_21rocsparse_index_base_b.kd
    .uniform_work_group_size: 1
    .uses_dynamic_stack: false
    .vgpr_count:     10
    .vgpr_spill_count: 0
    .wavefront_size: 32
    .workgroup_processor_mode: 1
  - .args:
      - .offset:         0
        .size:           4
        .value_kind:     by_value
      - .offset:         4
        .size:           4
        .value_kind:     by_value
      - .offset:         8
        .size:           8
        .value_kind:     by_value
      - .offset:         16
        .size:           4
        .value_kind:     by_value
      - .actual_access:  read_only
        .address_space:  global
        .offset:         24
        .size:           8
        .value_kind:     global_buffer
      - .actual_access:  read_only
        .address_space:  global
        .offset:         32
        .size:           8
        .value_kind:     global_buffer
      - .actual_access:  read_only
        .address_space:  global
        .offset:         40
        .size:           8
        .value_kind:     global_buffer
      - .actual_access:  read_only
        .address_space:  global
        .offset:         48
        .size:           8
        .value_kind:     global_buffer
      - .actual_access:  read_only
        .address_space:  global
        .offset:         56
        .size:           8
        .value_kind:     global_buffer
      - .actual_access:  read_only
        .address_space:  global
        .offset:         64
        .size:           8
        .value_kind:     global_buffer
      - .offset:         72
        .size:           8
        .value_kind:     by_value
      - .address_space:  global
        .offset:         80
        .size:           8
        .value_kind:     global_buffer
      - .offset:         88
        .size:           4
        .value_kind:     by_value
      - .offset:         92
        .size:           1
        .value_kind:     by_value
    .group_segment_fixed_size: 2304
    .kernarg_segment_align: 8
    .kernarg_segment_size: 96
    .language:       OpenCL C
    .language_version:
      - 2
      - 0
    .max_flat_workgroup_size: 576
    .name:           _ZN9rocsparseL20bsrxmvn_17_32_kernelILj24EiiiaaiEEvT2_20rocsparse_direction_NS_24const_host_device_scalarIT0_EES1_PKS1_PKT1_SA_S7_PKT3_PKT4_S5_PT5_21rocsparse_index_base_b
    .private_segment_fixed_size: 0
    .sgpr_count:     19
    .sgpr_spill_count: 0
    .symbol:         _ZN9rocsparseL20bsrxmvn_17_32_kernelILj24EiiiaaiEEvT2_20rocsparse_direction_NS_24const_host_device_scalarIT0_EES1_PKS1_PKT1_SA_S7_PKT3_PKT4_S5_PT5_21rocsparse_index_base_b.kd
    .uniform_work_group_size: 1
    .uses_dynamic_stack: false
    .vgpr_count:     10
    .vgpr_spill_count: 0
    .wavefront_size: 32
    .workgroup_processor_mode: 1
  - .args:
      - .offset:         0
        .size:           4
        .value_kind:     by_value
      - .offset:         4
        .size:           4
        .value_kind:     by_value
      - .offset:         8
        .size:           8
        .value_kind:     by_value
      - .offset:         16
        .size:           4
        .value_kind:     by_value
      - .actual_access:  read_only
        .address_space:  global
        .offset:         24
        .size:           8
        .value_kind:     global_buffer
      - .actual_access:  read_only
        .address_space:  global
        .offset:         32
        .size:           8
        .value_kind:     global_buffer
      - .actual_access:  read_only
        .address_space:  global
        .offset:         40
        .size:           8
        .value_kind:     global_buffer
      - .actual_access:  read_only
        .address_space:  global
        .offset:         48
        .size:           8
        .value_kind:     global_buffer
      - .actual_access:  read_only
        .address_space:  global
        .offset:         56
        .size:           8
        .value_kind:     global_buffer
      - .actual_access:  read_only
        .address_space:  global
        .offset:         64
        .size:           8
        .value_kind:     global_buffer
      - .offset:         72
        .size:           8
        .value_kind:     by_value
      - .address_space:  global
        .offset:         80
        .size:           8
        .value_kind:     global_buffer
      - .offset:         88
        .size:           4
        .value_kind:     by_value
      - .offset:         92
        .size:           1
        .value_kind:     by_value
    .group_segment_fixed_size: 2500
    .kernarg_segment_align: 8
    .kernarg_segment_size: 96
    .language:       OpenCL C
    .language_version:
      - 2
      - 0
    .max_flat_workgroup_size: 625
    .name:           _ZN9rocsparseL20bsrxmvn_17_32_kernelILj25EiiiaaiEEvT2_20rocsparse_direction_NS_24const_host_device_scalarIT0_EES1_PKS1_PKT1_SA_S7_PKT3_PKT4_S5_PT5_21rocsparse_index_base_b
    .private_segment_fixed_size: 0
    .sgpr_count:     19
    .sgpr_spill_count: 0
    .symbol:         _ZN9rocsparseL20bsrxmvn_17_32_kernelILj25EiiiaaiEEvT2_20rocsparse_direction_NS_24const_host_device_scalarIT0_EES1_PKS1_PKT1_SA_S7_PKT3_PKT4_S5_PT5_21rocsparse_index_base_b.kd
    .uniform_work_group_size: 1
    .uses_dynamic_stack: false
    .vgpr_count:     10
    .vgpr_spill_count: 0
    .wavefront_size: 32
    .workgroup_processor_mode: 1
  - .args:
      - .offset:         0
        .size:           4
        .value_kind:     by_value
      - .offset:         4
        .size:           4
        .value_kind:     by_value
      - .offset:         8
        .size:           8
        .value_kind:     by_value
      - .offset:         16
        .size:           4
        .value_kind:     by_value
      - .actual_access:  read_only
        .address_space:  global
        .offset:         24
        .size:           8
        .value_kind:     global_buffer
      - .actual_access:  read_only
        .address_space:  global
        .offset:         32
        .size:           8
        .value_kind:     global_buffer
      - .actual_access:  read_only
        .address_space:  global
        .offset:         40
        .size:           8
        .value_kind:     global_buffer
      - .actual_access:  read_only
        .address_space:  global
        .offset:         48
        .size:           8
        .value_kind:     global_buffer
      - .actual_access:  read_only
        .address_space:  global
        .offset:         56
        .size:           8
        .value_kind:     global_buffer
      - .actual_access:  read_only
        .address_space:  global
        .offset:         64
        .size:           8
        .value_kind:     global_buffer
      - .offset:         72
        .size:           8
        .value_kind:     by_value
      - .address_space:  global
        .offset:         80
        .size:           8
        .value_kind:     global_buffer
      - .offset:         88
        .size:           4
        .value_kind:     by_value
      - .offset:         92
        .size:           1
        .value_kind:     by_value
    .group_segment_fixed_size: 2704
    .kernarg_segment_align: 8
    .kernarg_segment_size: 96
    .language:       OpenCL C
    .language_version:
      - 2
      - 0
    .max_flat_workgroup_size: 676
    .name:           _ZN9rocsparseL20bsrxmvn_17_32_kernelILj26EiiiaaiEEvT2_20rocsparse_direction_NS_24const_host_device_scalarIT0_EES1_PKS1_PKT1_SA_S7_PKT3_PKT4_S5_PT5_21rocsparse_index_base_b
    .private_segment_fixed_size: 0
    .sgpr_count:     19
    .sgpr_spill_count: 0
    .symbol:         _ZN9rocsparseL20bsrxmvn_17_32_kernelILj26EiiiaaiEEvT2_20rocsparse_direction_NS_24const_host_device_scalarIT0_EES1_PKS1_PKT1_SA_S7_PKT3_PKT4_S5_PT5_21rocsparse_index_base_b.kd
    .uniform_work_group_size: 1
    .uses_dynamic_stack: false
    .vgpr_count:     10
    .vgpr_spill_count: 0
    .wavefront_size: 32
    .workgroup_processor_mode: 1
  - .args:
      - .offset:         0
        .size:           4
        .value_kind:     by_value
      - .offset:         4
        .size:           4
        .value_kind:     by_value
      - .offset:         8
        .size:           8
        .value_kind:     by_value
      - .offset:         16
        .size:           4
        .value_kind:     by_value
      - .actual_access:  read_only
        .address_space:  global
        .offset:         24
        .size:           8
        .value_kind:     global_buffer
      - .actual_access:  read_only
        .address_space:  global
        .offset:         32
        .size:           8
        .value_kind:     global_buffer
      - .actual_access:  read_only
        .address_space:  global
        .offset:         40
        .size:           8
        .value_kind:     global_buffer
      - .actual_access:  read_only
        .address_space:  global
        .offset:         48
        .size:           8
        .value_kind:     global_buffer
      - .actual_access:  read_only
        .address_space:  global
        .offset:         56
        .size:           8
        .value_kind:     global_buffer
      - .actual_access:  read_only
        .address_space:  global
        .offset:         64
        .size:           8
        .value_kind:     global_buffer
      - .offset:         72
        .size:           8
        .value_kind:     by_value
      - .address_space:  global
        .offset:         80
        .size:           8
        .value_kind:     global_buffer
      - .offset:         88
        .size:           4
        .value_kind:     by_value
      - .offset:         92
        .size:           1
        .value_kind:     by_value
    .group_segment_fixed_size: 2916
    .kernarg_segment_align: 8
    .kernarg_segment_size: 96
    .language:       OpenCL C
    .language_version:
      - 2
      - 0
    .max_flat_workgroup_size: 729
    .name:           _ZN9rocsparseL20bsrxmvn_17_32_kernelILj27EiiiaaiEEvT2_20rocsparse_direction_NS_24const_host_device_scalarIT0_EES1_PKS1_PKT1_SA_S7_PKT3_PKT4_S5_PT5_21rocsparse_index_base_b
    .private_segment_fixed_size: 0
    .sgpr_count:     19
    .sgpr_spill_count: 0
    .symbol:         _ZN9rocsparseL20bsrxmvn_17_32_kernelILj27EiiiaaiEEvT2_20rocsparse_direction_NS_24const_host_device_scalarIT0_EES1_PKS1_PKT1_SA_S7_PKT3_PKT4_S5_PT5_21rocsparse_index_base_b.kd
    .uniform_work_group_size: 1
    .uses_dynamic_stack: false
    .vgpr_count:     10
    .vgpr_spill_count: 0
    .wavefront_size: 32
    .workgroup_processor_mode: 1
  - .args:
      - .offset:         0
        .size:           4
        .value_kind:     by_value
      - .offset:         4
        .size:           4
        .value_kind:     by_value
      - .offset:         8
        .size:           8
        .value_kind:     by_value
      - .offset:         16
        .size:           4
        .value_kind:     by_value
      - .actual_access:  read_only
        .address_space:  global
        .offset:         24
        .size:           8
        .value_kind:     global_buffer
      - .actual_access:  read_only
        .address_space:  global
        .offset:         32
        .size:           8
        .value_kind:     global_buffer
      - .actual_access:  read_only
        .address_space:  global
        .offset:         40
        .size:           8
        .value_kind:     global_buffer
      - .actual_access:  read_only
        .address_space:  global
        .offset:         48
        .size:           8
        .value_kind:     global_buffer
      - .actual_access:  read_only
        .address_space:  global
        .offset:         56
        .size:           8
        .value_kind:     global_buffer
      - .actual_access:  read_only
        .address_space:  global
        .offset:         64
        .size:           8
        .value_kind:     global_buffer
      - .offset:         72
        .size:           8
        .value_kind:     by_value
      - .address_space:  global
        .offset:         80
        .size:           8
        .value_kind:     global_buffer
      - .offset:         88
        .size:           4
        .value_kind:     by_value
      - .offset:         92
        .size:           1
        .value_kind:     by_value
    .group_segment_fixed_size: 3136
    .kernarg_segment_align: 8
    .kernarg_segment_size: 96
    .language:       OpenCL C
    .language_version:
      - 2
      - 0
    .max_flat_workgroup_size: 784
    .name:           _ZN9rocsparseL20bsrxmvn_17_32_kernelILj28EiiiaaiEEvT2_20rocsparse_direction_NS_24const_host_device_scalarIT0_EES1_PKS1_PKT1_SA_S7_PKT3_PKT4_S5_PT5_21rocsparse_index_base_b
    .private_segment_fixed_size: 0
    .sgpr_count:     19
    .sgpr_spill_count: 0
    .symbol:         _ZN9rocsparseL20bsrxmvn_17_32_kernelILj28EiiiaaiEEvT2_20rocsparse_direction_NS_24const_host_device_scalarIT0_EES1_PKS1_PKT1_SA_S7_PKT3_PKT4_S5_PT5_21rocsparse_index_base_b.kd
    .uniform_work_group_size: 1
    .uses_dynamic_stack: false
    .vgpr_count:     10
    .vgpr_spill_count: 0
    .wavefront_size: 32
    .workgroup_processor_mode: 1
  - .args:
      - .offset:         0
        .size:           4
        .value_kind:     by_value
      - .offset:         4
        .size:           4
        .value_kind:     by_value
      - .offset:         8
        .size:           8
        .value_kind:     by_value
      - .offset:         16
        .size:           4
        .value_kind:     by_value
      - .actual_access:  read_only
        .address_space:  global
        .offset:         24
        .size:           8
        .value_kind:     global_buffer
      - .actual_access:  read_only
        .address_space:  global
        .offset:         32
        .size:           8
        .value_kind:     global_buffer
      - .actual_access:  read_only
        .address_space:  global
        .offset:         40
        .size:           8
        .value_kind:     global_buffer
      - .actual_access:  read_only
        .address_space:  global
        .offset:         48
        .size:           8
        .value_kind:     global_buffer
      - .actual_access:  read_only
        .address_space:  global
        .offset:         56
        .size:           8
        .value_kind:     global_buffer
      - .actual_access:  read_only
        .address_space:  global
        .offset:         64
        .size:           8
        .value_kind:     global_buffer
      - .offset:         72
        .size:           8
        .value_kind:     by_value
      - .address_space:  global
        .offset:         80
        .size:           8
        .value_kind:     global_buffer
      - .offset:         88
        .size:           4
        .value_kind:     by_value
      - .offset:         92
        .size:           1
        .value_kind:     by_value
    .group_segment_fixed_size: 3364
    .kernarg_segment_align: 8
    .kernarg_segment_size: 96
    .language:       OpenCL C
    .language_version:
      - 2
      - 0
    .max_flat_workgroup_size: 841
    .name:           _ZN9rocsparseL20bsrxmvn_17_32_kernelILj29EiiiaaiEEvT2_20rocsparse_direction_NS_24const_host_device_scalarIT0_EES1_PKS1_PKT1_SA_S7_PKT3_PKT4_S5_PT5_21rocsparse_index_base_b
    .private_segment_fixed_size: 0
    .sgpr_count:     19
    .sgpr_spill_count: 0
    .symbol:         _ZN9rocsparseL20bsrxmvn_17_32_kernelILj29EiiiaaiEEvT2_20rocsparse_direction_NS_24const_host_device_scalarIT0_EES1_PKS1_PKT1_SA_S7_PKT3_PKT4_S5_PT5_21rocsparse_index_base_b.kd
    .uniform_work_group_size: 1
    .uses_dynamic_stack: false
    .vgpr_count:     10
    .vgpr_spill_count: 0
    .wavefront_size: 32
    .workgroup_processor_mode: 1
  - .args:
      - .offset:         0
        .size:           4
        .value_kind:     by_value
      - .offset:         4
        .size:           4
        .value_kind:     by_value
      - .offset:         8
        .size:           8
        .value_kind:     by_value
      - .offset:         16
        .size:           4
        .value_kind:     by_value
      - .actual_access:  read_only
        .address_space:  global
        .offset:         24
        .size:           8
        .value_kind:     global_buffer
      - .actual_access:  read_only
        .address_space:  global
        .offset:         32
        .size:           8
        .value_kind:     global_buffer
      - .actual_access:  read_only
        .address_space:  global
        .offset:         40
        .size:           8
        .value_kind:     global_buffer
      - .actual_access:  read_only
        .address_space:  global
        .offset:         48
        .size:           8
        .value_kind:     global_buffer
      - .actual_access:  read_only
        .address_space:  global
        .offset:         56
        .size:           8
        .value_kind:     global_buffer
      - .actual_access:  read_only
        .address_space:  global
        .offset:         64
        .size:           8
        .value_kind:     global_buffer
      - .offset:         72
        .size:           8
        .value_kind:     by_value
      - .address_space:  global
        .offset:         80
        .size:           8
        .value_kind:     global_buffer
      - .offset:         88
        .size:           4
        .value_kind:     by_value
      - .offset:         92
        .size:           1
        .value_kind:     by_value
    .group_segment_fixed_size: 3600
    .kernarg_segment_align: 8
    .kernarg_segment_size: 96
    .language:       OpenCL C
    .language_version:
      - 2
      - 0
    .max_flat_workgroup_size: 900
    .name:           _ZN9rocsparseL20bsrxmvn_17_32_kernelILj30EiiiaaiEEvT2_20rocsparse_direction_NS_24const_host_device_scalarIT0_EES1_PKS1_PKT1_SA_S7_PKT3_PKT4_S5_PT5_21rocsparse_index_base_b
    .private_segment_fixed_size: 0
    .sgpr_count:     19
    .sgpr_spill_count: 0
    .symbol:         _ZN9rocsparseL20bsrxmvn_17_32_kernelILj30EiiiaaiEEvT2_20rocsparse_direction_NS_24const_host_device_scalarIT0_EES1_PKS1_PKT1_SA_S7_PKT3_PKT4_S5_PT5_21rocsparse_index_base_b.kd
    .uniform_work_group_size: 1
    .uses_dynamic_stack: false
    .vgpr_count:     10
    .vgpr_spill_count: 0
    .wavefront_size: 32
    .workgroup_processor_mode: 1
  - .args:
      - .offset:         0
        .size:           4
        .value_kind:     by_value
      - .offset:         4
        .size:           4
        .value_kind:     by_value
      - .offset:         8
        .size:           8
        .value_kind:     by_value
      - .offset:         16
        .size:           4
        .value_kind:     by_value
      - .actual_access:  read_only
        .address_space:  global
        .offset:         24
        .size:           8
        .value_kind:     global_buffer
      - .actual_access:  read_only
        .address_space:  global
        .offset:         32
        .size:           8
        .value_kind:     global_buffer
      - .actual_access:  read_only
        .address_space:  global
        .offset:         40
        .size:           8
        .value_kind:     global_buffer
      - .actual_access:  read_only
        .address_space:  global
        .offset:         48
        .size:           8
        .value_kind:     global_buffer
      - .actual_access:  read_only
        .address_space:  global
        .offset:         56
        .size:           8
        .value_kind:     global_buffer
      - .actual_access:  read_only
        .address_space:  global
        .offset:         64
        .size:           8
        .value_kind:     global_buffer
      - .offset:         72
        .size:           8
        .value_kind:     by_value
      - .address_space:  global
        .offset:         80
        .size:           8
        .value_kind:     global_buffer
      - .offset:         88
        .size:           4
        .value_kind:     by_value
      - .offset:         92
        .size:           1
        .value_kind:     by_value
    .group_segment_fixed_size: 3844
    .kernarg_segment_align: 8
    .kernarg_segment_size: 96
    .language:       OpenCL C
    .language_version:
      - 2
      - 0
    .max_flat_workgroup_size: 961
    .name:           _ZN9rocsparseL20bsrxmvn_17_32_kernelILj31EiiiaaiEEvT2_20rocsparse_direction_NS_24const_host_device_scalarIT0_EES1_PKS1_PKT1_SA_S7_PKT3_PKT4_S5_PT5_21rocsparse_index_base_b
    .private_segment_fixed_size: 0
    .sgpr_count:     19
    .sgpr_spill_count: 0
    .symbol:         _ZN9rocsparseL20bsrxmvn_17_32_kernelILj31EiiiaaiEEvT2_20rocsparse_direction_NS_24const_host_device_scalarIT0_EES1_PKS1_PKT1_SA_S7_PKT3_PKT4_S5_PT5_21rocsparse_index_base_b.kd
    .uniform_work_group_size: 1
    .uses_dynamic_stack: false
    .vgpr_count:     10
    .vgpr_spill_count: 0
    .wavefront_size: 32
    .workgroup_processor_mode: 1
  - .args:
      - .offset:         0
        .size:           4
        .value_kind:     by_value
      - .offset:         4
        .size:           4
        .value_kind:     by_value
      - .offset:         8
        .size:           8
        .value_kind:     by_value
      - .offset:         16
        .size:           4
        .value_kind:     by_value
      - .actual_access:  read_only
        .address_space:  global
        .offset:         24
        .size:           8
        .value_kind:     global_buffer
      - .actual_access:  read_only
        .address_space:  global
        .offset:         32
        .size:           8
        .value_kind:     global_buffer
      - .actual_access:  read_only
        .address_space:  global
        .offset:         40
        .size:           8
        .value_kind:     global_buffer
      - .actual_access:  read_only
        .address_space:  global
        .offset:         48
        .size:           8
        .value_kind:     global_buffer
      - .actual_access:  read_only
        .address_space:  global
        .offset:         56
        .size:           8
        .value_kind:     global_buffer
      - .actual_access:  read_only
        .address_space:  global
        .offset:         64
        .size:           8
        .value_kind:     global_buffer
      - .offset:         72
        .size:           8
        .value_kind:     by_value
      - .address_space:  global
        .offset:         80
        .size:           8
        .value_kind:     global_buffer
      - .offset:         88
        .size:           4
        .value_kind:     by_value
      - .offset:         92
        .size:           1
        .value_kind:     by_value
    .group_segment_fixed_size: 4096
    .kernarg_segment_align: 8
    .kernarg_segment_size: 96
    .language:       OpenCL C
    .language_version:
      - 2
      - 0
    .max_flat_workgroup_size: 1024
    .name:           _ZN9rocsparseL20bsrxmvn_17_32_kernelILj32EiiiaaiEEvT2_20rocsparse_direction_NS_24const_host_device_scalarIT0_EES1_PKS1_PKT1_SA_S7_PKT3_PKT4_S5_PT5_21rocsparse_index_base_b
    .private_segment_fixed_size: 0
    .sgpr_count:     22
    .sgpr_spill_count: 0
    .symbol:         _ZN9rocsparseL20bsrxmvn_17_32_kernelILj32EiiiaaiEEvT2_20rocsparse_direction_NS_24const_host_device_scalarIT0_EES1_PKS1_PKT1_SA_S7_PKT3_PKT4_S5_PT5_21rocsparse_index_base_b.kd
    .uniform_work_group_size: 1
    .uses_dynamic_stack: false
    .vgpr_count:     9
    .vgpr_spill_count: 0
    .wavefront_size: 32
    .workgroup_processor_mode: 1
  - .args:
      - .offset:         0
        .size:           4
        .value_kind:     by_value
      - .offset:         4
        .size:           4
        .value_kind:     by_value
      - .offset:         8
        .size:           8
        .value_kind:     by_value
      - .offset:         16
        .size:           4
        .value_kind:     by_value
      - .actual_access:  read_only
        .address_space:  global
        .offset:         24
        .size:           8
        .value_kind:     global_buffer
      - .actual_access:  read_only
        .address_space:  global
        .offset:         32
        .size:           8
        .value_kind:     global_buffer
      - .actual_access:  read_only
        .address_space:  global
        .offset:         40
        .size:           8
        .value_kind:     global_buffer
      - .actual_access:  read_only
        .address_space:  global
        .offset:         48
        .size:           8
        .value_kind:     global_buffer
      - .actual_access:  read_only
        .address_space:  global
        .offset:         56
        .size:           8
        .value_kind:     global_buffer
      - .actual_access:  read_only
        .address_space:  global
        .offset:         64
        .size:           8
        .value_kind:     global_buffer
      - .offset:         72
        .size:           8
        .value_kind:     by_value
      - .address_space:  global
        .offset:         80
        .size:           8
        .value_kind:     global_buffer
      - .offset:         88
        .size:           4
        .value_kind:     by_value
      - .offset:         92
        .size:           1
        .value_kind:     by_value
    .group_segment_fixed_size: 1156
    .kernarg_segment_align: 8
    .kernarg_segment_size: 96
    .language:       OpenCL C
    .language_version:
      - 2
      - 0
    .max_flat_workgroup_size: 289
    .name:           _ZN9rocsparseL20bsrxmvn_17_32_kernelILj17EiliaaiEEvT2_20rocsparse_direction_NS_24const_host_device_scalarIT0_EES1_PKS1_PKT1_SA_S7_PKT3_PKT4_S5_PT5_21rocsparse_index_base_b
    .private_segment_fixed_size: 0
    .sgpr_count:     25
    .sgpr_spill_count: 0
    .symbol:         _ZN9rocsparseL20bsrxmvn_17_32_kernelILj17EiliaaiEEvT2_20rocsparse_direction_NS_24const_host_device_scalarIT0_EES1_PKS1_PKT1_SA_S7_PKT3_PKT4_S5_PT5_21rocsparse_index_base_b.kd
    .uniform_work_group_size: 1
    .uses_dynamic_stack: false
    .vgpr_count:     12
    .vgpr_spill_count: 0
    .wavefront_size: 32
    .workgroup_processor_mode: 1
  - .args:
      - .offset:         0
        .size:           4
        .value_kind:     by_value
      - .offset:         4
        .size:           4
        .value_kind:     by_value
      - .offset:         8
        .size:           8
        .value_kind:     by_value
      - .offset:         16
        .size:           4
        .value_kind:     by_value
      - .actual_access:  read_only
        .address_space:  global
        .offset:         24
        .size:           8
        .value_kind:     global_buffer
      - .actual_access:  read_only
        .address_space:  global
        .offset:         32
        .size:           8
        .value_kind:     global_buffer
      - .actual_access:  read_only
        .address_space:  global
        .offset:         40
        .size:           8
        .value_kind:     global_buffer
      - .actual_access:  read_only
        .address_space:  global
        .offset:         48
        .size:           8
        .value_kind:     global_buffer
      - .actual_access:  read_only
        .address_space:  global
        .offset:         56
        .size:           8
        .value_kind:     global_buffer
      - .actual_access:  read_only
        .address_space:  global
        .offset:         64
        .size:           8
        .value_kind:     global_buffer
      - .offset:         72
        .size:           8
        .value_kind:     by_value
      - .address_space:  global
        .offset:         80
        .size:           8
        .value_kind:     global_buffer
      - .offset:         88
        .size:           4
        .value_kind:     by_value
      - .offset:         92
        .size:           1
        .value_kind:     by_value
    .group_segment_fixed_size: 1296
    .kernarg_segment_align: 8
    .kernarg_segment_size: 96
    .language:       OpenCL C
    .language_version:
      - 2
      - 0
    .max_flat_workgroup_size: 324
    .name:           _ZN9rocsparseL20bsrxmvn_17_32_kernelILj18EiliaaiEEvT2_20rocsparse_direction_NS_24const_host_device_scalarIT0_EES1_PKS1_PKT1_SA_S7_PKT3_PKT4_S5_PT5_21rocsparse_index_base_b
    .private_segment_fixed_size: 0
    .sgpr_count:     25
    .sgpr_spill_count: 0
    .symbol:         _ZN9rocsparseL20bsrxmvn_17_32_kernelILj18EiliaaiEEvT2_20rocsparse_direction_NS_24const_host_device_scalarIT0_EES1_PKS1_PKT1_SA_S7_PKT3_PKT4_S5_PT5_21rocsparse_index_base_b.kd
    .uniform_work_group_size: 1
    .uses_dynamic_stack: false
    .vgpr_count:     12
    .vgpr_spill_count: 0
    .wavefront_size: 32
    .workgroup_processor_mode: 1
  - .args:
      - .offset:         0
        .size:           4
        .value_kind:     by_value
      - .offset:         4
        .size:           4
        .value_kind:     by_value
      - .offset:         8
        .size:           8
        .value_kind:     by_value
      - .offset:         16
        .size:           4
        .value_kind:     by_value
      - .actual_access:  read_only
        .address_space:  global
        .offset:         24
        .size:           8
        .value_kind:     global_buffer
      - .actual_access:  read_only
        .address_space:  global
        .offset:         32
        .size:           8
        .value_kind:     global_buffer
      - .actual_access:  read_only
        .address_space:  global
        .offset:         40
        .size:           8
        .value_kind:     global_buffer
      - .actual_access:  read_only
        .address_space:  global
        .offset:         48
        .size:           8
        .value_kind:     global_buffer
      - .actual_access:  read_only
        .address_space:  global
        .offset:         56
        .size:           8
        .value_kind:     global_buffer
      - .actual_access:  read_only
        .address_space:  global
        .offset:         64
        .size:           8
        .value_kind:     global_buffer
      - .offset:         72
        .size:           8
        .value_kind:     by_value
      - .address_space:  global
        .offset:         80
        .size:           8
        .value_kind:     global_buffer
      - .offset:         88
        .size:           4
        .value_kind:     by_value
      - .offset:         92
        .size:           1
        .value_kind:     by_value
    .group_segment_fixed_size: 1444
    .kernarg_segment_align: 8
    .kernarg_segment_size: 96
    .language:       OpenCL C
    .language_version:
      - 2
      - 0
    .max_flat_workgroup_size: 361
    .name:           _ZN9rocsparseL20bsrxmvn_17_32_kernelILj19EiliaaiEEvT2_20rocsparse_direction_NS_24const_host_device_scalarIT0_EES1_PKS1_PKT1_SA_S7_PKT3_PKT4_S5_PT5_21rocsparse_index_base_b
    .private_segment_fixed_size: 0
    .sgpr_count:     25
    .sgpr_spill_count: 0
    .symbol:         _ZN9rocsparseL20bsrxmvn_17_32_kernelILj19EiliaaiEEvT2_20rocsparse_direction_NS_24const_host_device_scalarIT0_EES1_PKS1_PKT1_SA_S7_PKT3_PKT4_S5_PT5_21rocsparse_index_base_b.kd
    .uniform_work_group_size: 1
    .uses_dynamic_stack: false
    .vgpr_count:     12
    .vgpr_spill_count: 0
    .wavefront_size: 32
    .workgroup_processor_mode: 1
  - .args:
      - .offset:         0
        .size:           4
        .value_kind:     by_value
      - .offset:         4
        .size:           4
        .value_kind:     by_value
      - .offset:         8
        .size:           8
        .value_kind:     by_value
      - .offset:         16
        .size:           4
        .value_kind:     by_value
      - .actual_access:  read_only
        .address_space:  global
        .offset:         24
        .size:           8
        .value_kind:     global_buffer
      - .actual_access:  read_only
        .address_space:  global
        .offset:         32
        .size:           8
        .value_kind:     global_buffer
      - .actual_access:  read_only
        .address_space:  global
        .offset:         40
        .size:           8
        .value_kind:     global_buffer
      - .actual_access:  read_only
        .address_space:  global
        .offset:         48
        .size:           8
        .value_kind:     global_buffer
      - .actual_access:  read_only
        .address_space:  global
        .offset:         56
        .size:           8
        .value_kind:     global_buffer
      - .actual_access:  read_only
        .address_space:  global
        .offset:         64
        .size:           8
        .value_kind:     global_buffer
      - .offset:         72
        .size:           8
        .value_kind:     by_value
      - .address_space:  global
        .offset:         80
        .size:           8
        .value_kind:     global_buffer
      - .offset:         88
        .size:           4
        .value_kind:     by_value
      - .offset:         92
        .size:           1
        .value_kind:     by_value
    .group_segment_fixed_size: 1600
    .kernarg_segment_align: 8
    .kernarg_segment_size: 96
    .language:       OpenCL C
    .language_version:
      - 2
      - 0
    .max_flat_workgroup_size: 400
    .name:           _ZN9rocsparseL20bsrxmvn_17_32_kernelILj20EiliaaiEEvT2_20rocsparse_direction_NS_24const_host_device_scalarIT0_EES1_PKS1_PKT1_SA_S7_PKT3_PKT4_S5_PT5_21rocsparse_index_base_b
    .private_segment_fixed_size: 0
    .sgpr_count:     25
    .sgpr_spill_count: 0
    .symbol:         _ZN9rocsparseL20bsrxmvn_17_32_kernelILj20EiliaaiEEvT2_20rocsparse_direction_NS_24const_host_device_scalarIT0_EES1_PKS1_PKT1_SA_S7_PKT3_PKT4_S5_PT5_21rocsparse_index_base_b.kd
    .uniform_work_group_size: 1
    .uses_dynamic_stack: false
    .vgpr_count:     12
    .vgpr_spill_count: 0
    .wavefront_size: 32
    .workgroup_processor_mode: 1
  - .args:
      - .offset:         0
        .size:           4
        .value_kind:     by_value
      - .offset:         4
        .size:           4
        .value_kind:     by_value
      - .offset:         8
        .size:           8
        .value_kind:     by_value
      - .offset:         16
        .size:           4
        .value_kind:     by_value
      - .actual_access:  read_only
        .address_space:  global
        .offset:         24
        .size:           8
        .value_kind:     global_buffer
      - .actual_access:  read_only
        .address_space:  global
        .offset:         32
        .size:           8
        .value_kind:     global_buffer
      - .actual_access:  read_only
        .address_space:  global
        .offset:         40
        .size:           8
        .value_kind:     global_buffer
      - .actual_access:  read_only
        .address_space:  global
        .offset:         48
        .size:           8
        .value_kind:     global_buffer
      - .actual_access:  read_only
        .address_space:  global
        .offset:         56
        .size:           8
        .value_kind:     global_buffer
      - .actual_access:  read_only
        .address_space:  global
        .offset:         64
        .size:           8
        .value_kind:     global_buffer
      - .offset:         72
        .size:           8
        .value_kind:     by_value
      - .address_space:  global
        .offset:         80
        .size:           8
        .value_kind:     global_buffer
      - .offset:         88
        .size:           4
        .value_kind:     by_value
      - .offset:         92
        .size:           1
        .value_kind:     by_value
    .group_segment_fixed_size: 1764
    .kernarg_segment_align: 8
    .kernarg_segment_size: 96
    .language:       OpenCL C
    .language_version:
      - 2
      - 0
    .max_flat_workgroup_size: 441
    .name:           _ZN9rocsparseL20bsrxmvn_17_32_kernelILj21EiliaaiEEvT2_20rocsparse_direction_NS_24const_host_device_scalarIT0_EES1_PKS1_PKT1_SA_S7_PKT3_PKT4_S5_PT5_21rocsparse_index_base_b
    .private_segment_fixed_size: 0
    .sgpr_count:     25
    .sgpr_spill_count: 0
    .symbol:         _ZN9rocsparseL20bsrxmvn_17_32_kernelILj21EiliaaiEEvT2_20rocsparse_direction_NS_24const_host_device_scalarIT0_EES1_PKS1_PKT1_SA_S7_PKT3_PKT4_S5_PT5_21rocsparse_index_base_b.kd
    .uniform_work_group_size: 1
    .uses_dynamic_stack: false
    .vgpr_count:     12
    .vgpr_spill_count: 0
    .wavefront_size: 32
    .workgroup_processor_mode: 1
  - .args:
      - .offset:         0
        .size:           4
        .value_kind:     by_value
      - .offset:         4
        .size:           4
        .value_kind:     by_value
      - .offset:         8
        .size:           8
        .value_kind:     by_value
      - .offset:         16
        .size:           4
        .value_kind:     by_value
      - .actual_access:  read_only
        .address_space:  global
        .offset:         24
        .size:           8
        .value_kind:     global_buffer
      - .actual_access:  read_only
        .address_space:  global
        .offset:         32
        .size:           8
        .value_kind:     global_buffer
      - .actual_access:  read_only
        .address_space:  global
        .offset:         40
        .size:           8
        .value_kind:     global_buffer
      - .actual_access:  read_only
        .address_space:  global
        .offset:         48
        .size:           8
        .value_kind:     global_buffer
      - .actual_access:  read_only
        .address_space:  global
        .offset:         56
        .size:           8
        .value_kind:     global_buffer
      - .actual_access:  read_only
        .address_space:  global
        .offset:         64
        .size:           8
        .value_kind:     global_buffer
      - .offset:         72
        .size:           8
        .value_kind:     by_value
      - .address_space:  global
        .offset:         80
        .size:           8
        .value_kind:     global_buffer
      - .offset:         88
        .size:           4
        .value_kind:     by_value
      - .offset:         92
        .size:           1
        .value_kind:     by_value
    .group_segment_fixed_size: 1936
    .kernarg_segment_align: 8
    .kernarg_segment_size: 96
    .language:       OpenCL C
    .language_version:
      - 2
      - 0
    .max_flat_workgroup_size: 484
    .name:           _ZN9rocsparseL20bsrxmvn_17_32_kernelILj22EiliaaiEEvT2_20rocsparse_direction_NS_24const_host_device_scalarIT0_EES1_PKS1_PKT1_SA_S7_PKT3_PKT4_S5_PT5_21rocsparse_index_base_b
    .private_segment_fixed_size: 0
    .sgpr_count:     25
    .sgpr_spill_count: 0
    .symbol:         _ZN9rocsparseL20bsrxmvn_17_32_kernelILj22EiliaaiEEvT2_20rocsparse_direction_NS_24const_host_device_scalarIT0_EES1_PKS1_PKT1_SA_S7_PKT3_PKT4_S5_PT5_21rocsparse_index_base_b.kd
    .uniform_work_group_size: 1
    .uses_dynamic_stack: false
    .vgpr_count:     12
    .vgpr_spill_count: 0
    .wavefront_size: 32
    .workgroup_processor_mode: 1
  - .args:
      - .offset:         0
        .size:           4
        .value_kind:     by_value
      - .offset:         4
        .size:           4
        .value_kind:     by_value
      - .offset:         8
        .size:           8
        .value_kind:     by_value
      - .offset:         16
        .size:           4
        .value_kind:     by_value
      - .actual_access:  read_only
        .address_space:  global
        .offset:         24
        .size:           8
        .value_kind:     global_buffer
      - .actual_access:  read_only
        .address_space:  global
        .offset:         32
        .size:           8
        .value_kind:     global_buffer
      - .actual_access:  read_only
        .address_space:  global
        .offset:         40
        .size:           8
        .value_kind:     global_buffer
      - .actual_access:  read_only
        .address_space:  global
        .offset:         48
        .size:           8
        .value_kind:     global_buffer
      - .actual_access:  read_only
        .address_space:  global
        .offset:         56
        .size:           8
        .value_kind:     global_buffer
      - .actual_access:  read_only
        .address_space:  global
        .offset:         64
        .size:           8
        .value_kind:     global_buffer
      - .offset:         72
        .size:           8
        .value_kind:     by_value
      - .address_space:  global
        .offset:         80
        .size:           8
        .value_kind:     global_buffer
      - .offset:         88
        .size:           4
        .value_kind:     by_value
      - .offset:         92
        .size:           1
        .value_kind:     by_value
    .group_segment_fixed_size: 2116
    .kernarg_segment_align: 8
    .kernarg_segment_size: 96
    .language:       OpenCL C
    .language_version:
      - 2
      - 0
    .max_flat_workgroup_size: 529
    .name:           _ZN9rocsparseL20bsrxmvn_17_32_kernelILj23EiliaaiEEvT2_20rocsparse_direction_NS_24const_host_device_scalarIT0_EES1_PKS1_PKT1_SA_S7_PKT3_PKT4_S5_PT5_21rocsparse_index_base_b
    .private_segment_fixed_size: 0
    .sgpr_count:     26
    .sgpr_spill_count: 0
    .symbol:         _ZN9rocsparseL20bsrxmvn_17_32_kernelILj23EiliaaiEEvT2_20rocsparse_direction_NS_24const_host_device_scalarIT0_EES1_PKS1_PKT1_SA_S7_PKT3_PKT4_S5_PT5_21rocsparse_index_base_b.kd
    .uniform_work_group_size: 1
    .uses_dynamic_stack: false
    .vgpr_count:     12
    .vgpr_spill_count: 0
    .wavefront_size: 32
    .workgroup_processor_mode: 1
  - .args:
      - .offset:         0
        .size:           4
        .value_kind:     by_value
      - .offset:         4
        .size:           4
        .value_kind:     by_value
      - .offset:         8
        .size:           8
        .value_kind:     by_value
      - .offset:         16
        .size:           4
        .value_kind:     by_value
      - .actual_access:  read_only
        .address_space:  global
        .offset:         24
        .size:           8
        .value_kind:     global_buffer
      - .actual_access:  read_only
        .address_space:  global
        .offset:         32
        .size:           8
        .value_kind:     global_buffer
      - .actual_access:  read_only
        .address_space:  global
        .offset:         40
        .size:           8
        .value_kind:     global_buffer
      - .actual_access:  read_only
        .address_space:  global
        .offset:         48
        .size:           8
        .value_kind:     global_buffer
      - .actual_access:  read_only
        .address_space:  global
        .offset:         56
        .size:           8
        .value_kind:     global_buffer
      - .actual_access:  read_only
        .address_space:  global
        .offset:         64
        .size:           8
        .value_kind:     global_buffer
      - .offset:         72
        .size:           8
        .value_kind:     by_value
      - .address_space:  global
        .offset:         80
        .size:           8
        .value_kind:     global_buffer
      - .offset:         88
        .size:           4
        .value_kind:     by_value
      - .offset:         92
        .size:           1
        .value_kind:     by_value
    .group_segment_fixed_size: 2304
    .kernarg_segment_align: 8
    .kernarg_segment_size: 96
    .language:       OpenCL C
    .language_version:
      - 2
      - 0
    .max_flat_workgroup_size: 576
    .name:           _ZN9rocsparseL20bsrxmvn_17_32_kernelILj24EiliaaiEEvT2_20rocsparse_direction_NS_24const_host_device_scalarIT0_EES1_PKS1_PKT1_SA_S7_PKT3_PKT4_S5_PT5_21rocsparse_index_base_b
    .private_segment_fixed_size: 0
    .sgpr_count:     26
    .sgpr_spill_count: 0
    .symbol:         _ZN9rocsparseL20bsrxmvn_17_32_kernelILj24EiliaaiEEvT2_20rocsparse_direction_NS_24const_host_device_scalarIT0_EES1_PKS1_PKT1_SA_S7_PKT3_PKT4_S5_PT5_21rocsparse_index_base_b.kd
    .uniform_work_group_size: 1
    .uses_dynamic_stack: false
    .vgpr_count:     12
    .vgpr_spill_count: 0
    .wavefront_size: 32
    .workgroup_processor_mode: 1
  - .args:
      - .offset:         0
        .size:           4
        .value_kind:     by_value
      - .offset:         4
        .size:           4
        .value_kind:     by_value
      - .offset:         8
        .size:           8
        .value_kind:     by_value
      - .offset:         16
        .size:           4
        .value_kind:     by_value
      - .actual_access:  read_only
        .address_space:  global
        .offset:         24
        .size:           8
        .value_kind:     global_buffer
      - .actual_access:  read_only
        .address_space:  global
        .offset:         32
        .size:           8
        .value_kind:     global_buffer
      - .actual_access:  read_only
        .address_space:  global
        .offset:         40
        .size:           8
        .value_kind:     global_buffer
      - .actual_access:  read_only
        .address_space:  global
        .offset:         48
        .size:           8
        .value_kind:     global_buffer
      - .actual_access:  read_only
        .address_space:  global
        .offset:         56
        .size:           8
        .value_kind:     global_buffer
      - .actual_access:  read_only
        .address_space:  global
        .offset:         64
        .size:           8
        .value_kind:     global_buffer
      - .offset:         72
        .size:           8
        .value_kind:     by_value
      - .address_space:  global
        .offset:         80
        .size:           8
        .value_kind:     global_buffer
      - .offset:         88
        .size:           4
        .value_kind:     by_value
      - .offset:         92
        .size:           1
        .value_kind:     by_value
    .group_segment_fixed_size: 2500
    .kernarg_segment_align: 8
    .kernarg_segment_size: 96
    .language:       OpenCL C
    .language_version:
      - 2
      - 0
    .max_flat_workgroup_size: 625
    .name:           _ZN9rocsparseL20bsrxmvn_17_32_kernelILj25EiliaaiEEvT2_20rocsparse_direction_NS_24const_host_device_scalarIT0_EES1_PKS1_PKT1_SA_S7_PKT3_PKT4_S5_PT5_21rocsparse_index_base_b
    .private_segment_fixed_size: 0
    .sgpr_count:     26
    .sgpr_spill_count: 0
    .symbol:         _ZN9rocsparseL20bsrxmvn_17_32_kernelILj25EiliaaiEEvT2_20rocsparse_direction_NS_24const_host_device_scalarIT0_EES1_PKS1_PKT1_SA_S7_PKT3_PKT4_S5_PT5_21rocsparse_index_base_b.kd
    .uniform_work_group_size: 1
    .uses_dynamic_stack: false
    .vgpr_count:     12
    .vgpr_spill_count: 0
    .wavefront_size: 32
    .workgroup_processor_mode: 1
  - .args:
      - .offset:         0
        .size:           4
        .value_kind:     by_value
      - .offset:         4
        .size:           4
        .value_kind:     by_value
      - .offset:         8
        .size:           8
        .value_kind:     by_value
      - .offset:         16
        .size:           4
        .value_kind:     by_value
      - .actual_access:  read_only
        .address_space:  global
        .offset:         24
        .size:           8
        .value_kind:     global_buffer
      - .actual_access:  read_only
        .address_space:  global
        .offset:         32
        .size:           8
        .value_kind:     global_buffer
      - .actual_access:  read_only
        .address_space:  global
        .offset:         40
        .size:           8
        .value_kind:     global_buffer
      - .actual_access:  read_only
        .address_space:  global
        .offset:         48
        .size:           8
        .value_kind:     global_buffer
      - .actual_access:  read_only
        .address_space:  global
        .offset:         56
        .size:           8
        .value_kind:     global_buffer
      - .actual_access:  read_only
        .address_space:  global
        .offset:         64
        .size:           8
        .value_kind:     global_buffer
      - .offset:         72
        .size:           8
        .value_kind:     by_value
      - .address_space:  global
        .offset:         80
        .size:           8
        .value_kind:     global_buffer
      - .offset:         88
        .size:           4
        .value_kind:     by_value
      - .offset:         92
        .size:           1
        .value_kind:     by_value
    .group_segment_fixed_size: 2704
    .kernarg_segment_align: 8
    .kernarg_segment_size: 96
    .language:       OpenCL C
    .language_version:
      - 2
      - 0
    .max_flat_workgroup_size: 676
    .name:           _ZN9rocsparseL20bsrxmvn_17_32_kernelILj26EiliaaiEEvT2_20rocsparse_direction_NS_24const_host_device_scalarIT0_EES1_PKS1_PKT1_SA_S7_PKT3_PKT4_S5_PT5_21rocsparse_index_base_b
    .private_segment_fixed_size: 0
    .sgpr_count:     26
    .sgpr_spill_count: 0
    .symbol:         _ZN9rocsparseL20bsrxmvn_17_32_kernelILj26EiliaaiEEvT2_20rocsparse_direction_NS_24const_host_device_scalarIT0_EES1_PKS1_PKT1_SA_S7_PKT3_PKT4_S5_PT5_21rocsparse_index_base_b.kd
    .uniform_work_group_size: 1
    .uses_dynamic_stack: false
    .vgpr_count:     12
    .vgpr_spill_count: 0
    .wavefront_size: 32
    .workgroup_processor_mode: 1
  - .args:
      - .offset:         0
        .size:           4
        .value_kind:     by_value
      - .offset:         4
        .size:           4
        .value_kind:     by_value
      - .offset:         8
        .size:           8
        .value_kind:     by_value
      - .offset:         16
        .size:           4
        .value_kind:     by_value
      - .actual_access:  read_only
        .address_space:  global
        .offset:         24
        .size:           8
        .value_kind:     global_buffer
      - .actual_access:  read_only
        .address_space:  global
        .offset:         32
        .size:           8
        .value_kind:     global_buffer
      - .actual_access:  read_only
        .address_space:  global
        .offset:         40
        .size:           8
        .value_kind:     global_buffer
      - .actual_access:  read_only
        .address_space:  global
        .offset:         48
        .size:           8
        .value_kind:     global_buffer
      - .actual_access:  read_only
        .address_space:  global
        .offset:         56
        .size:           8
        .value_kind:     global_buffer
      - .actual_access:  read_only
        .address_space:  global
        .offset:         64
        .size:           8
        .value_kind:     global_buffer
      - .offset:         72
        .size:           8
        .value_kind:     by_value
      - .address_space:  global
        .offset:         80
        .size:           8
        .value_kind:     global_buffer
      - .offset:         88
        .size:           4
        .value_kind:     by_value
      - .offset:         92
        .size:           1
        .value_kind:     by_value
    .group_segment_fixed_size: 2916
    .kernarg_segment_align: 8
    .kernarg_segment_size: 96
    .language:       OpenCL C
    .language_version:
      - 2
      - 0
    .max_flat_workgroup_size: 729
    .name:           _ZN9rocsparseL20bsrxmvn_17_32_kernelILj27EiliaaiEEvT2_20rocsparse_direction_NS_24const_host_device_scalarIT0_EES1_PKS1_PKT1_SA_S7_PKT3_PKT4_S5_PT5_21rocsparse_index_base_b
    .private_segment_fixed_size: 0
    .sgpr_count:     26
    .sgpr_spill_count: 0
    .symbol:         _ZN9rocsparseL20bsrxmvn_17_32_kernelILj27EiliaaiEEvT2_20rocsparse_direction_NS_24const_host_device_scalarIT0_EES1_PKS1_PKT1_SA_S7_PKT3_PKT4_S5_PT5_21rocsparse_index_base_b.kd
    .uniform_work_group_size: 1
    .uses_dynamic_stack: false
    .vgpr_count:     12
    .vgpr_spill_count: 0
    .wavefront_size: 32
    .workgroup_processor_mode: 1
  - .args:
      - .offset:         0
        .size:           4
        .value_kind:     by_value
      - .offset:         4
        .size:           4
        .value_kind:     by_value
      - .offset:         8
        .size:           8
        .value_kind:     by_value
      - .offset:         16
        .size:           4
        .value_kind:     by_value
      - .actual_access:  read_only
        .address_space:  global
        .offset:         24
        .size:           8
        .value_kind:     global_buffer
      - .actual_access:  read_only
        .address_space:  global
        .offset:         32
        .size:           8
        .value_kind:     global_buffer
      - .actual_access:  read_only
        .address_space:  global
        .offset:         40
        .size:           8
        .value_kind:     global_buffer
      - .actual_access:  read_only
        .address_space:  global
        .offset:         48
        .size:           8
        .value_kind:     global_buffer
      - .actual_access:  read_only
        .address_space:  global
        .offset:         56
        .size:           8
        .value_kind:     global_buffer
      - .actual_access:  read_only
        .address_space:  global
        .offset:         64
        .size:           8
        .value_kind:     global_buffer
      - .offset:         72
        .size:           8
        .value_kind:     by_value
      - .address_space:  global
        .offset:         80
        .size:           8
        .value_kind:     global_buffer
      - .offset:         88
        .size:           4
        .value_kind:     by_value
      - .offset:         92
        .size:           1
        .value_kind:     by_value
    .group_segment_fixed_size: 3136
    .kernarg_segment_align: 8
    .kernarg_segment_size: 96
    .language:       OpenCL C
    .language_version:
      - 2
      - 0
    .max_flat_workgroup_size: 784
    .name:           _ZN9rocsparseL20bsrxmvn_17_32_kernelILj28EiliaaiEEvT2_20rocsparse_direction_NS_24const_host_device_scalarIT0_EES1_PKS1_PKT1_SA_S7_PKT3_PKT4_S5_PT5_21rocsparse_index_base_b
    .private_segment_fixed_size: 0
    .sgpr_count:     26
    .sgpr_spill_count: 0
    .symbol:         _ZN9rocsparseL20bsrxmvn_17_32_kernelILj28EiliaaiEEvT2_20rocsparse_direction_NS_24const_host_device_scalarIT0_EES1_PKS1_PKT1_SA_S7_PKT3_PKT4_S5_PT5_21rocsparse_index_base_b.kd
    .uniform_work_group_size: 1
    .uses_dynamic_stack: false
    .vgpr_count:     12
    .vgpr_spill_count: 0
    .wavefront_size: 32
    .workgroup_processor_mode: 1
  - .args:
      - .offset:         0
        .size:           4
        .value_kind:     by_value
      - .offset:         4
        .size:           4
        .value_kind:     by_value
      - .offset:         8
        .size:           8
        .value_kind:     by_value
      - .offset:         16
        .size:           4
        .value_kind:     by_value
      - .actual_access:  read_only
        .address_space:  global
        .offset:         24
        .size:           8
        .value_kind:     global_buffer
      - .actual_access:  read_only
        .address_space:  global
        .offset:         32
        .size:           8
        .value_kind:     global_buffer
      - .actual_access:  read_only
        .address_space:  global
        .offset:         40
        .size:           8
        .value_kind:     global_buffer
      - .actual_access:  read_only
        .address_space:  global
        .offset:         48
        .size:           8
        .value_kind:     global_buffer
      - .actual_access:  read_only
        .address_space:  global
        .offset:         56
        .size:           8
        .value_kind:     global_buffer
      - .actual_access:  read_only
        .address_space:  global
        .offset:         64
        .size:           8
        .value_kind:     global_buffer
      - .offset:         72
        .size:           8
        .value_kind:     by_value
      - .address_space:  global
        .offset:         80
        .size:           8
        .value_kind:     global_buffer
      - .offset:         88
        .size:           4
        .value_kind:     by_value
      - .offset:         92
        .size:           1
        .value_kind:     by_value
    .group_segment_fixed_size: 3364
    .kernarg_segment_align: 8
    .kernarg_segment_size: 96
    .language:       OpenCL C
    .language_version:
      - 2
      - 0
    .max_flat_workgroup_size: 841
    .name:           _ZN9rocsparseL20bsrxmvn_17_32_kernelILj29EiliaaiEEvT2_20rocsparse_direction_NS_24const_host_device_scalarIT0_EES1_PKS1_PKT1_SA_S7_PKT3_PKT4_S5_PT5_21rocsparse_index_base_b
    .private_segment_fixed_size: 0
    .sgpr_count:     26
    .sgpr_spill_count: 0
    .symbol:         _ZN9rocsparseL20bsrxmvn_17_32_kernelILj29EiliaaiEEvT2_20rocsparse_direction_NS_24const_host_device_scalarIT0_EES1_PKS1_PKT1_SA_S7_PKT3_PKT4_S5_PT5_21rocsparse_index_base_b.kd
    .uniform_work_group_size: 1
    .uses_dynamic_stack: false
    .vgpr_count:     12
    .vgpr_spill_count: 0
    .wavefront_size: 32
    .workgroup_processor_mode: 1
  - .args:
      - .offset:         0
        .size:           4
        .value_kind:     by_value
      - .offset:         4
        .size:           4
        .value_kind:     by_value
      - .offset:         8
        .size:           8
        .value_kind:     by_value
      - .offset:         16
        .size:           4
        .value_kind:     by_value
      - .actual_access:  read_only
        .address_space:  global
        .offset:         24
        .size:           8
        .value_kind:     global_buffer
      - .actual_access:  read_only
        .address_space:  global
        .offset:         32
        .size:           8
        .value_kind:     global_buffer
      - .actual_access:  read_only
        .address_space:  global
        .offset:         40
        .size:           8
        .value_kind:     global_buffer
      - .actual_access:  read_only
        .address_space:  global
        .offset:         48
        .size:           8
        .value_kind:     global_buffer
      - .actual_access:  read_only
        .address_space:  global
        .offset:         56
        .size:           8
        .value_kind:     global_buffer
      - .actual_access:  read_only
        .address_space:  global
        .offset:         64
        .size:           8
        .value_kind:     global_buffer
      - .offset:         72
        .size:           8
        .value_kind:     by_value
      - .address_space:  global
        .offset:         80
        .size:           8
        .value_kind:     global_buffer
      - .offset:         88
        .size:           4
        .value_kind:     by_value
      - .offset:         92
        .size:           1
        .value_kind:     by_value
    .group_segment_fixed_size: 3600
    .kernarg_segment_align: 8
    .kernarg_segment_size: 96
    .language:       OpenCL C
    .language_version:
      - 2
      - 0
    .max_flat_workgroup_size: 900
    .name:           _ZN9rocsparseL20bsrxmvn_17_32_kernelILj30EiliaaiEEvT2_20rocsparse_direction_NS_24const_host_device_scalarIT0_EES1_PKS1_PKT1_SA_S7_PKT3_PKT4_S5_PT5_21rocsparse_index_base_b
    .private_segment_fixed_size: 0
    .sgpr_count:     26
    .sgpr_spill_count: 0
    .symbol:         _ZN9rocsparseL20bsrxmvn_17_32_kernelILj30EiliaaiEEvT2_20rocsparse_direction_NS_24const_host_device_scalarIT0_EES1_PKS1_PKT1_SA_S7_PKT3_PKT4_S5_PT5_21rocsparse_index_base_b.kd
    .uniform_work_group_size: 1
    .uses_dynamic_stack: false
    .vgpr_count:     12
    .vgpr_spill_count: 0
    .wavefront_size: 32
    .workgroup_processor_mode: 1
  - .args:
      - .offset:         0
        .size:           4
        .value_kind:     by_value
      - .offset:         4
        .size:           4
        .value_kind:     by_value
      - .offset:         8
        .size:           8
        .value_kind:     by_value
      - .offset:         16
        .size:           4
        .value_kind:     by_value
      - .actual_access:  read_only
        .address_space:  global
        .offset:         24
        .size:           8
        .value_kind:     global_buffer
      - .actual_access:  read_only
        .address_space:  global
        .offset:         32
        .size:           8
        .value_kind:     global_buffer
      - .actual_access:  read_only
        .address_space:  global
        .offset:         40
        .size:           8
        .value_kind:     global_buffer
      - .actual_access:  read_only
        .address_space:  global
        .offset:         48
        .size:           8
        .value_kind:     global_buffer
      - .actual_access:  read_only
        .address_space:  global
        .offset:         56
        .size:           8
        .value_kind:     global_buffer
      - .actual_access:  read_only
        .address_space:  global
        .offset:         64
        .size:           8
        .value_kind:     global_buffer
      - .offset:         72
        .size:           8
        .value_kind:     by_value
      - .address_space:  global
        .offset:         80
        .size:           8
        .value_kind:     global_buffer
      - .offset:         88
        .size:           4
        .value_kind:     by_value
      - .offset:         92
        .size:           1
        .value_kind:     by_value
    .group_segment_fixed_size: 3844
    .kernarg_segment_align: 8
    .kernarg_segment_size: 96
    .language:       OpenCL C
    .language_version:
      - 2
      - 0
    .max_flat_workgroup_size: 961
    .name:           _ZN9rocsparseL20bsrxmvn_17_32_kernelILj31EiliaaiEEvT2_20rocsparse_direction_NS_24const_host_device_scalarIT0_EES1_PKS1_PKT1_SA_S7_PKT3_PKT4_S5_PT5_21rocsparse_index_base_b
    .private_segment_fixed_size: 0
    .sgpr_count:     26
    .sgpr_spill_count: 0
    .symbol:         _ZN9rocsparseL20bsrxmvn_17_32_kernelILj31EiliaaiEEvT2_20rocsparse_direction_NS_24const_host_device_scalarIT0_EES1_PKS1_PKT1_SA_S7_PKT3_PKT4_S5_PT5_21rocsparse_index_base_b.kd
    .uniform_work_group_size: 1
    .uses_dynamic_stack: false
    .vgpr_count:     12
    .vgpr_spill_count: 0
    .wavefront_size: 32
    .workgroup_processor_mode: 1
  - .args:
      - .offset:         0
        .size:           4
        .value_kind:     by_value
      - .offset:         4
        .size:           4
        .value_kind:     by_value
      - .offset:         8
        .size:           8
        .value_kind:     by_value
      - .offset:         16
        .size:           4
        .value_kind:     by_value
      - .actual_access:  read_only
        .address_space:  global
        .offset:         24
        .size:           8
        .value_kind:     global_buffer
      - .actual_access:  read_only
        .address_space:  global
        .offset:         32
        .size:           8
        .value_kind:     global_buffer
      - .actual_access:  read_only
        .address_space:  global
        .offset:         40
        .size:           8
        .value_kind:     global_buffer
      - .actual_access:  read_only
        .address_space:  global
        .offset:         48
        .size:           8
        .value_kind:     global_buffer
      - .actual_access:  read_only
        .address_space:  global
        .offset:         56
        .size:           8
        .value_kind:     global_buffer
      - .actual_access:  read_only
        .address_space:  global
        .offset:         64
        .size:           8
        .value_kind:     global_buffer
      - .offset:         72
        .size:           8
        .value_kind:     by_value
      - .address_space:  global
        .offset:         80
        .size:           8
        .value_kind:     global_buffer
      - .offset:         88
        .size:           4
        .value_kind:     by_value
      - .offset:         92
        .size:           1
        .value_kind:     by_value
    .group_segment_fixed_size: 4096
    .kernarg_segment_align: 8
    .kernarg_segment_size: 96
    .language:       OpenCL C
    .language_version:
      - 2
      - 0
    .max_flat_workgroup_size: 1024
    .name:           _ZN9rocsparseL20bsrxmvn_17_32_kernelILj32EiliaaiEEvT2_20rocsparse_direction_NS_24const_host_device_scalarIT0_EES1_PKS1_PKT1_SA_S7_PKT3_PKT4_S5_PT5_21rocsparse_index_base_b
    .private_segment_fixed_size: 0
    .sgpr_count:     30
    .sgpr_spill_count: 0
    .symbol:         _ZN9rocsparseL20bsrxmvn_17_32_kernelILj32EiliaaiEEvT2_20rocsparse_direction_NS_24const_host_device_scalarIT0_EES1_PKS1_PKT1_SA_S7_PKT3_PKT4_S5_PT5_21rocsparse_index_base_b.kd
    .uniform_work_group_size: 1
    .uses_dynamic_stack: false
    .vgpr_count:     9
    .vgpr_spill_count: 0
    .wavefront_size: 32
    .workgroup_processor_mode: 1
  - .args:
      - .offset:         0
        .size:           8
        .value_kind:     by_value
      - .offset:         8
        .size:           4
        .value_kind:     by_value
      - .offset:         16
        .size:           8
        .value_kind:     by_value
      - .offset:         24
        .size:           8
        .value_kind:     by_value
      - .actual_access:  read_only
        .address_space:  global
        .offset:         32
        .size:           8
        .value_kind:     global_buffer
      - .actual_access:  read_only
        .address_space:  global
        .offset:         40
        .size:           8
        .value_kind:     global_buffer
      - .actual_access:  read_only
        .address_space:  global
        .offset:         48
        .size:           8
        .value_kind:     global_buffer
      - .actual_access:  read_only
        .address_space:  global
        .offset:         56
        .size:           8
        .value_kind:     global_buffer
      - .actual_access:  read_only
        .address_space:  global
        .offset:         64
        .size:           8
        .value_kind:     global_buffer
      - .actual_access:  read_only
        .address_space:  global
        .offset:         72
        .size:           8
        .value_kind:     global_buffer
      - .offset:         80
        .size:           8
        .value_kind:     by_value
      - .address_space:  global
        .offset:         88
        .size:           8
        .value_kind:     global_buffer
      - .offset:         96
        .size:           4
        .value_kind:     by_value
      - .offset:         100
        .size:           1
        .value_kind:     by_value
    .group_segment_fixed_size: 1156
    .kernarg_segment_align: 8
    .kernarg_segment_size: 104
    .language:       OpenCL C
    .language_version:
      - 2
      - 0
    .max_flat_workgroup_size: 289
    .name:           _ZN9rocsparseL20bsrxmvn_17_32_kernelILj17EillaaiEEvT2_20rocsparse_direction_NS_24const_host_device_scalarIT0_EES1_PKS1_PKT1_SA_S7_PKT3_PKT4_S5_PT5_21rocsparse_index_base_b
    .private_segment_fixed_size: 0
    .sgpr_count:     26
    .sgpr_spill_count: 0
    .symbol:         _ZN9rocsparseL20bsrxmvn_17_32_kernelILj17EillaaiEEvT2_20rocsparse_direction_NS_24const_host_device_scalarIT0_EES1_PKS1_PKT1_SA_S7_PKT3_PKT4_S5_PT5_21rocsparse_index_base_b.kd
    .uniform_work_group_size: 1
    .uses_dynamic_stack: false
    .vgpr_count:     15
    .vgpr_spill_count: 0
    .wavefront_size: 32
    .workgroup_processor_mode: 1
  - .args:
      - .offset:         0
        .size:           8
        .value_kind:     by_value
      - .offset:         8
        .size:           4
        .value_kind:     by_value
      - .offset:         16
        .size:           8
        .value_kind:     by_value
      - .offset:         24
        .size:           8
        .value_kind:     by_value
      - .actual_access:  read_only
        .address_space:  global
        .offset:         32
        .size:           8
        .value_kind:     global_buffer
      - .actual_access:  read_only
        .address_space:  global
        .offset:         40
        .size:           8
        .value_kind:     global_buffer
      - .actual_access:  read_only
        .address_space:  global
        .offset:         48
        .size:           8
        .value_kind:     global_buffer
      - .actual_access:  read_only
        .address_space:  global
        .offset:         56
        .size:           8
        .value_kind:     global_buffer
      - .actual_access:  read_only
        .address_space:  global
        .offset:         64
        .size:           8
        .value_kind:     global_buffer
      - .actual_access:  read_only
        .address_space:  global
        .offset:         72
        .size:           8
        .value_kind:     global_buffer
      - .offset:         80
        .size:           8
        .value_kind:     by_value
      - .address_space:  global
        .offset:         88
        .size:           8
        .value_kind:     global_buffer
      - .offset:         96
        .size:           4
        .value_kind:     by_value
      - .offset:         100
        .size:           1
        .value_kind:     by_value
    .group_segment_fixed_size: 1296
    .kernarg_segment_align: 8
    .kernarg_segment_size: 104
    .language:       OpenCL C
    .language_version:
      - 2
      - 0
    .max_flat_workgroup_size: 324
    .name:           _ZN9rocsparseL20bsrxmvn_17_32_kernelILj18EillaaiEEvT2_20rocsparse_direction_NS_24const_host_device_scalarIT0_EES1_PKS1_PKT1_SA_S7_PKT3_PKT4_S5_PT5_21rocsparse_index_base_b
    .private_segment_fixed_size: 0
    .sgpr_count:     26
    .sgpr_spill_count: 0
    .symbol:         _ZN9rocsparseL20bsrxmvn_17_32_kernelILj18EillaaiEEvT2_20rocsparse_direction_NS_24const_host_device_scalarIT0_EES1_PKS1_PKT1_SA_S7_PKT3_PKT4_S5_PT5_21rocsparse_index_base_b.kd
    .uniform_work_group_size: 1
    .uses_dynamic_stack: false
    .vgpr_count:     15
    .vgpr_spill_count: 0
    .wavefront_size: 32
    .workgroup_processor_mode: 1
  - .args:
      - .offset:         0
        .size:           8
        .value_kind:     by_value
      - .offset:         8
        .size:           4
        .value_kind:     by_value
      - .offset:         16
        .size:           8
        .value_kind:     by_value
      - .offset:         24
        .size:           8
        .value_kind:     by_value
      - .actual_access:  read_only
        .address_space:  global
        .offset:         32
        .size:           8
        .value_kind:     global_buffer
      - .actual_access:  read_only
        .address_space:  global
        .offset:         40
        .size:           8
        .value_kind:     global_buffer
      - .actual_access:  read_only
        .address_space:  global
        .offset:         48
        .size:           8
        .value_kind:     global_buffer
      - .actual_access:  read_only
        .address_space:  global
        .offset:         56
        .size:           8
        .value_kind:     global_buffer
      - .actual_access:  read_only
        .address_space:  global
        .offset:         64
        .size:           8
        .value_kind:     global_buffer
      - .actual_access:  read_only
        .address_space:  global
        .offset:         72
        .size:           8
        .value_kind:     global_buffer
      - .offset:         80
        .size:           8
        .value_kind:     by_value
      - .address_space:  global
        .offset:         88
        .size:           8
        .value_kind:     global_buffer
      - .offset:         96
        .size:           4
        .value_kind:     by_value
      - .offset:         100
        .size:           1
        .value_kind:     by_value
    .group_segment_fixed_size: 1444
    .kernarg_segment_align: 8
    .kernarg_segment_size: 104
    .language:       OpenCL C
    .language_version:
      - 2
      - 0
    .max_flat_workgroup_size: 361
    .name:           _ZN9rocsparseL20bsrxmvn_17_32_kernelILj19EillaaiEEvT2_20rocsparse_direction_NS_24const_host_device_scalarIT0_EES1_PKS1_PKT1_SA_S7_PKT3_PKT4_S5_PT5_21rocsparse_index_base_b
    .private_segment_fixed_size: 0
    .sgpr_count:     26
    .sgpr_spill_count: 0
    .symbol:         _ZN9rocsparseL20bsrxmvn_17_32_kernelILj19EillaaiEEvT2_20rocsparse_direction_NS_24const_host_device_scalarIT0_EES1_PKS1_PKT1_SA_S7_PKT3_PKT4_S5_PT5_21rocsparse_index_base_b.kd
    .uniform_work_group_size: 1
    .uses_dynamic_stack: false
    .vgpr_count:     15
    .vgpr_spill_count: 0
    .wavefront_size: 32
    .workgroup_processor_mode: 1
  - .args:
      - .offset:         0
        .size:           8
        .value_kind:     by_value
      - .offset:         8
        .size:           4
        .value_kind:     by_value
      - .offset:         16
        .size:           8
        .value_kind:     by_value
      - .offset:         24
        .size:           8
        .value_kind:     by_value
      - .actual_access:  read_only
        .address_space:  global
        .offset:         32
        .size:           8
        .value_kind:     global_buffer
      - .actual_access:  read_only
        .address_space:  global
        .offset:         40
        .size:           8
        .value_kind:     global_buffer
      - .actual_access:  read_only
        .address_space:  global
        .offset:         48
        .size:           8
        .value_kind:     global_buffer
      - .actual_access:  read_only
        .address_space:  global
        .offset:         56
        .size:           8
        .value_kind:     global_buffer
      - .actual_access:  read_only
        .address_space:  global
        .offset:         64
        .size:           8
        .value_kind:     global_buffer
      - .actual_access:  read_only
        .address_space:  global
        .offset:         72
        .size:           8
        .value_kind:     global_buffer
      - .offset:         80
        .size:           8
        .value_kind:     by_value
      - .address_space:  global
        .offset:         88
        .size:           8
        .value_kind:     global_buffer
      - .offset:         96
        .size:           4
        .value_kind:     by_value
      - .offset:         100
        .size:           1
        .value_kind:     by_value
    .group_segment_fixed_size: 1600
    .kernarg_segment_align: 8
    .kernarg_segment_size: 104
    .language:       OpenCL C
    .language_version:
      - 2
      - 0
    .max_flat_workgroup_size: 400
    .name:           _ZN9rocsparseL20bsrxmvn_17_32_kernelILj20EillaaiEEvT2_20rocsparse_direction_NS_24const_host_device_scalarIT0_EES1_PKS1_PKT1_SA_S7_PKT3_PKT4_S5_PT5_21rocsparse_index_base_b
    .private_segment_fixed_size: 0
    .sgpr_count:     26
    .sgpr_spill_count: 0
    .symbol:         _ZN9rocsparseL20bsrxmvn_17_32_kernelILj20EillaaiEEvT2_20rocsparse_direction_NS_24const_host_device_scalarIT0_EES1_PKS1_PKT1_SA_S7_PKT3_PKT4_S5_PT5_21rocsparse_index_base_b.kd
    .uniform_work_group_size: 1
    .uses_dynamic_stack: false
    .vgpr_count:     15
    .vgpr_spill_count: 0
    .wavefront_size: 32
    .workgroup_processor_mode: 1
  - .args:
      - .offset:         0
        .size:           8
        .value_kind:     by_value
      - .offset:         8
        .size:           4
        .value_kind:     by_value
      - .offset:         16
        .size:           8
        .value_kind:     by_value
      - .offset:         24
        .size:           8
        .value_kind:     by_value
      - .actual_access:  read_only
        .address_space:  global
        .offset:         32
        .size:           8
        .value_kind:     global_buffer
      - .actual_access:  read_only
        .address_space:  global
        .offset:         40
        .size:           8
        .value_kind:     global_buffer
      - .actual_access:  read_only
        .address_space:  global
        .offset:         48
        .size:           8
        .value_kind:     global_buffer
      - .actual_access:  read_only
        .address_space:  global
        .offset:         56
        .size:           8
        .value_kind:     global_buffer
      - .actual_access:  read_only
        .address_space:  global
        .offset:         64
        .size:           8
        .value_kind:     global_buffer
      - .actual_access:  read_only
        .address_space:  global
        .offset:         72
        .size:           8
        .value_kind:     global_buffer
      - .offset:         80
        .size:           8
        .value_kind:     by_value
      - .address_space:  global
        .offset:         88
        .size:           8
        .value_kind:     global_buffer
      - .offset:         96
        .size:           4
        .value_kind:     by_value
      - .offset:         100
        .size:           1
        .value_kind:     by_value
    .group_segment_fixed_size: 1764
    .kernarg_segment_align: 8
    .kernarg_segment_size: 104
    .language:       OpenCL C
    .language_version:
      - 2
      - 0
    .max_flat_workgroup_size: 441
    .name:           _ZN9rocsparseL20bsrxmvn_17_32_kernelILj21EillaaiEEvT2_20rocsparse_direction_NS_24const_host_device_scalarIT0_EES1_PKS1_PKT1_SA_S7_PKT3_PKT4_S5_PT5_21rocsparse_index_base_b
    .private_segment_fixed_size: 0
    .sgpr_count:     26
    .sgpr_spill_count: 0
    .symbol:         _ZN9rocsparseL20bsrxmvn_17_32_kernelILj21EillaaiEEvT2_20rocsparse_direction_NS_24const_host_device_scalarIT0_EES1_PKS1_PKT1_SA_S7_PKT3_PKT4_S5_PT5_21rocsparse_index_base_b.kd
    .uniform_work_group_size: 1
    .uses_dynamic_stack: false
    .vgpr_count:     15
    .vgpr_spill_count: 0
    .wavefront_size: 32
    .workgroup_processor_mode: 1
  - .args:
      - .offset:         0
        .size:           8
        .value_kind:     by_value
      - .offset:         8
        .size:           4
        .value_kind:     by_value
      - .offset:         16
        .size:           8
        .value_kind:     by_value
      - .offset:         24
        .size:           8
        .value_kind:     by_value
      - .actual_access:  read_only
        .address_space:  global
        .offset:         32
        .size:           8
        .value_kind:     global_buffer
      - .actual_access:  read_only
        .address_space:  global
        .offset:         40
        .size:           8
        .value_kind:     global_buffer
      - .actual_access:  read_only
        .address_space:  global
        .offset:         48
        .size:           8
        .value_kind:     global_buffer
      - .actual_access:  read_only
        .address_space:  global
        .offset:         56
        .size:           8
        .value_kind:     global_buffer
      - .actual_access:  read_only
        .address_space:  global
        .offset:         64
        .size:           8
        .value_kind:     global_buffer
      - .actual_access:  read_only
        .address_space:  global
        .offset:         72
        .size:           8
        .value_kind:     global_buffer
      - .offset:         80
        .size:           8
        .value_kind:     by_value
      - .address_space:  global
        .offset:         88
        .size:           8
        .value_kind:     global_buffer
      - .offset:         96
        .size:           4
        .value_kind:     by_value
      - .offset:         100
        .size:           1
        .value_kind:     by_value
    .group_segment_fixed_size: 1936
    .kernarg_segment_align: 8
    .kernarg_segment_size: 104
    .language:       OpenCL C
    .language_version:
      - 2
      - 0
    .max_flat_workgroup_size: 484
    .name:           _ZN9rocsparseL20bsrxmvn_17_32_kernelILj22EillaaiEEvT2_20rocsparse_direction_NS_24const_host_device_scalarIT0_EES1_PKS1_PKT1_SA_S7_PKT3_PKT4_S5_PT5_21rocsparse_index_base_b
    .private_segment_fixed_size: 0
    .sgpr_count:     26
    .sgpr_spill_count: 0
    .symbol:         _ZN9rocsparseL20bsrxmvn_17_32_kernelILj22EillaaiEEvT2_20rocsparse_direction_NS_24const_host_device_scalarIT0_EES1_PKS1_PKT1_SA_S7_PKT3_PKT4_S5_PT5_21rocsparse_index_base_b.kd
    .uniform_work_group_size: 1
    .uses_dynamic_stack: false
    .vgpr_count:     15
    .vgpr_spill_count: 0
    .wavefront_size: 32
    .workgroup_processor_mode: 1
  - .args:
      - .offset:         0
        .size:           8
        .value_kind:     by_value
      - .offset:         8
        .size:           4
        .value_kind:     by_value
      - .offset:         16
        .size:           8
        .value_kind:     by_value
      - .offset:         24
        .size:           8
        .value_kind:     by_value
      - .actual_access:  read_only
        .address_space:  global
        .offset:         32
        .size:           8
        .value_kind:     global_buffer
      - .actual_access:  read_only
        .address_space:  global
        .offset:         40
        .size:           8
        .value_kind:     global_buffer
      - .actual_access:  read_only
        .address_space:  global
        .offset:         48
        .size:           8
        .value_kind:     global_buffer
      - .actual_access:  read_only
        .address_space:  global
        .offset:         56
        .size:           8
        .value_kind:     global_buffer
      - .actual_access:  read_only
        .address_space:  global
        .offset:         64
        .size:           8
        .value_kind:     global_buffer
      - .actual_access:  read_only
        .address_space:  global
        .offset:         72
        .size:           8
        .value_kind:     global_buffer
      - .offset:         80
        .size:           8
        .value_kind:     by_value
      - .address_space:  global
        .offset:         88
        .size:           8
        .value_kind:     global_buffer
      - .offset:         96
        .size:           4
        .value_kind:     by_value
      - .offset:         100
        .size:           1
        .value_kind:     by_value
    .group_segment_fixed_size: 2116
    .kernarg_segment_align: 8
    .kernarg_segment_size: 104
    .language:       OpenCL C
    .language_version:
      - 2
      - 0
    .max_flat_workgroup_size: 529
    .name:           _ZN9rocsparseL20bsrxmvn_17_32_kernelILj23EillaaiEEvT2_20rocsparse_direction_NS_24const_host_device_scalarIT0_EES1_PKS1_PKT1_SA_S7_PKT3_PKT4_S5_PT5_21rocsparse_index_base_b
    .private_segment_fixed_size: 0
    .sgpr_count:     24
    .sgpr_spill_count: 0
    .symbol:         _ZN9rocsparseL20bsrxmvn_17_32_kernelILj23EillaaiEEvT2_20rocsparse_direction_NS_24const_host_device_scalarIT0_EES1_PKS1_PKT1_SA_S7_PKT3_PKT4_S5_PT5_21rocsparse_index_base_b.kd
    .uniform_work_group_size: 1
    .uses_dynamic_stack: false
    .vgpr_count:     15
    .vgpr_spill_count: 0
    .wavefront_size: 32
    .workgroup_processor_mode: 1
  - .args:
      - .offset:         0
        .size:           8
        .value_kind:     by_value
      - .offset:         8
        .size:           4
        .value_kind:     by_value
      - .offset:         16
        .size:           8
        .value_kind:     by_value
      - .offset:         24
        .size:           8
        .value_kind:     by_value
      - .actual_access:  read_only
        .address_space:  global
        .offset:         32
        .size:           8
        .value_kind:     global_buffer
      - .actual_access:  read_only
        .address_space:  global
        .offset:         40
        .size:           8
        .value_kind:     global_buffer
      - .actual_access:  read_only
        .address_space:  global
        .offset:         48
        .size:           8
        .value_kind:     global_buffer
      - .actual_access:  read_only
        .address_space:  global
        .offset:         56
        .size:           8
        .value_kind:     global_buffer
      - .actual_access:  read_only
        .address_space:  global
        .offset:         64
        .size:           8
        .value_kind:     global_buffer
      - .actual_access:  read_only
        .address_space:  global
        .offset:         72
        .size:           8
        .value_kind:     global_buffer
      - .offset:         80
        .size:           8
        .value_kind:     by_value
      - .address_space:  global
        .offset:         88
        .size:           8
        .value_kind:     global_buffer
      - .offset:         96
        .size:           4
        .value_kind:     by_value
      - .offset:         100
        .size:           1
        .value_kind:     by_value
    .group_segment_fixed_size: 2304
    .kernarg_segment_align: 8
    .kernarg_segment_size: 104
    .language:       OpenCL C
    .language_version:
      - 2
      - 0
    .max_flat_workgroup_size: 576
    .name:           _ZN9rocsparseL20bsrxmvn_17_32_kernelILj24EillaaiEEvT2_20rocsparse_direction_NS_24const_host_device_scalarIT0_EES1_PKS1_PKT1_SA_S7_PKT3_PKT4_S5_PT5_21rocsparse_index_base_b
    .private_segment_fixed_size: 0
    .sgpr_count:     24
    .sgpr_spill_count: 0
    .symbol:         _ZN9rocsparseL20bsrxmvn_17_32_kernelILj24EillaaiEEvT2_20rocsparse_direction_NS_24const_host_device_scalarIT0_EES1_PKS1_PKT1_SA_S7_PKT3_PKT4_S5_PT5_21rocsparse_index_base_b.kd
    .uniform_work_group_size: 1
    .uses_dynamic_stack: false
    .vgpr_count:     15
    .vgpr_spill_count: 0
    .wavefront_size: 32
    .workgroup_processor_mode: 1
  - .args:
      - .offset:         0
        .size:           8
        .value_kind:     by_value
      - .offset:         8
        .size:           4
        .value_kind:     by_value
      - .offset:         16
        .size:           8
        .value_kind:     by_value
      - .offset:         24
        .size:           8
        .value_kind:     by_value
      - .actual_access:  read_only
        .address_space:  global
        .offset:         32
        .size:           8
        .value_kind:     global_buffer
      - .actual_access:  read_only
        .address_space:  global
        .offset:         40
        .size:           8
        .value_kind:     global_buffer
      - .actual_access:  read_only
        .address_space:  global
        .offset:         48
        .size:           8
        .value_kind:     global_buffer
      - .actual_access:  read_only
        .address_space:  global
        .offset:         56
        .size:           8
        .value_kind:     global_buffer
      - .actual_access:  read_only
        .address_space:  global
        .offset:         64
        .size:           8
        .value_kind:     global_buffer
      - .actual_access:  read_only
        .address_space:  global
        .offset:         72
        .size:           8
        .value_kind:     global_buffer
      - .offset:         80
        .size:           8
        .value_kind:     by_value
      - .address_space:  global
        .offset:         88
        .size:           8
        .value_kind:     global_buffer
      - .offset:         96
        .size:           4
        .value_kind:     by_value
      - .offset:         100
        .size:           1
        .value_kind:     by_value
    .group_segment_fixed_size: 2500
    .kernarg_segment_align: 8
    .kernarg_segment_size: 104
    .language:       OpenCL C
    .language_version:
      - 2
      - 0
    .max_flat_workgroup_size: 625
    .name:           _ZN9rocsparseL20bsrxmvn_17_32_kernelILj25EillaaiEEvT2_20rocsparse_direction_NS_24const_host_device_scalarIT0_EES1_PKS1_PKT1_SA_S7_PKT3_PKT4_S5_PT5_21rocsparse_index_base_b
    .private_segment_fixed_size: 0
    .sgpr_count:     24
    .sgpr_spill_count: 0
    .symbol:         _ZN9rocsparseL20bsrxmvn_17_32_kernelILj25EillaaiEEvT2_20rocsparse_direction_NS_24const_host_device_scalarIT0_EES1_PKS1_PKT1_SA_S7_PKT3_PKT4_S5_PT5_21rocsparse_index_base_b.kd
    .uniform_work_group_size: 1
    .uses_dynamic_stack: false
    .vgpr_count:     15
    .vgpr_spill_count: 0
    .wavefront_size: 32
    .workgroup_processor_mode: 1
  - .args:
      - .offset:         0
        .size:           8
        .value_kind:     by_value
      - .offset:         8
        .size:           4
        .value_kind:     by_value
      - .offset:         16
        .size:           8
        .value_kind:     by_value
      - .offset:         24
        .size:           8
        .value_kind:     by_value
      - .actual_access:  read_only
        .address_space:  global
        .offset:         32
        .size:           8
        .value_kind:     global_buffer
      - .actual_access:  read_only
        .address_space:  global
        .offset:         40
        .size:           8
        .value_kind:     global_buffer
      - .actual_access:  read_only
        .address_space:  global
        .offset:         48
        .size:           8
        .value_kind:     global_buffer
      - .actual_access:  read_only
        .address_space:  global
        .offset:         56
        .size:           8
        .value_kind:     global_buffer
      - .actual_access:  read_only
        .address_space:  global
        .offset:         64
        .size:           8
        .value_kind:     global_buffer
      - .actual_access:  read_only
        .address_space:  global
        .offset:         72
        .size:           8
        .value_kind:     global_buffer
      - .offset:         80
        .size:           8
        .value_kind:     by_value
      - .address_space:  global
        .offset:         88
        .size:           8
        .value_kind:     global_buffer
      - .offset:         96
        .size:           4
        .value_kind:     by_value
      - .offset:         100
        .size:           1
        .value_kind:     by_value
    .group_segment_fixed_size: 2704
    .kernarg_segment_align: 8
    .kernarg_segment_size: 104
    .language:       OpenCL C
    .language_version:
      - 2
      - 0
    .max_flat_workgroup_size: 676
    .name:           _ZN9rocsparseL20bsrxmvn_17_32_kernelILj26EillaaiEEvT2_20rocsparse_direction_NS_24const_host_device_scalarIT0_EES1_PKS1_PKT1_SA_S7_PKT3_PKT4_S5_PT5_21rocsparse_index_base_b
    .private_segment_fixed_size: 0
    .sgpr_count:     24
    .sgpr_spill_count: 0
    .symbol:         _ZN9rocsparseL20bsrxmvn_17_32_kernelILj26EillaaiEEvT2_20rocsparse_direction_NS_24const_host_device_scalarIT0_EES1_PKS1_PKT1_SA_S7_PKT3_PKT4_S5_PT5_21rocsparse_index_base_b.kd
    .uniform_work_group_size: 1
    .uses_dynamic_stack: false
    .vgpr_count:     15
    .vgpr_spill_count: 0
    .wavefront_size: 32
    .workgroup_processor_mode: 1
  - .args:
      - .offset:         0
        .size:           8
        .value_kind:     by_value
      - .offset:         8
        .size:           4
        .value_kind:     by_value
      - .offset:         16
        .size:           8
        .value_kind:     by_value
      - .offset:         24
        .size:           8
        .value_kind:     by_value
      - .actual_access:  read_only
        .address_space:  global
        .offset:         32
        .size:           8
        .value_kind:     global_buffer
      - .actual_access:  read_only
        .address_space:  global
        .offset:         40
        .size:           8
        .value_kind:     global_buffer
      - .actual_access:  read_only
        .address_space:  global
        .offset:         48
        .size:           8
        .value_kind:     global_buffer
      - .actual_access:  read_only
        .address_space:  global
        .offset:         56
        .size:           8
        .value_kind:     global_buffer
      - .actual_access:  read_only
        .address_space:  global
        .offset:         64
        .size:           8
        .value_kind:     global_buffer
      - .actual_access:  read_only
        .address_space:  global
        .offset:         72
        .size:           8
        .value_kind:     global_buffer
      - .offset:         80
        .size:           8
        .value_kind:     by_value
      - .address_space:  global
        .offset:         88
        .size:           8
        .value_kind:     global_buffer
      - .offset:         96
        .size:           4
        .value_kind:     by_value
      - .offset:         100
        .size:           1
        .value_kind:     by_value
    .group_segment_fixed_size: 2916
    .kernarg_segment_align: 8
    .kernarg_segment_size: 104
    .language:       OpenCL C
    .language_version:
      - 2
      - 0
    .max_flat_workgroup_size: 729
    .name:           _ZN9rocsparseL20bsrxmvn_17_32_kernelILj27EillaaiEEvT2_20rocsparse_direction_NS_24const_host_device_scalarIT0_EES1_PKS1_PKT1_SA_S7_PKT3_PKT4_S5_PT5_21rocsparse_index_base_b
    .private_segment_fixed_size: 0
    .sgpr_count:     24
    .sgpr_spill_count: 0
    .symbol:         _ZN9rocsparseL20bsrxmvn_17_32_kernelILj27EillaaiEEvT2_20rocsparse_direction_NS_24const_host_device_scalarIT0_EES1_PKS1_PKT1_SA_S7_PKT3_PKT4_S5_PT5_21rocsparse_index_base_b.kd
    .uniform_work_group_size: 1
    .uses_dynamic_stack: false
    .vgpr_count:     15
    .vgpr_spill_count: 0
    .wavefront_size: 32
    .workgroup_processor_mode: 1
  - .args:
      - .offset:         0
        .size:           8
        .value_kind:     by_value
      - .offset:         8
        .size:           4
        .value_kind:     by_value
      - .offset:         16
        .size:           8
        .value_kind:     by_value
      - .offset:         24
        .size:           8
        .value_kind:     by_value
      - .actual_access:  read_only
        .address_space:  global
        .offset:         32
        .size:           8
        .value_kind:     global_buffer
      - .actual_access:  read_only
        .address_space:  global
        .offset:         40
        .size:           8
        .value_kind:     global_buffer
      - .actual_access:  read_only
        .address_space:  global
        .offset:         48
        .size:           8
        .value_kind:     global_buffer
      - .actual_access:  read_only
        .address_space:  global
        .offset:         56
        .size:           8
        .value_kind:     global_buffer
      - .actual_access:  read_only
        .address_space:  global
        .offset:         64
        .size:           8
        .value_kind:     global_buffer
      - .actual_access:  read_only
        .address_space:  global
        .offset:         72
        .size:           8
        .value_kind:     global_buffer
      - .offset:         80
        .size:           8
        .value_kind:     by_value
      - .address_space:  global
        .offset:         88
        .size:           8
        .value_kind:     global_buffer
      - .offset:         96
        .size:           4
        .value_kind:     by_value
      - .offset:         100
        .size:           1
        .value_kind:     by_value
    .group_segment_fixed_size: 3136
    .kernarg_segment_align: 8
    .kernarg_segment_size: 104
    .language:       OpenCL C
    .language_version:
      - 2
      - 0
    .max_flat_workgroup_size: 784
    .name:           _ZN9rocsparseL20bsrxmvn_17_32_kernelILj28EillaaiEEvT2_20rocsparse_direction_NS_24const_host_device_scalarIT0_EES1_PKS1_PKT1_SA_S7_PKT3_PKT4_S5_PT5_21rocsparse_index_base_b
    .private_segment_fixed_size: 0
    .sgpr_count:     24
    .sgpr_spill_count: 0
    .symbol:         _ZN9rocsparseL20bsrxmvn_17_32_kernelILj28EillaaiEEvT2_20rocsparse_direction_NS_24const_host_device_scalarIT0_EES1_PKS1_PKT1_SA_S7_PKT3_PKT4_S5_PT5_21rocsparse_index_base_b.kd
    .uniform_work_group_size: 1
    .uses_dynamic_stack: false
    .vgpr_count:     15
    .vgpr_spill_count: 0
    .wavefront_size: 32
    .workgroup_processor_mode: 1
  - .args:
      - .offset:         0
        .size:           8
        .value_kind:     by_value
      - .offset:         8
        .size:           4
        .value_kind:     by_value
      - .offset:         16
        .size:           8
        .value_kind:     by_value
      - .offset:         24
        .size:           8
        .value_kind:     by_value
      - .actual_access:  read_only
        .address_space:  global
        .offset:         32
        .size:           8
        .value_kind:     global_buffer
      - .actual_access:  read_only
        .address_space:  global
        .offset:         40
        .size:           8
        .value_kind:     global_buffer
      - .actual_access:  read_only
        .address_space:  global
        .offset:         48
        .size:           8
        .value_kind:     global_buffer
      - .actual_access:  read_only
        .address_space:  global
        .offset:         56
        .size:           8
        .value_kind:     global_buffer
      - .actual_access:  read_only
        .address_space:  global
        .offset:         64
        .size:           8
        .value_kind:     global_buffer
      - .actual_access:  read_only
        .address_space:  global
        .offset:         72
        .size:           8
        .value_kind:     global_buffer
      - .offset:         80
        .size:           8
        .value_kind:     by_value
      - .address_space:  global
        .offset:         88
        .size:           8
        .value_kind:     global_buffer
      - .offset:         96
        .size:           4
        .value_kind:     by_value
      - .offset:         100
        .size:           1
        .value_kind:     by_value
    .group_segment_fixed_size: 3364
    .kernarg_segment_align: 8
    .kernarg_segment_size: 104
    .language:       OpenCL C
    .language_version:
      - 2
      - 0
    .max_flat_workgroup_size: 841
    .name:           _ZN9rocsparseL20bsrxmvn_17_32_kernelILj29EillaaiEEvT2_20rocsparse_direction_NS_24const_host_device_scalarIT0_EES1_PKS1_PKT1_SA_S7_PKT3_PKT4_S5_PT5_21rocsparse_index_base_b
    .private_segment_fixed_size: 0
    .sgpr_count:     24
    .sgpr_spill_count: 0
    .symbol:         _ZN9rocsparseL20bsrxmvn_17_32_kernelILj29EillaaiEEvT2_20rocsparse_direction_NS_24const_host_device_scalarIT0_EES1_PKS1_PKT1_SA_S7_PKT3_PKT4_S5_PT5_21rocsparse_index_base_b.kd
    .uniform_work_group_size: 1
    .uses_dynamic_stack: false
    .vgpr_count:     15
    .vgpr_spill_count: 0
    .wavefront_size: 32
    .workgroup_processor_mode: 1
  - .args:
      - .offset:         0
        .size:           8
        .value_kind:     by_value
      - .offset:         8
        .size:           4
        .value_kind:     by_value
      - .offset:         16
        .size:           8
        .value_kind:     by_value
      - .offset:         24
        .size:           8
        .value_kind:     by_value
      - .actual_access:  read_only
        .address_space:  global
        .offset:         32
        .size:           8
        .value_kind:     global_buffer
      - .actual_access:  read_only
        .address_space:  global
        .offset:         40
        .size:           8
        .value_kind:     global_buffer
      - .actual_access:  read_only
        .address_space:  global
        .offset:         48
        .size:           8
        .value_kind:     global_buffer
      - .actual_access:  read_only
        .address_space:  global
        .offset:         56
        .size:           8
        .value_kind:     global_buffer
      - .actual_access:  read_only
        .address_space:  global
        .offset:         64
        .size:           8
        .value_kind:     global_buffer
      - .actual_access:  read_only
        .address_space:  global
        .offset:         72
        .size:           8
        .value_kind:     global_buffer
      - .offset:         80
        .size:           8
        .value_kind:     by_value
      - .address_space:  global
        .offset:         88
        .size:           8
        .value_kind:     global_buffer
      - .offset:         96
        .size:           4
        .value_kind:     by_value
      - .offset:         100
        .size:           1
        .value_kind:     by_value
    .group_segment_fixed_size: 3600
    .kernarg_segment_align: 8
    .kernarg_segment_size: 104
    .language:       OpenCL C
    .language_version:
      - 2
      - 0
    .max_flat_workgroup_size: 900
    .name:           _ZN9rocsparseL20bsrxmvn_17_32_kernelILj30EillaaiEEvT2_20rocsparse_direction_NS_24const_host_device_scalarIT0_EES1_PKS1_PKT1_SA_S7_PKT3_PKT4_S5_PT5_21rocsparse_index_base_b
    .private_segment_fixed_size: 0
    .sgpr_count:     24
    .sgpr_spill_count: 0
    .symbol:         _ZN9rocsparseL20bsrxmvn_17_32_kernelILj30EillaaiEEvT2_20rocsparse_direction_NS_24const_host_device_scalarIT0_EES1_PKS1_PKT1_SA_S7_PKT3_PKT4_S5_PT5_21rocsparse_index_base_b.kd
    .uniform_work_group_size: 1
    .uses_dynamic_stack: false
    .vgpr_count:     15
    .vgpr_spill_count: 0
    .wavefront_size: 32
    .workgroup_processor_mode: 1
  - .args:
      - .offset:         0
        .size:           8
        .value_kind:     by_value
      - .offset:         8
        .size:           4
        .value_kind:     by_value
      - .offset:         16
        .size:           8
        .value_kind:     by_value
      - .offset:         24
        .size:           8
        .value_kind:     by_value
      - .actual_access:  read_only
        .address_space:  global
        .offset:         32
        .size:           8
        .value_kind:     global_buffer
      - .actual_access:  read_only
        .address_space:  global
        .offset:         40
        .size:           8
        .value_kind:     global_buffer
      - .actual_access:  read_only
        .address_space:  global
        .offset:         48
        .size:           8
        .value_kind:     global_buffer
      - .actual_access:  read_only
        .address_space:  global
        .offset:         56
        .size:           8
        .value_kind:     global_buffer
      - .actual_access:  read_only
        .address_space:  global
        .offset:         64
        .size:           8
        .value_kind:     global_buffer
      - .actual_access:  read_only
        .address_space:  global
        .offset:         72
        .size:           8
        .value_kind:     global_buffer
      - .offset:         80
        .size:           8
        .value_kind:     by_value
      - .address_space:  global
        .offset:         88
        .size:           8
        .value_kind:     global_buffer
      - .offset:         96
        .size:           4
        .value_kind:     by_value
      - .offset:         100
        .size:           1
        .value_kind:     by_value
    .group_segment_fixed_size: 3844
    .kernarg_segment_align: 8
    .kernarg_segment_size: 104
    .language:       OpenCL C
    .language_version:
      - 2
      - 0
    .max_flat_workgroup_size: 961
    .name:           _ZN9rocsparseL20bsrxmvn_17_32_kernelILj31EillaaiEEvT2_20rocsparse_direction_NS_24const_host_device_scalarIT0_EES1_PKS1_PKT1_SA_S7_PKT3_PKT4_S5_PT5_21rocsparse_index_base_b
    .private_segment_fixed_size: 0
    .sgpr_count:     24
    .sgpr_spill_count: 0
    .symbol:         _ZN9rocsparseL20bsrxmvn_17_32_kernelILj31EillaaiEEvT2_20rocsparse_direction_NS_24const_host_device_scalarIT0_EES1_PKS1_PKT1_SA_S7_PKT3_PKT4_S5_PT5_21rocsparse_index_base_b.kd
    .uniform_work_group_size: 1
    .uses_dynamic_stack: false
    .vgpr_count:     15
    .vgpr_spill_count: 0
    .wavefront_size: 32
    .workgroup_processor_mode: 1
  - .args:
      - .offset:         0
        .size:           8
        .value_kind:     by_value
      - .offset:         8
        .size:           4
        .value_kind:     by_value
      - .offset:         16
        .size:           8
        .value_kind:     by_value
      - .offset:         24
        .size:           8
        .value_kind:     by_value
      - .actual_access:  read_only
        .address_space:  global
        .offset:         32
        .size:           8
        .value_kind:     global_buffer
      - .actual_access:  read_only
        .address_space:  global
        .offset:         40
        .size:           8
        .value_kind:     global_buffer
      - .actual_access:  read_only
        .address_space:  global
        .offset:         48
        .size:           8
        .value_kind:     global_buffer
      - .actual_access:  read_only
        .address_space:  global
        .offset:         56
        .size:           8
        .value_kind:     global_buffer
      - .actual_access:  read_only
        .address_space:  global
        .offset:         64
        .size:           8
        .value_kind:     global_buffer
      - .actual_access:  read_only
        .address_space:  global
        .offset:         72
        .size:           8
        .value_kind:     global_buffer
      - .offset:         80
        .size:           8
        .value_kind:     by_value
      - .address_space:  global
        .offset:         88
        .size:           8
        .value_kind:     global_buffer
      - .offset:         96
        .size:           4
        .value_kind:     by_value
      - .offset:         100
        .size:           1
        .value_kind:     by_value
    .group_segment_fixed_size: 4096
    .kernarg_segment_align: 8
    .kernarg_segment_size: 104
    .language:       OpenCL C
    .language_version:
      - 2
      - 0
    .max_flat_workgroup_size: 1024
    .name:           _ZN9rocsparseL20bsrxmvn_17_32_kernelILj32EillaaiEEvT2_20rocsparse_direction_NS_24const_host_device_scalarIT0_EES1_PKS1_PKT1_SA_S7_PKT3_PKT4_S5_PT5_21rocsparse_index_base_b
    .private_segment_fixed_size: 0
    .sgpr_count:     28
    .sgpr_spill_count: 0
    .symbol:         _ZN9rocsparseL20bsrxmvn_17_32_kernelILj32EillaaiEEvT2_20rocsparse_direction_NS_24const_host_device_scalarIT0_EES1_PKS1_PKT1_SA_S7_PKT3_PKT4_S5_PT5_21rocsparse_index_base_b.kd
    .uniform_work_group_size: 1
    .uses_dynamic_stack: false
    .vgpr_count:     10
    .vgpr_spill_count: 0
    .wavefront_size: 32
    .workgroup_processor_mode: 1
  - .args:
      - .offset:         0
        .size:           4
        .value_kind:     by_value
      - .offset:         4
        .size:           4
        .value_kind:     by_value
      - .offset:         8
        .size:           8
        .value_kind:     by_value
      - .offset:         16
        .size:           4
        .value_kind:     by_value
      - .actual_access:  read_only
        .address_space:  global
        .offset:         24
        .size:           8
        .value_kind:     global_buffer
      - .actual_access:  read_only
        .address_space:  global
        .offset:         32
        .size:           8
        .value_kind:     global_buffer
      - .actual_access:  read_only
        .address_space:  global
        .offset:         40
        .size:           8
        .value_kind:     global_buffer
      - .actual_access:  read_only
        .address_space:  global
        .offset:         48
        .size:           8
        .value_kind:     global_buffer
      - .actual_access:  read_only
        .address_space:  global
        .offset:         56
        .size:           8
        .value_kind:     global_buffer
      - .actual_access:  read_only
        .address_space:  global
        .offset:         64
        .size:           8
        .value_kind:     global_buffer
      - .offset:         72
        .size:           8
        .value_kind:     by_value
      - .address_space:  global
        .offset:         80
        .size:           8
        .value_kind:     global_buffer
      - .offset:         88
        .size:           4
        .value_kind:     by_value
      - .offset:         92
        .size:           1
        .value_kind:     by_value
    .group_segment_fixed_size: 1156
    .kernarg_segment_align: 8
    .kernarg_segment_size: 96
    .language:       OpenCL C
    .language_version:
      - 2
      - 0
    .max_flat_workgroup_size: 289
    .name:           _ZN9rocsparseL20bsrxmvn_17_32_kernelILj17EfiiaafEEvT2_20rocsparse_direction_NS_24const_host_device_scalarIT0_EES1_PKS1_PKT1_SA_S7_PKT3_PKT4_S5_PT5_21rocsparse_index_base_b
    .private_segment_fixed_size: 0
    .sgpr_count:     19
    .sgpr_spill_count: 0
    .symbol:         _ZN9rocsparseL20bsrxmvn_17_32_kernelILj17EfiiaafEEvT2_20rocsparse_direction_NS_24const_host_device_scalarIT0_EES1_PKS1_PKT1_SA_S7_PKT3_PKT4_S5_PT5_21rocsparse_index_base_b.kd
    .uniform_work_group_size: 1
    .uses_dynamic_stack: false
    .vgpr_count:     10
    .vgpr_spill_count: 0
    .wavefront_size: 32
    .workgroup_processor_mode: 1
  - .args:
      - .offset:         0
        .size:           4
        .value_kind:     by_value
      - .offset:         4
        .size:           4
        .value_kind:     by_value
      - .offset:         8
        .size:           8
        .value_kind:     by_value
      - .offset:         16
        .size:           4
        .value_kind:     by_value
      - .actual_access:  read_only
        .address_space:  global
        .offset:         24
        .size:           8
        .value_kind:     global_buffer
      - .actual_access:  read_only
        .address_space:  global
        .offset:         32
        .size:           8
        .value_kind:     global_buffer
      - .actual_access:  read_only
        .address_space:  global
        .offset:         40
        .size:           8
        .value_kind:     global_buffer
      - .actual_access:  read_only
        .address_space:  global
        .offset:         48
        .size:           8
        .value_kind:     global_buffer
      - .actual_access:  read_only
        .address_space:  global
        .offset:         56
        .size:           8
        .value_kind:     global_buffer
      - .actual_access:  read_only
        .address_space:  global
        .offset:         64
        .size:           8
        .value_kind:     global_buffer
      - .offset:         72
        .size:           8
        .value_kind:     by_value
      - .address_space:  global
        .offset:         80
        .size:           8
        .value_kind:     global_buffer
      - .offset:         88
        .size:           4
        .value_kind:     by_value
      - .offset:         92
        .size:           1
        .value_kind:     by_value
    .group_segment_fixed_size: 1296
    .kernarg_segment_align: 8
    .kernarg_segment_size: 96
    .language:       OpenCL C
    .language_version:
      - 2
      - 0
    .max_flat_workgroup_size: 324
    .name:           _ZN9rocsparseL20bsrxmvn_17_32_kernelILj18EfiiaafEEvT2_20rocsparse_direction_NS_24const_host_device_scalarIT0_EES1_PKS1_PKT1_SA_S7_PKT3_PKT4_S5_PT5_21rocsparse_index_base_b
    .private_segment_fixed_size: 0
    .sgpr_count:     19
    .sgpr_spill_count: 0
    .symbol:         _ZN9rocsparseL20bsrxmvn_17_32_kernelILj18EfiiaafEEvT2_20rocsparse_direction_NS_24const_host_device_scalarIT0_EES1_PKS1_PKT1_SA_S7_PKT3_PKT4_S5_PT5_21rocsparse_index_base_b.kd
    .uniform_work_group_size: 1
    .uses_dynamic_stack: false
    .vgpr_count:     10
    .vgpr_spill_count: 0
    .wavefront_size: 32
    .workgroup_processor_mode: 1
  - .args:
      - .offset:         0
        .size:           4
        .value_kind:     by_value
      - .offset:         4
        .size:           4
        .value_kind:     by_value
      - .offset:         8
        .size:           8
        .value_kind:     by_value
      - .offset:         16
        .size:           4
        .value_kind:     by_value
      - .actual_access:  read_only
        .address_space:  global
        .offset:         24
        .size:           8
        .value_kind:     global_buffer
      - .actual_access:  read_only
        .address_space:  global
        .offset:         32
        .size:           8
        .value_kind:     global_buffer
      - .actual_access:  read_only
        .address_space:  global
        .offset:         40
        .size:           8
        .value_kind:     global_buffer
      - .actual_access:  read_only
        .address_space:  global
        .offset:         48
        .size:           8
        .value_kind:     global_buffer
      - .actual_access:  read_only
        .address_space:  global
        .offset:         56
        .size:           8
        .value_kind:     global_buffer
      - .actual_access:  read_only
        .address_space:  global
        .offset:         64
        .size:           8
        .value_kind:     global_buffer
      - .offset:         72
        .size:           8
        .value_kind:     by_value
      - .address_space:  global
        .offset:         80
        .size:           8
        .value_kind:     global_buffer
      - .offset:         88
        .size:           4
        .value_kind:     by_value
      - .offset:         92
        .size:           1
        .value_kind:     by_value
    .group_segment_fixed_size: 1444
    .kernarg_segment_align: 8
    .kernarg_segment_size: 96
    .language:       OpenCL C
    .language_version:
      - 2
      - 0
    .max_flat_workgroup_size: 361
    .name:           _ZN9rocsparseL20bsrxmvn_17_32_kernelILj19EfiiaafEEvT2_20rocsparse_direction_NS_24const_host_device_scalarIT0_EES1_PKS1_PKT1_SA_S7_PKT3_PKT4_S5_PT5_21rocsparse_index_base_b
    .private_segment_fixed_size: 0
    .sgpr_count:     19
    .sgpr_spill_count: 0
    .symbol:         _ZN9rocsparseL20bsrxmvn_17_32_kernelILj19EfiiaafEEvT2_20rocsparse_direction_NS_24const_host_device_scalarIT0_EES1_PKS1_PKT1_SA_S7_PKT3_PKT4_S5_PT5_21rocsparse_index_base_b.kd
    .uniform_work_group_size: 1
    .uses_dynamic_stack: false
    .vgpr_count:     10
    .vgpr_spill_count: 0
    .wavefront_size: 32
    .workgroup_processor_mode: 1
  - .args:
      - .offset:         0
        .size:           4
        .value_kind:     by_value
      - .offset:         4
        .size:           4
        .value_kind:     by_value
      - .offset:         8
        .size:           8
        .value_kind:     by_value
      - .offset:         16
        .size:           4
        .value_kind:     by_value
      - .actual_access:  read_only
        .address_space:  global
        .offset:         24
        .size:           8
        .value_kind:     global_buffer
      - .actual_access:  read_only
        .address_space:  global
        .offset:         32
        .size:           8
        .value_kind:     global_buffer
      - .actual_access:  read_only
        .address_space:  global
        .offset:         40
        .size:           8
        .value_kind:     global_buffer
      - .actual_access:  read_only
        .address_space:  global
        .offset:         48
        .size:           8
        .value_kind:     global_buffer
      - .actual_access:  read_only
        .address_space:  global
        .offset:         56
        .size:           8
        .value_kind:     global_buffer
      - .actual_access:  read_only
        .address_space:  global
        .offset:         64
        .size:           8
        .value_kind:     global_buffer
      - .offset:         72
        .size:           8
        .value_kind:     by_value
      - .address_space:  global
        .offset:         80
        .size:           8
        .value_kind:     global_buffer
      - .offset:         88
        .size:           4
        .value_kind:     by_value
      - .offset:         92
        .size:           1
        .value_kind:     by_value
    .group_segment_fixed_size: 1600
    .kernarg_segment_align: 8
    .kernarg_segment_size: 96
    .language:       OpenCL C
    .language_version:
      - 2
      - 0
    .max_flat_workgroup_size: 400
    .name:           _ZN9rocsparseL20bsrxmvn_17_32_kernelILj20EfiiaafEEvT2_20rocsparse_direction_NS_24const_host_device_scalarIT0_EES1_PKS1_PKT1_SA_S7_PKT3_PKT4_S5_PT5_21rocsparse_index_base_b
    .private_segment_fixed_size: 0
    .sgpr_count:     19
    .sgpr_spill_count: 0
    .symbol:         _ZN9rocsparseL20bsrxmvn_17_32_kernelILj20EfiiaafEEvT2_20rocsparse_direction_NS_24const_host_device_scalarIT0_EES1_PKS1_PKT1_SA_S7_PKT3_PKT4_S5_PT5_21rocsparse_index_base_b.kd
    .uniform_work_group_size: 1
    .uses_dynamic_stack: false
    .vgpr_count:     10
    .vgpr_spill_count: 0
    .wavefront_size: 32
    .workgroup_processor_mode: 1
  - .args:
      - .offset:         0
        .size:           4
        .value_kind:     by_value
      - .offset:         4
        .size:           4
        .value_kind:     by_value
      - .offset:         8
        .size:           8
        .value_kind:     by_value
      - .offset:         16
        .size:           4
        .value_kind:     by_value
      - .actual_access:  read_only
        .address_space:  global
        .offset:         24
        .size:           8
        .value_kind:     global_buffer
      - .actual_access:  read_only
        .address_space:  global
        .offset:         32
        .size:           8
        .value_kind:     global_buffer
      - .actual_access:  read_only
        .address_space:  global
        .offset:         40
        .size:           8
        .value_kind:     global_buffer
      - .actual_access:  read_only
        .address_space:  global
        .offset:         48
        .size:           8
        .value_kind:     global_buffer
      - .actual_access:  read_only
        .address_space:  global
        .offset:         56
        .size:           8
        .value_kind:     global_buffer
      - .actual_access:  read_only
        .address_space:  global
        .offset:         64
        .size:           8
        .value_kind:     global_buffer
      - .offset:         72
        .size:           8
        .value_kind:     by_value
      - .address_space:  global
        .offset:         80
        .size:           8
        .value_kind:     global_buffer
      - .offset:         88
        .size:           4
        .value_kind:     by_value
      - .offset:         92
        .size:           1
        .value_kind:     by_value
    .group_segment_fixed_size: 1764
    .kernarg_segment_align: 8
    .kernarg_segment_size: 96
    .language:       OpenCL C
    .language_version:
      - 2
      - 0
    .max_flat_workgroup_size: 441
    .name:           _ZN9rocsparseL20bsrxmvn_17_32_kernelILj21EfiiaafEEvT2_20rocsparse_direction_NS_24const_host_device_scalarIT0_EES1_PKS1_PKT1_SA_S7_PKT3_PKT4_S5_PT5_21rocsparse_index_base_b
    .private_segment_fixed_size: 0
    .sgpr_count:     19
    .sgpr_spill_count: 0
    .symbol:         _ZN9rocsparseL20bsrxmvn_17_32_kernelILj21EfiiaafEEvT2_20rocsparse_direction_NS_24const_host_device_scalarIT0_EES1_PKS1_PKT1_SA_S7_PKT3_PKT4_S5_PT5_21rocsparse_index_base_b.kd
    .uniform_work_group_size: 1
    .uses_dynamic_stack: false
    .vgpr_count:     10
    .vgpr_spill_count: 0
    .wavefront_size: 32
    .workgroup_processor_mode: 1
  - .args:
      - .offset:         0
        .size:           4
        .value_kind:     by_value
      - .offset:         4
        .size:           4
        .value_kind:     by_value
      - .offset:         8
        .size:           8
        .value_kind:     by_value
      - .offset:         16
        .size:           4
        .value_kind:     by_value
      - .actual_access:  read_only
        .address_space:  global
        .offset:         24
        .size:           8
        .value_kind:     global_buffer
      - .actual_access:  read_only
        .address_space:  global
        .offset:         32
        .size:           8
        .value_kind:     global_buffer
      - .actual_access:  read_only
        .address_space:  global
        .offset:         40
        .size:           8
        .value_kind:     global_buffer
      - .actual_access:  read_only
        .address_space:  global
        .offset:         48
        .size:           8
        .value_kind:     global_buffer
      - .actual_access:  read_only
        .address_space:  global
        .offset:         56
        .size:           8
        .value_kind:     global_buffer
      - .actual_access:  read_only
        .address_space:  global
        .offset:         64
        .size:           8
        .value_kind:     global_buffer
      - .offset:         72
        .size:           8
        .value_kind:     by_value
      - .address_space:  global
        .offset:         80
        .size:           8
        .value_kind:     global_buffer
      - .offset:         88
        .size:           4
        .value_kind:     by_value
      - .offset:         92
        .size:           1
        .value_kind:     by_value
    .group_segment_fixed_size: 1936
    .kernarg_segment_align: 8
    .kernarg_segment_size: 96
    .language:       OpenCL C
    .language_version:
      - 2
      - 0
    .max_flat_workgroup_size: 484
    .name:           _ZN9rocsparseL20bsrxmvn_17_32_kernelILj22EfiiaafEEvT2_20rocsparse_direction_NS_24const_host_device_scalarIT0_EES1_PKS1_PKT1_SA_S7_PKT3_PKT4_S5_PT5_21rocsparse_index_base_b
    .private_segment_fixed_size: 0
    .sgpr_count:     19
    .sgpr_spill_count: 0
    .symbol:         _ZN9rocsparseL20bsrxmvn_17_32_kernelILj22EfiiaafEEvT2_20rocsparse_direction_NS_24const_host_device_scalarIT0_EES1_PKS1_PKT1_SA_S7_PKT3_PKT4_S5_PT5_21rocsparse_index_base_b.kd
    .uniform_work_group_size: 1
    .uses_dynamic_stack: false
    .vgpr_count:     10
    .vgpr_spill_count: 0
    .wavefront_size: 32
    .workgroup_processor_mode: 1
  - .args:
      - .offset:         0
        .size:           4
        .value_kind:     by_value
      - .offset:         4
        .size:           4
        .value_kind:     by_value
      - .offset:         8
        .size:           8
        .value_kind:     by_value
      - .offset:         16
        .size:           4
        .value_kind:     by_value
      - .actual_access:  read_only
        .address_space:  global
        .offset:         24
        .size:           8
        .value_kind:     global_buffer
      - .actual_access:  read_only
        .address_space:  global
        .offset:         32
        .size:           8
        .value_kind:     global_buffer
      - .actual_access:  read_only
        .address_space:  global
        .offset:         40
        .size:           8
        .value_kind:     global_buffer
      - .actual_access:  read_only
        .address_space:  global
        .offset:         48
        .size:           8
        .value_kind:     global_buffer
      - .actual_access:  read_only
        .address_space:  global
        .offset:         56
        .size:           8
        .value_kind:     global_buffer
      - .actual_access:  read_only
        .address_space:  global
        .offset:         64
        .size:           8
        .value_kind:     global_buffer
      - .offset:         72
        .size:           8
        .value_kind:     by_value
      - .address_space:  global
        .offset:         80
        .size:           8
        .value_kind:     global_buffer
      - .offset:         88
        .size:           4
        .value_kind:     by_value
      - .offset:         92
        .size:           1
        .value_kind:     by_value
    .group_segment_fixed_size: 2116
    .kernarg_segment_align: 8
    .kernarg_segment_size: 96
    .language:       OpenCL C
    .language_version:
      - 2
      - 0
    .max_flat_workgroup_size: 529
    .name:           _ZN9rocsparseL20bsrxmvn_17_32_kernelILj23EfiiaafEEvT2_20rocsparse_direction_NS_24const_host_device_scalarIT0_EES1_PKS1_PKT1_SA_S7_PKT3_PKT4_S5_PT5_21rocsparse_index_base_b
    .private_segment_fixed_size: 0
    .sgpr_count:     20
    .sgpr_spill_count: 0
    .symbol:         _ZN9rocsparseL20bsrxmvn_17_32_kernelILj23EfiiaafEEvT2_20rocsparse_direction_NS_24const_host_device_scalarIT0_EES1_PKS1_PKT1_SA_S7_PKT3_PKT4_S5_PT5_21rocsparse_index_base_b.kd
    .uniform_work_group_size: 1
    .uses_dynamic_stack: false
    .vgpr_count:     10
    .vgpr_spill_count: 0
    .wavefront_size: 32
    .workgroup_processor_mode: 1
  - .args:
      - .offset:         0
        .size:           4
        .value_kind:     by_value
      - .offset:         4
        .size:           4
        .value_kind:     by_value
      - .offset:         8
        .size:           8
        .value_kind:     by_value
      - .offset:         16
        .size:           4
        .value_kind:     by_value
      - .actual_access:  read_only
        .address_space:  global
        .offset:         24
        .size:           8
        .value_kind:     global_buffer
      - .actual_access:  read_only
        .address_space:  global
        .offset:         32
        .size:           8
        .value_kind:     global_buffer
      - .actual_access:  read_only
        .address_space:  global
        .offset:         40
        .size:           8
        .value_kind:     global_buffer
      - .actual_access:  read_only
        .address_space:  global
        .offset:         48
        .size:           8
        .value_kind:     global_buffer
      - .actual_access:  read_only
        .address_space:  global
        .offset:         56
        .size:           8
        .value_kind:     global_buffer
      - .actual_access:  read_only
        .address_space:  global
        .offset:         64
        .size:           8
        .value_kind:     global_buffer
      - .offset:         72
        .size:           8
        .value_kind:     by_value
      - .address_space:  global
        .offset:         80
        .size:           8
        .value_kind:     global_buffer
      - .offset:         88
        .size:           4
        .value_kind:     by_value
      - .offset:         92
        .size:           1
        .value_kind:     by_value
    .group_segment_fixed_size: 2304
    .kernarg_segment_align: 8
    .kernarg_segment_size: 96
    .language:       OpenCL C
    .language_version:
      - 2
      - 0
    .max_flat_workgroup_size: 576
    .name:           _ZN9rocsparseL20bsrxmvn_17_32_kernelILj24EfiiaafEEvT2_20rocsparse_direction_NS_24const_host_device_scalarIT0_EES1_PKS1_PKT1_SA_S7_PKT3_PKT4_S5_PT5_21rocsparse_index_base_b
    .private_segment_fixed_size: 0
    .sgpr_count:     20
    .sgpr_spill_count: 0
    .symbol:         _ZN9rocsparseL20bsrxmvn_17_32_kernelILj24EfiiaafEEvT2_20rocsparse_direction_NS_24const_host_device_scalarIT0_EES1_PKS1_PKT1_SA_S7_PKT3_PKT4_S5_PT5_21rocsparse_index_base_b.kd
    .uniform_work_group_size: 1
    .uses_dynamic_stack: false
    .vgpr_count:     10
    .vgpr_spill_count: 0
    .wavefront_size: 32
    .workgroup_processor_mode: 1
  - .args:
      - .offset:         0
        .size:           4
        .value_kind:     by_value
      - .offset:         4
        .size:           4
        .value_kind:     by_value
      - .offset:         8
        .size:           8
        .value_kind:     by_value
      - .offset:         16
        .size:           4
        .value_kind:     by_value
      - .actual_access:  read_only
        .address_space:  global
        .offset:         24
        .size:           8
        .value_kind:     global_buffer
      - .actual_access:  read_only
        .address_space:  global
        .offset:         32
        .size:           8
        .value_kind:     global_buffer
      - .actual_access:  read_only
        .address_space:  global
        .offset:         40
        .size:           8
        .value_kind:     global_buffer
      - .actual_access:  read_only
        .address_space:  global
        .offset:         48
        .size:           8
        .value_kind:     global_buffer
      - .actual_access:  read_only
        .address_space:  global
        .offset:         56
        .size:           8
        .value_kind:     global_buffer
      - .actual_access:  read_only
        .address_space:  global
        .offset:         64
        .size:           8
        .value_kind:     global_buffer
      - .offset:         72
        .size:           8
        .value_kind:     by_value
      - .address_space:  global
        .offset:         80
        .size:           8
        .value_kind:     global_buffer
      - .offset:         88
        .size:           4
        .value_kind:     by_value
      - .offset:         92
        .size:           1
        .value_kind:     by_value
    .group_segment_fixed_size: 2500
    .kernarg_segment_align: 8
    .kernarg_segment_size: 96
    .language:       OpenCL C
    .language_version:
      - 2
      - 0
    .max_flat_workgroup_size: 625
    .name:           _ZN9rocsparseL20bsrxmvn_17_32_kernelILj25EfiiaafEEvT2_20rocsparse_direction_NS_24const_host_device_scalarIT0_EES1_PKS1_PKT1_SA_S7_PKT3_PKT4_S5_PT5_21rocsparse_index_base_b
    .private_segment_fixed_size: 0
    .sgpr_count:     20
    .sgpr_spill_count: 0
    .symbol:         _ZN9rocsparseL20bsrxmvn_17_32_kernelILj25EfiiaafEEvT2_20rocsparse_direction_NS_24const_host_device_scalarIT0_EES1_PKS1_PKT1_SA_S7_PKT3_PKT4_S5_PT5_21rocsparse_index_base_b.kd
    .uniform_work_group_size: 1
    .uses_dynamic_stack: false
    .vgpr_count:     10
    .vgpr_spill_count: 0
    .wavefront_size: 32
    .workgroup_processor_mode: 1
  - .args:
      - .offset:         0
        .size:           4
        .value_kind:     by_value
      - .offset:         4
        .size:           4
        .value_kind:     by_value
      - .offset:         8
        .size:           8
        .value_kind:     by_value
      - .offset:         16
        .size:           4
        .value_kind:     by_value
      - .actual_access:  read_only
        .address_space:  global
        .offset:         24
        .size:           8
        .value_kind:     global_buffer
      - .actual_access:  read_only
        .address_space:  global
        .offset:         32
        .size:           8
        .value_kind:     global_buffer
      - .actual_access:  read_only
        .address_space:  global
        .offset:         40
        .size:           8
        .value_kind:     global_buffer
      - .actual_access:  read_only
        .address_space:  global
        .offset:         48
        .size:           8
        .value_kind:     global_buffer
      - .actual_access:  read_only
        .address_space:  global
        .offset:         56
        .size:           8
        .value_kind:     global_buffer
      - .actual_access:  read_only
        .address_space:  global
        .offset:         64
        .size:           8
        .value_kind:     global_buffer
      - .offset:         72
        .size:           8
        .value_kind:     by_value
      - .address_space:  global
        .offset:         80
        .size:           8
        .value_kind:     global_buffer
      - .offset:         88
        .size:           4
        .value_kind:     by_value
      - .offset:         92
        .size:           1
        .value_kind:     by_value
    .group_segment_fixed_size: 2704
    .kernarg_segment_align: 8
    .kernarg_segment_size: 96
    .language:       OpenCL C
    .language_version:
      - 2
      - 0
    .max_flat_workgroup_size: 676
    .name:           _ZN9rocsparseL20bsrxmvn_17_32_kernelILj26EfiiaafEEvT2_20rocsparse_direction_NS_24const_host_device_scalarIT0_EES1_PKS1_PKT1_SA_S7_PKT3_PKT4_S5_PT5_21rocsparse_index_base_b
    .private_segment_fixed_size: 0
    .sgpr_count:     20
    .sgpr_spill_count: 0
    .symbol:         _ZN9rocsparseL20bsrxmvn_17_32_kernelILj26EfiiaafEEvT2_20rocsparse_direction_NS_24const_host_device_scalarIT0_EES1_PKS1_PKT1_SA_S7_PKT3_PKT4_S5_PT5_21rocsparse_index_base_b.kd
    .uniform_work_group_size: 1
    .uses_dynamic_stack: false
    .vgpr_count:     10
    .vgpr_spill_count: 0
    .wavefront_size: 32
    .workgroup_processor_mode: 1
  - .args:
      - .offset:         0
        .size:           4
        .value_kind:     by_value
      - .offset:         4
        .size:           4
        .value_kind:     by_value
      - .offset:         8
        .size:           8
        .value_kind:     by_value
      - .offset:         16
        .size:           4
        .value_kind:     by_value
      - .actual_access:  read_only
        .address_space:  global
        .offset:         24
        .size:           8
        .value_kind:     global_buffer
      - .actual_access:  read_only
        .address_space:  global
        .offset:         32
        .size:           8
        .value_kind:     global_buffer
      - .actual_access:  read_only
        .address_space:  global
        .offset:         40
        .size:           8
        .value_kind:     global_buffer
      - .actual_access:  read_only
        .address_space:  global
        .offset:         48
        .size:           8
        .value_kind:     global_buffer
      - .actual_access:  read_only
        .address_space:  global
        .offset:         56
        .size:           8
        .value_kind:     global_buffer
      - .actual_access:  read_only
        .address_space:  global
        .offset:         64
        .size:           8
        .value_kind:     global_buffer
      - .offset:         72
        .size:           8
        .value_kind:     by_value
      - .address_space:  global
        .offset:         80
        .size:           8
        .value_kind:     global_buffer
      - .offset:         88
        .size:           4
        .value_kind:     by_value
      - .offset:         92
        .size:           1
        .value_kind:     by_value
    .group_segment_fixed_size: 2916
    .kernarg_segment_align: 8
    .kernarg_segment_size: 96
    .language:       OpenCL C
    .language_version:
      - 2
      - 0
    .max_flat_workgroup_size: 729
    .name:           _ZN9rocsparseL20bsrxmvn_17_32_kernelILj27EfiiaafEEvT2_20rocsparse_direction_NS_24const_host_device_scalarIT0_EES1_PKS1_PKT1_SA_S7_PKT3_PKT4_S5_PT5_21rocsparse_index_base_b
    .private_segment_fixed_size: 0
    .sgpr_count:     20
    .sgpr_spill_count: 0
    .symbol:         _ZN9rocsparseL20bsrxmvn_17_32_kernelILj27EfiiaafEEvT2_20rocsparse_direction_NS_24const_host_device_scalarIT0_EES1_PKS1_PKT1_SA_S7_PKT3_PKT4_S5_PT5_21rocsparse_index_base_b.kd
    .uniform_work_group_size: 1
    .uses_dynamic_stack: false
    .vgpr_count:     10
    .vgpr_spill_count: 0
    .wavefront_size: 32
    .workgroup_processor_mode: 1
  - .args:
      - .offset:         0
        .size:           4
        .value_kind:     by_value
      - .offset:         4
        .size:           4
        .value_kind:     by_value
      - .offset:         8
        .size:           8
        .value_kind:     by_value
      - .offset:         16
        .size:           4
        .value_kind:     by_value
      - .actual_access:  read_only
        .address_space:  global
        .offset:         24
        .size:           8
        .value_kind:     global_buffer
      - .actual_access:  read_only
        .address_space:  global
        .offset:         32
        .size:           8
        .value_kind:     global_buffer
      - .actual_access:  read_only
        .address_space:  global
        .offset:         40
        .size:           8
        .value_kind:     global_buffer
      - .actual_access:  read_only
        .address_space:  global
        .offset:         48
        .size:           8
        .value_kind:     global_buffer
      - .actual_access:  read_only
        .address_space:  global
        .offset:         56
        .size:           8
        .value_kind:     global_buffer
      - .actual_access:  read_only
        .address_space:  global
        .offset:         64
        .size:           8
        .value_kind:     global_buffer
      - .offset:         72
        .size:           8
        .value_kind:     by_value
      - .address_space:  global
        .offset:         80
        .size:           8
        .value_kind:     global_buffer
      - .offset:         88
        .size:           4
        .value_kind:     by_value
      - .offset:         92
        .size:           1
        .value_kind:     by_value
    .group_segment_fixed_size: 3136
    .kernarg_segment_align: 8
    .kernarg_segment_size: 96
    .language:       OpenCL C
    .language_version:
      - 2
      - 0
    .max_flat_workgroup_size: 784
    .name:           _ZN9rocsparseL20bsrxmvn_17_32_kernelILj28EfiiaafEEvT2_20rocsparse_direction_NS_24const_host_device_scalarIT0_EES1_PKS1_PKT1_SA_S7_PKT3_PKT4_S5_PT5_21rocsparse_index_base_b
    .private_segment_fixed_size: 0
    .sgpr_count:     20
    .sgpr_spill_count: 0
    .symbol:         _ZN9rocsparseL20bsrxmvn_17_32_kernelILj28EfiiaafEEvT2_20rocsparse_direction_NS_24const_host_device_scalarIT0_EES1_PKS1_PKT1_SA_S7_PKT3_PKT4_S5_PT5_21rocsparse_index_base_b.kd
    .uniform_work_group_size: 1
    .uses_dynamic_stack: false
    .vgpr_count:     10
    .vgpr_spill_count: 0
    .wavefront_size: 32
    .workgroup_processor_mode: 1
  - .args:
      - .offset:         0
        .size:           4
        .value_kind:     by_value
      - .offset:         4
        .size:           4
        .value_kind:     by_value
      - .offset:         8
        .size:           8
        .value_kind:     by_value
      - .offset:         16
        .size:           4
        .value_kind:     by_value
      - .actual_access:  read_only
        .address_space:  global
        .offset:         24
        .size:           8
        .value_kind:     global_buffer
      - .actual_access:  read_only
        .address_space:  global
        .offset:         32
        .size:           8
        .value_kind:     global_buffer
      - .actual_access:  read_only
        .address_space:  global
        .offset:         40
        .size:           8
        .value_kind:     global_buffer
      - .actual_access:  read_only
        .address_space:  global
        .offset:         48
        .size:           8
        .value_kind:     global_buffer
      - .actual_access:  read_only
        .address_space:  global
        .offset:         56
        .size:           8
        .value_kind:     global_buffer
      - .actual_access:  read_only
        .address_space:  global
        .offset:         64
        .size:           8
        .value_kind:     global_buffer
      - .offset:         72
        .size:           8
        .value_kind:     by_value
      - .address_space:  global
        .offset:         80
        .size:           8
        .value_kind:     global_buffer
      - .offset:         88
        .size:           4
        .value_kind:     by_value
      - .offset:         92
        .size:           1
        .value_kind:     by_value
    .group_segment_fixed_size: 3364
    .kernarg_segment_align: 8
    .kernarg_segment_size: 96
    .language:       OpenCL C
    .language_version:
      - 2
      - 0
    .max_flat_workgroup_size: 841
    .name:           _ZN9rocsparseL20bsrxmvn_17_32_kernelILj29EfiiaafEEvT2_20rocsparse_direction_NS_24const_host_device_scalarIT0_EES1_PKS1_PKT1_SA_S7_PKT3_PKT4_S5_PT5_21rocsparse_index_base_b
    .private_segment_fixed_size: 0
    .sgpr_count:     20
    .sgpr_spill_count: 0
    .symbol:         _ZN9rocsparseL20bsrxmvn_17_32_kernelILj29EfiiaafEEvT2_20rocsparse_direction_NS_24const_host_device_scalarIT0_EES1_PKS1_PKT1_SA_S7_PKT3_PKT4_S5_PT5_21rocsparse_index_base_b.kd
    .uniform_work_group_size: 1
    .uses_dynamic_stack: false
    .vgpr_count:     10
    .vgpr_spill_count: 0
    .wavefront_size: 32
    .workgroup_processor_mode: 1
  - .args:
      - .offset:         0
        .size:           4
        .value_kind:     by_value
      - .offset:         4
        .size:           4
        .value_kind:     by_value
      - .offset:         8
        .size:           8
        .value_kind:     by_value
      - .offset:         16
        .size:           4
        .value_kind:     by_value
      - .actual_access:  read_only
        .address_space:  global
        .offset:         24
        .size:           8
        .value_kind:     global_buffer
      - .actual_access:  read_only
        .address_space:  global
        .offset:         32
        .size:           8
        .value_kind:     global_buffer
      - .actual_access:  read_only
        .address_space:  global
        .offset:         40
        .size:           8
        .value_kind:     global_buffer
      - .actual_access:  read_only
        .address_space:  global
        .offset:         48
        .size:           8
        .value_kind:     global_buffer
      - .actual_access:  read_only
        .address_space:  global
        .offset:         56
        .size:           8
        .value_kind:     global_buffer
      - .actual_access:  read_only
        .address_space:  global
        .offset:         64
        .size:           8
        .value_kind:     global_buffer
      - .offset:         72
        .size:           8
        .value_kind:     by_value
      - .address_space:  global
        .offset:         80
        .size:           8
        .value_kind:     global_buffer
      - .offset:         88
        .size:           4
        .value_kind:     by_value
      - .offset:         92
        .size:           1
        .value_kind:     by_value
    .group_segment_fixed_size: 3600
    .kernarg_segment_align: 8
    .kernarg_segment_size: 96
    .language:       OpenCL C
    .language_version:
      - 2
      - 0
    .max_flat_workgroup_size: 900
    .name:           _ZN9rocsparseL20bsrxmvn_17_32_kernelILj30EfiiaafEEvT2_20rocsparse_direction_NS_24const_host_device_scalarIT0_EES1_PKS1_PKT1_SA_S7_PKT3_PKT4_S5_PT5_21rocsparse_index_base_b
    .private_segment_fixed_size: 0
    .sgpr_count:     20
    .sgpr_spill_count: 0
    .symbol:         _ZN9rocsparseL20bsrxmvn_17_32_kernelILj30EfiiaafEEvT2_20rocsparse_direction_NS_24const_host_device_scalarIT0_EES1_PKS1_PKT1_SA_S7_PKT3_PKT4_S5_PT5_21rocsparse_index_base_b.kd
    .uniform_work_group_size: 1
    .uses_dynamic_stack: false
    .vgpr_count:     10
    .vgpr_spill_count: 0
    .wavefront_size: 32
    .workgroup_processor_mode: 1
  - .args:
      - .offset:         0
        .size:           4
        .value_kind:     by_value
      - .offset:         4
        .size:           4
        .value_kind:     by_value
      - .offset:         8
        .size:           8
        .value_kind:     by_value
      - .offset:         16
        .size:           4
        .value_kind:     by_value
      - .actual_access:  read_only
        .address_space:  global
        .offset:         24
        .size:           8
        .value_kind:     global_buffer
      - .actual_access:  read_only
        .address_space:  global
        .offset:         32
        .size:           8
        .value_kind:     global_buffer
      - .actual_access:  read_only
        .address_space:  global
        .offset:         40
        .size:           8
        .value_kind:     global_buffer
      - .actual_access:  read_only
        .address_space:  global
        .offset:         48
        .size:           8
        .value_kind:     global_buffer
      - .actual_access:  read_only
        .address_space:  global
        .offset:         56
        .size:           8
        .value_kind:     global_buffer
      - .actual_access:  read_only
        .address_space:  global
        .offset:         64
        .size:           8
        .value_kind:     global_buffer
      - .offset:         72
        .size:           8
        .value_kind:     by_value
      - .address_space:  global
        .offset:         80
        .size:           8
        .value_kind:     global_buffer
      - .offset:         88
        .size:           4
        .value_kind:     by_value
      - .offset:         92
        .size:           1
        .value_kind:     by_value
    .group_segment_fixed_size: 3844
    .kernarg_segment_align: 8
    .kernarg_segment_size: 96
    .language:       OpenCL C
    .language_version:
      - 2
      - 0
    .max_flat_workgroup_size: 961
    .name:           _ZN9rocsparseL20bsrxmvn_17_32_kernelILj31EfiiaafEEvT2_20rocsparse_direction_NS_24const_host_device_scalarIT0_EES1_PKS1_PKT1_SA_S7_PKT3_PKT4_S5_PT5_21rocsparse_index_base_b
    .private_segment_fixed_size: 0
    .sgpr_count:     20
    .sgpr_spill_count: 0
    .symbol:         _ZN9rocsparseL20bsrxmvn_17_32_kernelILj31EfiiaafEEvT2_20rocsparse_direction_NS_24const_host_device_scalarIT0_EES1_PKS1_PKT1_SA_S7_PKT3_PKT4_S5_PT5_21rocsparse_index_base_b.kd
    .uniform_work_group_size: 1
    .uses_dynamic_stack: false
    .vgpr_count:     10
    .vgpr_spill_count: 0
    .wavefront_size: 32
    .workgroup_processor_mode: 1
  - .args:
      - .offset:         0
        .size:           4
        .value_kind:     by_value
      - .offset:         4
        .size:           4
        .value_kind:     by_value
      - .offset:         8
        .size:           8
        .value_kind:     by_value
      - .offset:         16
        .size:           4
        .value_kind:     by_value
      - .actual_access:  read_only
        .address_space:  global
        .offset:         24
        .size:           8
        .value_kind:     global_buffer
      - .actual_access:  read_only
        .address_space:  global
        .offset:         32
        .size:           8
        .value_kind:     global_buffer
      - .actual_access:  read_only
        .address_space:  global
        .offset:         40
        .size:           8
        .value_kind:     global_buffer
      - .actual_access:  read_only
        .address_space:  global
        .offset:         48
        .size:           8
        .value_kind:     global_buffer
      - .actual_access:  read_only
        .address_space:  global
        .offset:         56
        .size:           8
        .value_kind:     global_buffer
      - .actual_access:  read_only
        .address_space:  global
        .offset:         64
        .size:           8
        .value_kind:     global_buffer
      - .offset:         72
        .size:           8
        .value_kind:     by_value
      - .address_space:  global
        .offset:         80
        .size:           8
        .value_kind:     global_buffer
      - .offset:         88
        .size:           4
        .value_kind:     by_value
      - .offset:         92
        .size:           1
        .value_kind:     by_value
    .group_segment_fixed_size: 4096
    .kernarg_segment_align: 8
    .kernarg_segment_size: 96
    .language:       OpenCL C
    .language_version:
      - 2
      - 0
    .max_flat_workgroup_size: 1024
    .name:           _ZN9rocsparseL20bsrxmvn_17_32_kernelILj32EfiiaafEEvT2_20rocsparse_direction_NS_24const_host_device_scalarIT0_EES1_PKS1_PKT1_SA_S7_PKT3_PKT4_S5_PT5_21rocsparse_index_base_b
    .private_segment_fixed_size: 0
    .sgpr_count:     24
    .sgpr_spill_count: 0
    .symbol:         _ZN9rocsparseL20bsrxmvn_17_32_kernelILj32EfiiaafEEvT2_20rocsparse_direction_NS_24const_host_device_scalarIT0_EES1_PKS1_PKT1_SA_S7_PKT3_PKT4_S5_PT5_21rocsparse_index_base_b.kd
    .uniform_work_group_size: 1
    .uses_dynamic_stack: false
    .vgpr_count:     9
    .vgpr_spill_count: 0
    .wavefront_size: 32
    .workgroup_processor_mode: 1
  - .args:
      - .offset:         0
        .size:           4
        .value_kind:     by_value
      - .offset:         4
        .size:           4
        .value_kind:     by_value
      - .offset:         8
        .size:           8
        .value_kind:     by_value
      - .offset:         16
        .size:           4
        .value_kind:     by_value
      - .actual_access:  read_only
        .address_space:  global
        .offset:         24
        .size:           8
        .value_kind:     global_buffer
      - .actual_access:  read_only
        .address_space:  global
        .offset:         32
        .size:           8
        .value_kind:     global_buffer
      - .actual_access:  read_only
        .address_space:  global
        .offset:         40
        .size:           8
        .value_kind:     global_buffer
      - .actual_access:  read_only
        .address_space:  global
        .offset:         48
        .size:           8
        .value_kind:     global_buffer
      - .actual_access:  read_only
        .address_space:  global
        .offset:         56
        .size:           8
        .value_kind:     global_buffer
      - .actual_access:  read_only
        .address_space:  global
        .offset:         64
        .size:           8
        .value_kind:     global_buffer
      - .offset:         72
        .size:           8
        .value_kind:     by_value
      - .address_space:  global
        .offset:         80
        .size:           8
        .value_kind:     global_buffer
      - .offset:         88
        .size:           4
        .value_kind:     by_value
      - .offset:         92
        .size:           1
        .value_kind:     by_value
    .group_segment_fixed_size: 1156
    .kernarg_segment_align: 8
    .kernarg_segment_size: 96
    .language:       OpenCL C
    .language_version:
      - 2
      - 0
    .max_flat_workgroup_size: 289
    .name:           _ZN9rocsparseL20bsrxmvn_17_32_kernelILj17EfliaafEEvT2_20rocsparse_direction_NS_24const_host_device_scalarIT0_EES1_PKS1_PKT1_SA_S7_PKT3_PKT4_S5_PT5_21rocsparse_index_base_b
    .private_segment_fixed_size: 0
    .sgpr_count:     26
    .sgpr_spill_count: 0
    .symbol:         _ZN9rocsparseL20bsrxmvn_17_32_kernelILj17EfliaafEEvT2_20rocsparse_direction_NS_24const_host_device_scalarIT0_EES1_PKS1_PKT1_SA_S7_PKT3_PKT4_S5_PT5_21rocsparse_index_base_b.kd
    .uniform_work_group_size: 1
    .uses_dynamic_stack: false
    .vgpr_count:     12
    .vgpr_spill_count: 0
    .wavefront_size: 32
    .workgroup_processor_mode: 1
  - .args:
      - .offset:         0
        .size:           4
        .value_kind:     by_value
      - .offset:         4
        .size:           4
        .value_kind:     by_value
      - .offset:         8
        .size:           8
        .value_kind:     by_value
      - .offset:         16
        .size:           4
        .value_kind:     by_value
      - .actual_access:  read_only
        .address_space:  global
        .offset:         24
        .size:           8
        .value_kind:     global_buffer
      - .actual_access:  read_only
        .address_space:  global
        .offset:         32
        .size:           8
        .value_kind:     global_buffer
      - .actual_access:  read_only
        .address_space:  global
        .offset:         40
        .size:           8
        .value_kind:     global_buffer
      - .actual_access:  read_only
        .address_space:  global
        .offset:         48
        .size:           8
        .value_kind:     global_buffer
      - .actual_access:  read_only
        .address_space:  global
        .offset:         56
        .size:           8
        .value_kind:     global_buffer
      - .actual_access:  read_only
        .address_space:  global
        .offset:         64
        .size:           8
        .value_kind:     global_buffer
      - .offset:         72
        .size:           8
        .value_kind:     by_value
      - .address_space:  global
        .offset:         80
        .size:           8
        .value_kind:     global_buffer
      - .offset:         88
        .size:           4
        .value_kind:     by_value
      - .offset:         92
        .size:           1
        .value_kind:     by_value
    .group_segment_fixed_size: 1296
    .kernarg_segment_align: 8
    .kernarg_segment_size: 96
    .language:       OpenCL C
    .language_version:
      - 2
      - 0
    .max_flat_workgroup_size: 324
    .name:           _ZN9rocsparseL20bsrxmvn_17_32_kernelILj18EfliaafEEvT2_20rocsparse_direction_NS_24const_host_device_scalarIT0_EES1_PKS1_PKT1_SA_S7_PKT3_PKT4_S5_PT5_21rocsparse_index_base_b
    .private_segment_fixed_size: 0
    .sgpr_count:     26
    .sgpr_spill_count: 0
    .symbol:         _ZN9rocsparseL20bsrxmvn_17_32_kernelILj18EfliaafEEvT2_20rocsparse_direction_NS_24const_host_device_scalarIT0_EES1_PKS1_PKT1_SA_S7_PKT3_PKT4_S5_PT5_21rocsparse_index_base_b.kd
    .uniform_work_group_size: 1
    .uses_dynamic_stack: false
    .vgpr_count:     12
    .vgpr_spill_count: 0
    .wavefront_size: 32
    .workgroup_processor_mode: 1
  - .args:
      - .offset:         0
        .size:           4
        .value_kind:     by_value
      - .offset:         4
        .size:           4
        .value_kind:     by_value
      - .offset:         8
        .size:           8
        .value_kind:     by_value
      - .offset:         16
        .size:           4
        .value_kind:     by_value
      - .actual_access:  read_only
        .address_space:  global
        .offset:         24
        .size:           8
        .value_kind:     global_buffer
      - .actual_access:  read_only
        .address_space:  global
        .offset:         32
        .size:           8
        .value_kind:     global_buffer
      - .actual_access:  read_only
        .address_space:  global
        .offset:         40
        .size:           8
        .value_kind:     global_buffer
      - .actual_access:  read_only
        .address_space:  global
        .offset:         48
        .size:           8
        .value_kind:     global_buffer
      - .actual_access:  read_only
        .address_space:  global
        .offset:         56
        .size:           8
        .value_kind:     global_buffer
      - .actual_access:  read_only
        .address_space:  global
        .offset:         64
        .size:           8
        .value_kind:     global_buffer
      - .offset:         72
        .size:           8
        .value_kind:     by_value
      - .address_space:  global
        .offset:         80
        .size:           8
        .value_kind:     global_buffer
      - .offset:         88
        .size:           4
        .value_kind:     by_value
      - .offset:         92
        .size:           1
        .value_kind:     by_value
    .group_segment_fixed_size: 1444
    .kernarg_segment_align: 8
    .kernarg_segment_size: 96
    .language:       OpenCL C
    .language_version:
      - 2
      - 0
    .max_flat_workgroup_size: 361
    .name:           _ZN9rocsparseL20bsrxmvn_17_32_kernelILj19EfliaafEEvT2_20rocsparse_direction_NS_24const_host_device_scalarIT0_EES1_PKS1_PKT1_SA_S7_PKT3_PKT4_S5_PT5_21rocsparse_index_base_b
    .private_segment_fixed_size: 0
    .sgpr_count:     26
    .sgpr_spill_count: 0
    .symbol:         _ZN9rocsparseL20bsrxmvn_17_32_kernelILj19EfliaafEEvT2_20rocsparse_direction_NS_24const_host_device_scalarIT0_EES1_PKS1_PKT1_SA_S7_PKT3_PKT4_S5_PT5_21rocsparse_index_base_b.kd
    .uniform_work_group_size: 1
    .uses_dynamic_stack: false
    .vgpr_count:     12
    .vgpr_spill_count: 0
    .wavefront_size: 32
    .workgroup_processor_mode: 1
  - .args:
      - .offset:         0
        .size:           4
        .value_kind:     by_value
      - .offset:         4
        .size:           4
        .value_kind:     by_value
      - .offset:         8
        .size:           8
        .value_kind:     by_value
      - .offset:         16
        .size:           4
        .value_kind:     by_value
      - .actual_access:  read_only
        .address_space:  global
        .offset:         24
        .size:           8
        .value_kind:     global_buffer
      - .actual_access:  read_only
        .address_space:  global
        .offset:         32
        .size:           8
        .value_kind:     global_buffer
      - .actual_access:  read_only
        .address_space:  global
        .offset:         40
        .size:           8
        .value_kind:     global_buffer
      - .actual_access:  read_only
        .address_space:  global
        .offset:         48
        .size:           8
        .value_kind:     global_buffer
      - .actual_access:  read_only
        .address_space:  global
        .offset:         56
        .size:           8
        .value_kind:     global_buffer
      - .actual_access:  read_only
        .address_space:  global
        .offset:         64
        .size:           8
        .value_kind:     global_buffer
      - .offset:         72
        .size:           8
        .value_kind:     by_value
      - .address_space:  global
        .offset:         80
        .size:           8
        .value_kind:     global_buffer
      - .offset:         88
        .size:           4
        .value_kind:     by_value
      - .offset:         92
        .size:           1
        .value_kind:     by_value
    .group_segment_fixed_size: 1600
    .kernarg_segment_align: 8
    .kernarg_segment_size: 96
    .language:       OpenCL C
    .language_version:
      - 2
      - 0
    .max_flat_workgroup_size: 400
    .name:           _ZN9rocsparseL20bsrxmvn_17_32_kernelILj20EfliaafEEvT2_20rocsparse_direction_NS_24const_host_device_scalarIT0_EES1_PKS1_PKT1_SA_S7_PKT3_PKT4_S5_PT5_21rocsparse_index_base_b
    .private_segment_fixed_size: 0
    .sgpr_count:     26
    .sgpr_spill_count: 0
    .symbol:         _ZN9rocsparseL20bsrxmvn_17_32_kernelILj20EfliaafEEvT2_20rocsparse_direction_NS_24const_host_device_scalarIT0_EES1_PKS1_PKT1_SA_S7_PKT3_PKT4_S5_PT5_21rocsparse_index_base_b.kd
    .uniform_work_group_size: 1
    .uses_dynamic_stack: false
    .vgpr_count:     12
    .vgpr_spill_count: 0
    .wavefront_size: 32
    .workgroup_processor_mode: 1
  - .args:
      - .offset:         0
        .size:           4
        .value_kind:     by_value
      - .offset:         4
        .size:           4
        .value_kind:     by_value
      - .offset:         8
        .size:           8
        .value_kind:     by_value
      - .offset:         16
        .size:           4
        .value_kind:     by_value
      - .actual_access:  read_only
        .address_space:  global
        .offset:         24
        .size:           8
        .value_kind:     global_buffer
      - .actual_access:  read_only
        .address_space:  global
        .offset:         32
        .size:           8
        .value_kind:     global_buffer
      - .actual_access:  read_only
        .address_space:  global
        .offset:         40
        .size:           8
        .value_kind:     global_buffer
      - .actual_access:  read_only
        .address_space:  global
        .offset:         48
        .size:           8
        .value_kind:     global_buffer
      - .actual_access:  read_only
        .address_space:  global
        .offset:         56
        .size:           8
        .value_kind:     global_buffer
      - .actual_access:  read_only
        .address_space:  global
        .offset:         64
        .size:           8
        .value_kind:     global_buffer
      - .offset:         72
        .size:           8
        .value_kind:     by_value
      - .address_space:  global
        .offset:         80
        .size:           8
        .value_kind:     global_buffer
      - .offset:         88
        .size:           4
        .value_kind:     by_value
      - .offset:         92
        .size:           1
        .value_kind:     by_value
    .group_segment_fixed_size: 1764
    .kernarg_segment_align: 8
    .kernarg_segment_size: 96
    .language:       OpenCL C
    .language_version:
      - 2
      - 0
    .max_flat_workgroup_size: 441
    .name:           _ZN9rocsparseL20bsrxmvn_17_32_kernelILj21EfliaafEEvT2_20rocsparse_direction_NS_24const_host_device_scalarIT0_EES1_PKS1_PKT1_SA_S7_PKT3_PKT4_S5_PT5_21rocsparse_index_base_b
    .private_segment_fixed_size: 0
    .sgpr_count:     26
    .sgpr_spill_count: 0
    .symbol:         _ZN9rocsparseL20bsrxmvn_17_32_kernelILj21EfliaafEEvT2_20rocsparse_direction_NS_24const_host_device_scalarIT0_EES1_PKS1_PKT1_SA_S7_PKT3_PKT4_S5_PT5_21rocsparse_index_base_b.kd
    .uniform_work_group_size: 1
    .uses_dynamic_stack: false
    .vgpr_count:     12
    .vgpr_spill_count: 0
    .wavefront_size: 32
    .workgroup_processor_mode: 1
  - .args:
      - .offset:         0
        .size:           4
        .value_kind:     by_value
      - .offset:         4
        .size:           4
        .value_kind:     by_value
      - .offset:         8
        .size:           8
        .value_kind:     by_value
      - .offset:         16
        .size:           4
        .value_kind:     by_value
      - .actual_access:  read_only
        .address_space:  global
        .offset:         24
        .size:           8
        .value_kind:     global_buffer
      - .actual_access:  read_only
        .address_space:  global
        .offset:         32
        .size:           8
        .value_kind:     global_buffer
      - .actual_access:  read_only
        .address_space:  global
        .offset:         40
        .size:           8
        .value_kind:     global_buffer
      - .actual_access:  read_only
        .address_space:  global
        .offset:         48
        .size:           8
        .value_kind:     global_buffer
      - .actual_access:  read_only
        .address_space:  global
        .offset:         56
        .size:           8
        .value_kind:     global_buffer
      - .actual_access:  read_only
        .address_space:  global
        .offset:         64
        .size:           8
        .value_kind:     global_buffer
      - .offset:         72
        .size:           8
        .value_kind:     by_value
      - .address_space:  global
        .offset:         80
        .size:           8
        .value_kind:     global_buffer
      - .offset:         88
        .size:           4
        .value_kind:     by_value
      - .offset:         92
        .size:           1
        .value_kind:     by_value
    .group_segment_fixed_size: 1936
    .kernarg_segment_align: 8
    .kernarg_segment_size: 96
    .language:       OpenCL C
    .language_version:
      - 2
      - 0
    .max_flat_workgroup_size: 484
    .name:           _ZN9rocsparseL20bsrxmvn_17_32_kernelILj22EfliaafEEvT2_20rocsparse_direction_NS_24const_host_device_scalarIT0_EES1_PKS1_PKT1_SA_S7_PKT3_PKT4_S5_PT5_21rocsparse_index_base_b
    .private_segment_fixed_size: 0
    .sgpr_count:     26
    .sgpr_spill_count: 0
    .symbol:         _ZN9rocsparseL20bsrxmvn_17_32_kernelILj22EfliaafEEvT2_20rocsparse_direction_NS_24const_host_device_scalarIT0_EES1_PKS1_PKT1_SA_S7_PKT3_PKT4_S5_PT5_21rocsparse_index_base_b.kd
    .uniform_work_group_size: 1
    .uses_dynamic_stack: false
    .vgpr_count:     12
    .vgpr_spill_count: 0
    .wavefront_size: 32
    .workgroup_processor_mode: 1
  - .args:
      - .offset:         0
        .size:           4
        .value_kind:     by_value
      - .offset:         4
        .size:           4
        .value_kind:     by_value
      - .offset:         8
        .size:           8
        .value_kind:     by_value
      - .offset:         16
        .size:           4
        .value_kind:     by_value
      - .actual_access:  read_only
        .address_space:  global
        .offset:         24
        .size:           8
        .value_kind:     global_buffer
      - .actual_access:  read_only
        .address_space:  global
        .offset:         32
        .size:           8
        .value_kind:     global_buffer
      - .actual_access:  read_only
        .address_space:  global
        .offset:         40
        .size:           8
        .value_kind:     global_buffer
      - .actual_access:  read_only
        .address_space:  global
        .offset:         48
        .size:           8
        .value_kind:     global_buffer
      - .actual_access:  read_only
        .address_space:  global
        .offset:         56
        .size:           8
        .value_kind:     global_buffer
      - .actual_access:  read_only
        .address_space:  global
        .offset:         64
        .size:           8
        .value_kind:     global_buffer
      - .offset:         72
        .size:           8
        .value_kind:     by_value
      - .address_space:  global
        .offset:         80
        .size:           8
        .value_kind:     global_buffer
      - .offset:         88
        .size:           4
        .value_kind:     by_value
      - .offset:         92
        .size:           1
        .value_kind:     by_value
    .group_segment_fixed_size: 2116
    .kernarg_segment_align: 8
    .kernarg_segment_size: 96
    .language:       OpenCL C
    .language_version:
      - 2
      - 0
    .max_flat_workgroup_size: 529
    .name:           _ZN9rocsparseL20bsrxmvn_17_32_kernelILj23EfliaafEEvT2_20rocsparse_direction_NS_24const_host_device_scalarIT0_EES1_PKS1_PKT1_SA_S7_PKT3_PKT4_S5_PT5_21rocsparse_index_base_b
    .private_segment_fixed_size: 0
    .sgpr_count:     26
    .sgpr_spill_count: 0
    .symbol:         _ZN9rocsparseL20bsrxmvn_17_32_kernelILj23EfliaafEEvT2_20rocsparse_direction_NS_24const_host_device_scalarIT0_EES1_PKS1_PKT1_SA_S7_PKT3_PKT4_S5_PT5_21rocsparse_index_base_b.kd
    .uniform_work_group_size: 1
    .uses_dynamic_stack: false
    .vgpr_count:     12
    .vgpr_spill_count: 0
    .wavefront_size: 32
    .workgroup_processor_mode: 1
  - .args:
      - .offset:         0
        .size:           4
        .value_kind:     by_value
      - .offset:         4
        .size:           4
        .value_kind:     by_value
      - .offset:         8
        .size:           8
        .value_kind:     by_value
      - .offset:         16
        .size:           4
        .value_kind:     by_value
      - .actual_access:  read_only
        .address_space:  global
        .offset:         24
        .size:           8
        .value_kind:     global_buffer
      - .actual_access:  read_only
        .address_space:  global
        .offset:         32
        .size:           8
        .value_kind:     global_buffer
      - .actual_access:  read_only
        .address_space:  global
        .offset:         40
        .size:           8
        .value_kind:     global_buffer
      - .actual_access:  read_only
        .address_space:  global
        .offset:         48
        .size:           8
        .value_kind:     global_buffer
      - .actual_access:  read_only
        .address_space:  global
        .offset:         56
        .size:           8
        .value_kind:     global_buffer
      - .actual_access:  read_only
        .address_space:  global
        .offset:         64
        .size:           8
        .value_kind:     global_buffer
      - .offset:         72
        .size:           8
        .value_kind:     by_value
      - .address_space:  global
        .offset:         80
        .size:           8
        .value_kind:     global_buffer
      - .offset:         88
        .size:           4
        .value_kind:     by_value
      - .offset:         92
        .size:           1
        .value_kind:     by_value
    .group_segment_fixed_size: 2304
    .kernarg_segment_align: 8
    .kernarg_segment_size: 96
    .language:       OpenCL C
    .language_version:
      - 2
      - 0
    .max_flat_workgroup_size: 576
    .name:           _ZN9rocsparseL20bsrxmvn_17_32_kernelILj24EfliaafEEvT2_20rocsparse_direction_NS_24const_host_device_scalarIT0_EES1_PKS1_PKT1_SA_S7_PKT3_PKT4_S5_PT5_21rocsparse_index_base_b
    .private_segment_fixed_size: 0
    .sgpr_count:     26
    .sgpr_spill_count: 0
    .symbol:         _ZN9rocsparseL20bsrxmvn_17_32_kernelILj24EfliaafEEvT2_20rocsparse_direction_NS_24const_host_device_scalarIT0_EES1_PKS1_PKT1_SA_S7_PKT3_PKT4_S5_PT5_21rocsparse_index_base_b.kd
    .uniform_work_group_size: 1
    .uses_dynamic_stack: false
    .vgpr_count:     12
    .vgpr_spill_count: 0
    .wavefront_size: 32
    .workgroup_processor_mode: 1
  - .args:
      - .offset:         0
        .size:           4
        .value_kind:     by_value
      - .offset:         4
        .size:           4
        .value_kind:     by_value
      - .offset:         8
        .size:           8
        .value_kind:     by_value
      - .offset:         16
        .size:           4
        .value_kind:     by_value
      - .actual_access:  read_only
        .address_space:  global
        .offset:         24
        .size:           8
        .value_kind:     global_buffer
      - .actual_access:  read_only
        .address_space:  global
        .offset:         32
        .size:           8
        .value_kind:     global_buffer
      - .actual_access:  read_only
        .address_space:  global
        .offset:         40
        .size:           8
        .value_kind:     global_buffer
      - .actual_access:  read_only
        .address_space:  global
        .offset:         48
        .size:           8
        .value_kind:     global_buffer
      - .actual_access:  read_only
        .address_space:  global
        .offset:         56
        .size:           8
        .value_kind:     global_buffer
      - .actual_access:  read_only
        .address_space:  global
        .offset:         64
        .size:           8
        .value_kind:     global_buffer
      - .offset:         72
        .size:           8
        .value_kind:     by_value
      - .address_space:  global
        .offset:         80
        .size:           8
        .value_kind:     global_buffer
      - .offset:         88
        .size:           4
        .value_kind:     by_value
      - .offset:         92
        .size:           1
        .value_kind:     by_value
    .group_segment_fixed_size: 2500
    .kernarg_segment_align: 8
    .kernarg_segment_size: 96
    .language:       OpenCL C
    .language_version:
      - 2
      - 0
    .max_flat_workgroup_size: 625
    .name:           _ZN9rocsparseL20bsrxmvn_17_32_kernelILj25EfliaafEEvT2_20rocsparse_direction_NS_24const_host_device_scalarIT0_EES1_PKS1_PKT1_SA_S7_PKT3_PKT4_S5_PT5_21rocsparse_index_base_b
    .private_segment_fixed_size: 0
    .sgpr_count:     26
    .sgpr_spill_count: 0
    .symbol:         _ZN9rocsparseL20bsrxmvn_17_32_kernelILj25EfliaafEEvT2_20rocsparse_direction_NS_24const_host_device_scalarIT0_EES1_PKS1_PKT1_SA_S7_PKT3_PKT4_S5_PT5_21rocsparse_index_base_b.kd
    .uniform_work_group_size: 1
    .uses_dynamic_stack: false
    .vgpr_count:     12
    .vgpr_spill_count: 0
    .wavefront_size: 32
    .workgroup_processor_mode: 1
  - .args:
      - .offset:         0
        .size:           4
        .value_kind:     by_value
      - .offset:         4
        .size:           4
        .value_kind:     by_value
      - .offset:         8
        .size:           8
        .value_kind:     by_value
      - .offset:         16
        .size:           4
        .value_kind:     by_value
      - .actual_access:  read_only
        .address_space:  global
        .offset:         24
        .size:           8
        .value_kind:     global_buffer
      - .actual_access:  read_only
        .address_space:  global
        .offset:         32
        .size:           8
        .value_kind:     global_buffer
      - .actual_access:  read_only
        .address_space:  global
        .offset:         40
        .size:           8
        .value_kind:     global_buffer
      - .actual_access:  read_only
        .address_space:  global
        .offset:         48
        .size:           8
        .value_kind:     global_buffer
      - .actual_access:  read_only
        .address_space:  global
        .offset:         56
        .size:           8
        .value_kind:     global_buffer
      - .actual_access:  read_only
        .address_space:  global
        .offset:         64
        .size:           8
        .value_kind:     global_buffer
      - .offset:         72
        .size:           8
        .value_kind:     by_value
      - .address_space:  global
        .offset:         80
        .size:           8
        .value_kind:     global_buffer
      - .offset:         88
        .size:           4
        .value_kind:     by_value
      - .offset:         92
        .size:           1
        .value_kind:     by_value
    .group_segment_fixed_size: 2704
    .kernarg_segment_align: 8
    .kernarg_segment_size: 96
    .language:       OpenCL C
    .language_version:
      - 2
      - 0
    .max_flat_workgroup_size: 676
    .name:           _ZN9rocsparseL20bsrxmvn_17_32_kernelILj26EfliaafEEvT2_20rocsparse_direction_NS_24const_host_device_scalarIT0_EES1_PKS1_PKT1_SA_S7_PKT3_PKT4_S5_PT5_21rocsparse_index_base_b
    .private_segment_fixed_size: 0
    .sgpr_count:     26
    .sgpr_spill_count: 0
    .symbol:         _ZN9rocsparseL20bsrxmvn_17_32_kernelILj26EfliaafEEvT2_20rocsparse_direction_NS_24const_host_device_scalarIT0_EES1_PKS1_PKT1_SA_S7_PKT3_PKT4_S5_PT5_21rocsparse_index_base_b.kd
    .uniform_work_group_size: 1
    .uses_dynamic_stack: false
    .vgpr_count:     12
    .vgpr_spill_count: 0
    .wavefront_size: 32
    .workgroup_processor_mode: 1
  - .args:
      - .offset:         0
        .size:           4
        .value_kind:     by_value
      - .offset:         4
        .size:           4
        .value_kind:     by_value
      - .offset:         8
        .size:           8
        .value_kind:     by_value
      - .offset:         16
        .size:           4
        .value_kind:     by_value
      - .actual_access:  read_only
        .address_space:  global
        .offset:         24
        .size:           8
        .value_kind:     global_buffer
      - .actual_access:  read_only
        .address_space:  global
        .offset:         32
        .size:           8
        .value_kind:     global_buffer
      - .actual_access:  read_only
        .address_space:  global
        .offset:         40
        .size:           8
        .value_kind:     global_buffer
      - .actual_access:  read_only
        .address_space:  global
        .offset:         48
        .size:           8
        .value_kind:     global_buffer
      - .actual_access:  read_only
        .address_space:  global
        .offset:         56
        .size:           8
        .value_kind:     global_buffer
      - .actual_access:  read_only
        .address_space:  global
        .offset:         64
        .size:           8
        .value_kind:     global_buffer
      - .offset:         72
        .size:           8
        .value_kind:     by_value
      - .address_space:  global
        .offset:         80
        .size:           8
        .value_kind:     global_buffer
      - .offset:         88
        .size:           4
        .value_kind:     by_value
      - .offset:         92
        .size:           1
        .value_kind:     by_value
    .group_segment_fixed_size: 2916
    .kernarg_segment_align: 8
    .kernarg_segment_size: 96
    .language:       OpenCL C
    .language_version:
      - 2
      - 0
    .max_flat_workgroup_size: 729
    .name:           _ZN9rocsparseL20bsrxmvn_17_32_kernelILj27EfliaafEEvT2_20rocsparse_direction_NS_24const_host_device_scalarIT0_EES1_PKS1_PKT1_SA_S7_PKT3_PKT4_S5_PT5_21rocsparse_index_base_b
    .private_segment_fixed_size: 0
    .sgpr_count:     26
    .sgpr_spill_count: 0
    .symbol:         _ZN9rocsparseL20bsrxmvn_17_32_kernelILj27EfliaafEEvT2_20rocsparse_direction_NS_24const_host_device_scalarIT0_EES1_PKS1_PKT1_SA_S7_PKT3_PKT4_S5_PT5_21rocsparse_index_base_b.kd
    .uniform_work_group_size: 1
    .uses_dynamic_stack: false
    .vgpr_count:     12
    .vgpr_spill_count: 0
    .wavefront_size: 32
    .workgroup_processor_mode: 1
  - .args:
      - .offset:         0
        .size:           4
        .value_kind:     by_value
      - .offset:         4
        .size:           4
        .value_kind:     by_value
      - .offset:         8
        .size:           8
        .value_kind:     by_value
      - .offset:         16
        .size:           4
        .value_kind:     by_value
      - .actual_access:  read_only
        .address_space:  global
        .offset:         24
        .size:           8
        .value_kind:     global_buffer
      - .actual_access:  read_only
        .address_space:  global
        .offset:         32
        .size:           8
        .value_kind:     global_buffer
      - .actual_access:  read_only
        .address_space:  global
        .offset:         40
        .size:           8
        .value_kind:     global_buffer
      - .actual_access:  read_only
        .address_space:  global
        .offset:         48
        .size:           8
        .value_kind:     global_buffer
      - .actual_access:  read_only
        .address_space:  global
        .offset:         56
        .size:           8
        .value_kind:     global_buffer
      - .actual_access:  read_only
        .address_space:  global
        .offset:         64
        .size:           8
        .value_kind:     global_buffer
      - .offset:         72
        .size:           8
        .value_kind:     by_value
      - .address_space:  global
        .offset:         80
        .size:           8
        .value_kind:     global_buffer
      - .offset:         88
        .size:           4
        .value_kind:     by_value
      - .offset:         92
        .size:           1
        .value_kind:     by_value
    .group_segment_fixed_size: 3136
    .kernarg_segment_align: 8
    .kernarg_segment_size: 96
    .language:       OpenCL C
    .language_version:
      - 2
      - 0
    .max_flat_workgroup_size: 784
    .name:           _ZN9rocsparseL20bsrxmvn_17_32_kernelILj28EfliaafEEvT2_20rocsparse_direction_NS_24const_host_device_scalarIT0_EES1_PKS1_PKT1_SA_S7_PKT3_PKT4_S5_PT5_21rocsparse_index_base_b
    .private_segment_fixed_size: 0
    .sgpr_count:     26
    .sgpr_spill_count: 0
    .symbol:         _ZN9rocsparseL20bsrxmvn_17_32_kernelILj28EfliaafEEvT2_20rocsparse_direction_NS_24const_host_device_scalarIT0_EES1_PKS1_PKT1_SA_S7_PKT3_PKT4_S5_PT5_21rocsparse_index_base_b.kd
    .uniform_work_group_size: 1
    .uses_dynamic_stack: false
    .vgpr_count:     12
    .vgpr_spill_count: 0
    .wavefront_size: 32
    .workgroup_processor_mode: 1
  - .args:
      - .offset:         0
        .size:           4
        .value_kind:     by_value
      - .offset:         4
        .size:           4
        .value_kind:     by_value
      - .offset:         8
        .size:           8
        .value_kind:     by_value
      - .offset:         16
        .size:           4
        .value_kind:     by_value
      - .actual_access:  read_only
        .address_space:  global
        .offset:         24
        .size:           8
        .value_kind:     global_buffer
      - .actual_access:  read_only
        .address_space:  global
        .offset:         32
        .size:           8
        .value_kind:     global_buffer
      - .actual_access:  read_only
        .address_space:  global
        .offset:         40
        .size:           8
        .value_kind:     global_buffer
      - .actual_access:  read_only
        .address_space:  global
        .offset:         48
        .size:           8
        .value_kind:     global_buffer
      - .actual_access:  read_only
        .address_space:  global
        .offset:         56
        .size:           8
        .value_kind:     global_buffer
      - .actual_access:  read_only
        .address_space:  global
        .offset:         64
        .size:           8
        .value_kind:     global_buffer
      - .offset:         72
        .size:           8
        .value_kind:     by_value
      - .address_space:  global
        .offset:         80
        .size:           8
        .value_kind:     global_buffer
      - .offset:         88
        .size:           4
        .value_kind:     by_value
      - .offset:         92
        .size:           1
        .value_kind:     by_value
    .group_segment_fixed_size: 3364
    .kernarg_segment_align: 8
    .kernarg_segment_size: 96
    .language:       OpenCL C
    .language_version:
      - 2
      - 0
    .max_flat_workgroup_size: 841
    .name:           _ZN9rocsparseL20bsrxmvn_17_32_kernelILj29EfliaafEEvT2_20rocsparse_direction_NS_24const_host_device_scalarIT0_EES1_PKS1_PKT1_SA_S7_PKT3_PKT4_S5_PT5_21rocsparse_index_base_b
    .private_segment_fixed_size: 0
    .sgpr_count:     26
    .sgpr_spill_count: 0
    .symbol:         _ZN9rocsparseL20bsrxmvn_17_32_kernelILj29EfliaafEEvT2_20rocsparse_direction_NS_24const_host_device_scalarIT0_EES1_PKS1_PKT1_SA_S7_PKT3_PKT4_S5_PT5_21rocsparse_index_base_b.kd
    .uniform_work_group_size: 1
    .uses_dynamic_stack: false
    .vgpr_count:     12
    .vgpr_spill_count: 0
    .wavefront_size: 32
    .workgroup_processor_mode: 1
  - .args:
      - .offset:         0
        .size:           4
        .value_kind:     by_value
      - .offset:         4
        .size:           4
        .value_kind:     by_value
      - .offset:         8
        .size:           8
        .value_kind:     by_value
      - .offset:         16
        .size:           4
        .value_kind:     by_value
      - .actual_access:  read_only
        .address_space:  global
        .offset:         24
        .size:           8
        .value_kind:     global_buffer
      - .actual_access:  read_only
        .address_space:  global
        .offset:         32
        .size:           8
        .value_kind:     global_buffer
      - .actual_access:  read_only
        .address_space:  global
        .offset:         40
        .size:           8
        .value_kind:     global_buffer
      - .actual_access:  read_only
        .address_space:  global
        .offset:         48
        .size:           8
        .value_kind:     global_buffer
      - .actual_access:  read_only
        .address_space:  global
        .offset:         56
        .size:           8
        .value_kind:     global_buffer
      - .actual_access:  read_only
        .address_space:  global
        .offset:         64
        .size:           8
        .value_kind:     global_buffer
      - .offset:         72
        .size:           8
        .value_kind:     by_value
      - .address_space:  global
        .offset:         80
        .size:           8
        .value_kind:     global_buffer
      - .offset:         88
        .size:           4
        .value_kind:     by_value
      - .offset:         92
        .size:           1
        .value_kind:     by_value
    .group_segment_fixed_size: 3600
    .kernarg_segment_align: 8
    .kernarg_segment_size: 96
    .language:       OpenCL C
    .language_version:
      - 2
      - 0
    .max_flat_workgroup_size: 900
    .name:           _ZN9rocsparseL20bsrxmvn_17_32_kernelILj30EfliaafEEvT2_20rocsparse_direction_NS_24const_host_device_scalarIT0_EES1_PKS1_PKT1_SA_S7_PKT3_PKT4_S5_PT5_21rocsparse_index_base_b
    .private_segment_fixed_size: 0
    .sgpr_count:     26
    .sgpr_spill_count: 0
    .symbol:         _ZN9rocsparseL20bsrxmvn_17_32_kernelILj30EfliaafEEvT2_20rocsparse_direction_NS_24const_host_device_scalarIT0_EES1_PKS1_PKT1_SA_S7_PKT3_PKT4_S5_PT5_21rocsparse_index_base_b.kd
    .uniform_work_group_size: 1
    .uses_dynamic_stack: false
    .vgpr_count:     12
    .vgpr_spill_count: 0
    .wavefront_size: 32
    .workgroup_processor_mode: 1
  - .args:
      - .offset:         0
        .size:           4
        .value_kind:     by_value
      - .offset:         4
        .size:           4
        .value_kind:     by_value
      - .offset:         8
        .size:           8
        .value_kind:     by_value
      - .offset:         16
        .size:           4
        .value_kind:     by_value
      - .actual_access:  read_only
        .address_space:  global
        .offset:         24
        .size:           8
        .value_kind:     global_buffer
      - .actual_access:  read_only
        .address_space:  global
        .offset:         32
        .size:           8
        .value_kind:     global_buffer
      - .actual_access:  read_only
        .address_space:  global
        .offset:         40
        .size:           8
        .value_kind:     global_buffer
      - .actual_access:  read_only
        .address_space:  global
        .offset:         48
        .size:           8
        .value_kind:     global_buffer
      - .actual_access:  read_only
        .address_space:  global
        .offset:         56
        .size:           8
        .value_kind:     global_buffer
      - .actual_access:  read_only
        .address_space:  global
        .offset:         64
        .size:           8
        .value_kind:     global_buffer
      - .offset:         72
        .size:           8
        .value_kind:     by_value
      - .address_space:  global
        .offset:         80
        .size:           8
        .value_kind:     global_buffer
      - .offset:         88
        .size:           4
        .value_kind:     by_value
      - .offset:         92
        .size:           1
        .value_kind:     by_value
    .group_segment_fixed_size: 3844
    .kernarg_segment_align: 8
    .kernarg_segment_size: 96
    .language:       OpenCL C
    .language_version:
      - 2
      - 0
    .max_flat_workgroup_size: 961
    .name:           _ZN9rocsparseL20bsrxmvn_17_32_kernelILj31EfliaafEEvT2_20rocsparse_direction_NS_24const_host_device_scalarIT0_EES1_PKS1_PKT1_SA_S7_PKT3_PKT4_S5_PT5_21rocsparse_index_base_b
    .private_segment_fixed_size: 0
    .sgpr_count:     26
    .sgpr_spill_count: 0
    .symbol:         _ZN9rocsparseL20bsrxmvn_17_32_kernelILj31EfliaafEEvT2_20rocsparse_direction_NS_24const_host_device_scalarIT0_EES1_PKS1_PKT1_SA_S7_PKT3_PKT4_S5_PT5_21rocsparse_index_base_b.kd
    .uniform_work_group_size: 1
    .uses_dynamic_stack: false
    .vgpr_count:     12
    .vgpr_spill_count: 0
    .wavefront_size: 32
    .workgroup_processor_mode: 1
  - .args:
      - .offset:         0
        .size:           4
        .value_kind:     by_value
      - .offset:         4
        .size:           4
        .value_kind:     by_value
      - .offset:         8
        .size:           8
        .value_kind:     by_value
      - .offset:         16
        .size:           4
        .value_kind:     by_value
      - .actual_access:  read_only
        .address_space:  global
        .offset:         24
        .size:           8
        .value_kind:     global_buffer
      - .actual_access:  read_only
        .address_space:  global
        .offset:         32
        .size:           8
        .value_kind:     global_buffer
      - .actual_access:  read_only
        .address_space:  global
        .offset:         40
        .size:           8
        .value_kind:     global_buffer
      - .actual_access:  read_only
        .address_space:  global
        .offset:         48
        .size:           8
        .value_kind:     global_buffer
      - .actual_access:  read_only
        .address_space:  global
        .offset:         56
        .size:           8
        .value_kind:     global_buffer
      - .actual_access:  read_only
        .address_space:  global
        .offset:         64
        .size:           8
        .value_kind:     global_buffer
      - .offset:         72
        .size:           8
        .value_kind:     by_value
      - .address_space:  global
        .offset:         80
        .size:           8
        .value_kind:     global_buffer
      - .offset:         88
        .size:           4
        .value_kind:     by_value
      - .offset:         92
        .size:           1
        .value_kind:     by_value
    .group_segment_fixed_size: 4096
    .kernarg_segment_align: 8
    .kernarg_segment_size: 96
    .language:       OpenCL C
    .language_version:
      - 2
      - 0
    .max_flat_workgroup_size: 1024
    .name:           _ZN9rocsparseL20bsrxmvn_17_32_kernelILj32EfliaafEEvT2_20rocsparse_direction_NS_24const_host_device_scalarIT0_EES1_PKS1_PKT1_SA_S7_PKT3_PKT4_S5_PT5_21rocsparse_index_base_b
    .private_segment_fixed_size: 0
    .sgpr_count:     30
    .sgpr_spill_count: 0
    .symbol:         _ZN9rocsparseL20bsrxmvn_17_32_kernelILj32EfliaafEEvT2_20rocsparse_direction_NS_24const_host_device_scalarIT0_EES1_PKS1_PKT1_SA_S7_PKT3_PKT4_S5_PT5_21rocsparse_index_base_b.kd
    .uniform_work_group_size: 1
    .uses_dynamic_stack: false
    .vgpr_count:     9
    .vgpr_spill_count: 0
    .wavefront_size: 32
    .workgroup_processor_mode: 1
  - .args:
      - .offset:         0
        .size:           8
        .value_kind:     by_value
      - .offset:         8
        .size:           4
        .value_kind:     by_value
      - .offset:         16
        .size:           8
        .value_kind:     by_value
      - .offset:         24
        .size:           8
        .value_kind:     by_value
      - .actual_access:  read_only
        .address_space:  global
        .offset:         32
        .size:           8
        .value_kind:     global_buffer
      - .actual_access:  read_only
        .address_space:  global
        .offset:         40
        .size:           8
        .value_kind:     global_buffer
      - .actual_access:  read_only
        .address_space:  global
        .offset:         48
        .size:           8
        .value_kind:     global_buffer
      - .actual_access:  read_only
        .address_space:  global
        .offset:         56
        .size:           8
        .value_kind:     global_buffer
      - .actual_access:  read_only
        .address_space:  global
        .offset:         64
        .size:           8
        .value_kind:     global_buffer
      - .actual_access:  read_only
        .address_space:  global
        .offset:         72
        .size:           8
        .value_kind:     global_buffer
      - .offset:         80
        .size:           8
        .value_kind:     by_value
      - .address_space:  global
        .offset:         88
        .size:           8
        .value_kind:     global_buffer
      - .offset:         96
        .size:           4
        .value_kind:     by_value
      - .offset:         100
        .size:           1
        .value_kind:     by_value
    .group_segment_fixed_size: 1156
    .kernarg_segment_align: 8
    .kernarg_segment_size: 104
    .language:       OpenCL C
    .language_version:
      - 2
      - 0
    .max_flat_workgroup_size: 289
    .name:           _ZN9rocsparseL20bsrxmvn_17_32_kernelILj17EfllaafEEvT2_20rocsparse_direction_NS_24const_host_device_scalarIT0_EES1_PKS1_PKT1_SA_S7_PKT3_PKT4_S5_PT5_21rocsparse_index_base_b
    .private_segment_fixed_size: 0
    .sgpr_count:     26
    .sgpr_spill_count: 0
    .symbol:         _ZN9rocsparseL20bsrxmvn_17_32_kernelILj17EfllaafEEvT2_20rocsparse_direction_NS_24const_host_device_scalarIT0_EES1_PKS1_PKT1_SA_S7_PKT3_PKT4_S5_PT5_21rocsparse_index_base_b.kd
    .uniform_work_group_size: 1
    .uses_dynamic_stack: false
    .vgpr_count:     15
    .vgpr_spill_count: 0
    .wavefront_size: 32
    .workgroup_processor_mode: 1
  - .args:
      - .offset:         0
        .size:           8
        .value_kind:     by_value
      - .offset:         8
        .size:           4
        .value_kind:     by_value
      - .offset:         16
        .size:           8
        .value_kind:     by_value
      - .offset:         24
        .size:           8
        .value_kind:     by_value
      - .actual_access:  read_only
        .address_space:  global
        .offset:         32
        .size:           8
        .value_kind:     global_buffer
      - .actual_access:  read_only
        .address_space:  global
        .offset:         40
        .size:           8
        .value_kind:     global_buffer
      - .actual_access:  read_only
        .address_space:  global
        .offset:         48
        .size:           8
        .value_kind:     global_buffer
      - .actual_access:  read_only
        .address_space:  global
        .offset:         56
        .size:           8
        .value_kind:     global_buffer
      - .actual_access:  read_only
        .address_space:  global
        .offset:         64
        .size:           8
        .value_kind:     global_buffer
      - .actual_access:  read_only
        .address_space:  global
        .offset:         72
        .size:           8
        .value_kind:     global_buffer
      - .offset:         80
        .size:           8
        .value_kind:     by_value
      - .address_space:  global
        .offset:         88
        .size:           8
        .value_kind:     global_buffer
      - .offset:         96
        .size:           4
        .value_kind:     by_value
      - .offset:         100
        .size:           1
        .value_kind:     by_value
    .group_segment_fixed_size: 1296
    .kernarg_segment_align: 8
    .kernarg_segment_size: 104
    .language:       OpenCL C
    .language_version:
      - 2
      - 0
    .max_flat_workgroup_size: 324
    .name:           _ZN9rocsparseL20bsrxmvn_17_32_kernelILj18EfllaafEEvT2_20rocsparse_direction_NS_24const_host_device_scalarIT0_EES1_PKS1_PKT1_SA_S7_PKT3_PKT4_S5_PT5_21rocsparse_index_base_b
    .private_segment_fixed_size: 0
    .sgpr_count:     26
    .sgpr_spill_count: 0
    .symbol:         _ZN9rocsparseL20bsrxmvn_17_32_kernelILj18EfllaafEEvT2_20rocsparse_direction_NS_24const_host_device_scalarIT0_EES1_PKS1_PKT1_SA_S7_PKT3_PKT4_S5_PT5_21rocsparse_index_base_b.kd
    .uniform_work_group_size: 1
    .uses_dynamic_stack: false
    .vgpr_count:     15
    .vgpr_spill_count: 0
    .wavefront_size: 32
    .workgroup_processor_mode: 1
  - .args:
      - .offset:         0
        .size:           8
        .value_kind:     by_value
      - .offset:         8
        .size:           4
        .value_kind:     by_value
      - .offset:         16
        .size:           8
        .value_kind:     by_value
      - .offset:         24
        .size:           8
        .value_kind:     by_value
      - .actual_access:  read_only
        .address_space:  global
        .offset:         32
        .size:           8
        .value_kind:     global_buffer
      - .actual_access:  read_only
        .address_space:  global
        .offset:         40
        .size:           8
        .value_kind:     global_buffer
      - .actual_access:  read_only
        .address_space:  global
        .offset:         48
        .size:           8
        .value_kind:     global_buffer
      - .actual_access:  read_only
        .address_space:  global
        .offset:         56
        .size:           8
        .value_kind:     global_buffer
      - .actual_access:  read_only
        .address_space:  global
        .offset:         64
        .size:           8
        .value_kind:     global_buffer
      - .actual_access:  read_only
        .address_space:  global
        .offset:         72
        .size:           8
        .value_kind:     global_buffer
      - .offset:         80
        .size:           8
        .value_kind:     by_value
      - .address_space:  global
        .offset:         88
        .size:           8
        .value_kind:     global_buffer
      - .offset:         96
        .size:           4
        .value_kind:     by_value
      - .offset:         100
        .size:           1
        .value_kind:     by_value
    .group_segment_fixed_size: 1444
    .kernarg_segment_align: 8
    .kernarg_segment_size: 104
    .language:       OpenCL C
    .language_version:
      - 2
      - 0
    .max_flat_workgroup_size: 361
    .name:           _ZN9rocsparseL20bsrxmvn_17_32_kernelILj19EfllaafEEvT2_20rocsparse_direction_NS_24const_host_device_scalarIT0_EES1_PKS1_PKT1_SA_S7_PKT3_PKT4_S5_PT5_21rocsparse_index_base_b
    .private_segment_fixed_size: 0
    .sgpr_count:     26
    .sgpr_spill_count: 0
    .symbol:         _ZN9rocsparseL20bsrxmvn_17_32_kernelILj19EfllaafEEvT2_20rocsparse_direction_NS_24const_host_device_scalarIT0_EES1_PKS1_PKT1_SA_S7_PKT3_PKT4_S5_PT5_21rocsparse_index_base_b.kd
    .uniform_work_group_size: 1
    .uses_dynamic_stack: false
    .vgpr_count:     15
    .vgpr_spill_count: 0
    .wavefront_size: 32
    .workgroup_processor_mode: 1
  - .args:
      - .offset:         0
        .size:           8
        .value_kind:     by_value
      - .offset:         8
        .size:           4
        .value_kind:     by_value
      - .offset:         16
        .size:           8
        .value_kind:     by_value
      - .offset:         24
        .size:           8
        .value_kind:     by_value
      - .actual_access:  read_only
        .address_space:  global
        .offset:         32
        .size:           8
        .value_kind:     global_buffer
      - .actual_access:  read_only
        .address_space:  global
        .offset:         40
        .size:           8
        .value_kind:     global_buffer
      - .actual_access:  read_only
        .address_space:  global
        .offset:         48
        .size:           8
        .value_kind:     global_buffer
      - .actual_access:  read_only
        .address_space:  global
        .offset:         56
        .size:           8
        .value_kind:     global_buffer
      - .actual_access:  read_only
        .address_space:  global
        .offset:         64
        .size:           8
        .value_kind:     global_buffer
      - .actual_access:  read_only
        .address_space:  global
        .offset:         72
        .size:           8
        .value_kind:     global_buffer
      - .offset:         80
        .size:           8
        .value_kind:     by_value
      - .address_space:  global
        .offset:         88
        .size:           8
        .value_kind:     global_buffer
      - .offset:         96
        .size:           4
        .value_kind:     by_value
      - .offset:         100
        .size:           1
        .value_kind:     by_value
    .group_segment_fixed_size: 1600
    .kernarg_segment_align: 8
    .kernarg_segment_size: 104
    .language:       OpenCL C
    .language_version:
      - 2
      - 0
    .max_flat_workgroup_size: 400
    .name:           _ZN9rocsparseL20bsrxmvn_17_32_kernelILj20EfllaafEEvT2_20rocsparse_direction_NS_24const_host_device_scalarIT0_EES1_PKS1_PKT1_SA_S7_PKT3_PKT4_S5_PT5_21rocsparse_index_base_b
    .private_segment_fixed_size: 0
    .sgpr_count:     26
    .sgpr_spill_count: 0
    .symbol:         _ZN9rocsparseL20bsrxmvn_17_32_kernelILj20EfllaafEEvT2_20rocsparse_direction_NS_24const_host_device_scalarIT0_EES1_PKS1_PKT1_SA_S7_PKT3_PKT4_S5_PT5_21rocsparse_index_base_b.kd
    .uniform_work_group_size: 1
    .uses_dynamic_stack: false
    .vgpr_count:     15
    .vgpr_spill_count: 0
    .wavefront_size: 32
    .workgroup_processor_mode: 1
  - .args:
      - .offset:         0
        .size:           8
        .value_kind:     by_value
      - .offset:         8
        .size:           4
        .value_kind:     by_value
      - .offset:         16
        .size:           8
        .value_kind:     by_value
      - .offset:         24
        .size:           8
        .value_kind:     by_value
      - .actual_access:  read_only
        .address_space:  global
        .offset:         32
        .size:           8
        .value_kind:     global_buffer
      - .actual_access:  read_only
        .address_space:  global
        .offset:         40
        .size:           8
        .value_kind:     global_buffer
      - .actual_access:  read_only
        .address_space:  global
        .offset:         48
        .size:           8
        .value_kind:     global_buffer
      - .actual_access:  read_only
        .address_space:  global
        .offset:         56
        .size:           8
        .value_kind:     global_buffer
      - .actual_access:  read_only
        .address_space:  global
        .offset:         64
        .size:           8
        .value_kind:     global_buffer
      - .actual_access:  read_only
        .address_space:  global
        .offset:         72
        .size:           8
        .value_kind:     global_buffer
      - .offset:         80
        .size:           8
        .value_kind:     by_value
      - .address_space:  global
        .offset:         88
        .size:           8
        .value_kind:     global_buffer
      - .offset:         96
        .size:           4
        .value_kind:     by_value
      - .offset:         100
        .size:           1
        .value_kind:     by_value
    .group_segment_fixed_size: 1764
    .kernarg_segment_align: 8
    .kernarg_segment_size: 104
    .language:       OpenCL C
    .language_version:
      - 2
      - 0
    .max_flat_workgroup_size: 441
    .name:           _ZN9rocsparseL20bsrxmvn_17_32_kernelILj21EfllaafEEvT2_20rocsparse_direction_NS_24const_host_device_scalarIT0_EES1_PKS1_PKT1_SA_S7_PKT3_PKT4_S5_PT5_21rocsparse_index_base_b
    .private_segment_fixed_size: 0
    .sgpr_count:     26
    .sgpr_spill_count: 0
    .symbol:         _ZN9rocsparseL20bsrxmvn_17_32_kernelILj21EfllaafEEvT2_20rocsparse_direction_NS_24const_host_device_scalarIT0_EES1_PKS1_PKT1_SA_S7_PKT3_PKT4_S5_PT5_21rocsparse_index_base_b.kd
    .uniform_work_group_size: 1
    .uses_dynamic_stack: false
    .vgpr_count:     15
    .vgpr_spill_count: 0
    .wavefront_size: 32
    .workgroup_processor_mode: 1
  - .args:
      - .offset:         0
        .size:           8
        .value_kind:     by_value
      - .offset:         8
        .size:           4
        .value_kind:     by_value
      - .offset:         16
        .size:           8
        .value_kind:     by_value
      - .offset:         24
        .size:           8
        .value_kind:     by_value
      - .actual_access:  read_only
        .address_space:  global
        .offset:         32
        .size:           8
        .value_kind:     global_buffer
      - .actual_access:  read_only
        .address_space:  global
        .offset:         40
        .size:           8
        .value_kind:     global_buffer
      - .actual_access:  read_only
        .address_space:  global
        .offset:         48
        .size:           8
        .value_kind:     global_buffer
      - .actual_access:  read_only
        .address_space:  global
        .offset:         56
        .size:           8
        .value_kind:     global_buffer
      - .actual_access:  read_only
        .address_space:  global
        .offset:         64
        .size:           8
        .value_kind:     global_buffer
      - .actual_access:  read_only
        .address_space:  global
        .offset:         72
        .size:           8
        .value_kind:     global_buffer
      - .offset:         80
        .size:           8
        .value_kind:     by_value
      - .address_space:  global
        .offset:         88
        .size:           8
        .value_kind:     global_buffer
      - .offset:         96
        .size:           4
        .value_kind:     by_value
      - .offset:         100
        .size:           1
        .value_kind:     by_value
    .group_segment_fixed_size: 1936
    .kernarg_segment_align: 8
    .kernarg_segment_size: 104
    .language:       OpenCL C
    .language_version:
      - 2
      - 0
    .max_flat_workgroup_size: 484
    .name:           _ZN9rocsparseL20bsrxmvn_17_32_kernelILj22EfllaafEEvT2_20rocsparse_direction_NS_24const_host_device_scalarIT0_EES1_PKS1_PKT1_SA_S7_PKT3_PKT4_S5_PT5_21rocsparse_index_base_b
    .private_segment_fixed_size: 0
    .sgpr_count:     26
    .sgpr_spill_count: 0
    .symbol:         _ZN9rocsparseL20bsrxmvn_17_32_kernelILj22EfllaafEEvT2_20rocsparse_direction_NS_24const_host_device_scalarIT0_EES1_PKS1_PKT1_SA_S7_PKT3_PKT4_S5_PT5_21rocsparse_index_base_b.kd
    .uniform_work_group_size: 1
    .uses_dynamic_stack: false
    .vgpr_count:     15
    .vgpr_spill_count: 0
    .wavefront_size: 32
    .workgroup_processor_mode: 1
  - .args:
      - .offset:         0
        .size:           8
        .value_kind:     by_value
      - .offset:         8
        .size:           4
        .value_kind:     by_value
      - .offset:         16
        .size:           8
        .value_kind:     by_value
      - .offset:         24
        .size:           8
        .value_kind:     by_value
      - .actual_access:  read_only
        .address_space:  global
        .offset:         32
        .size:           8
        .value_kind:     global_buffer
      - .actual_access:  read_only
        .address_space:  global
        .offset:         40
        .size:           8
        .value_kind:     global_buffer
      - .actual_access:  read_only
        .address_space:  global
        .offset:         48
        .size:           8
        .value_kind:     global_buffer
      - .actual_access:  read_only
        .address_space:  global
        .offset:         56
        .size:           8
        .value_kind:     global_buffer
      - .actual_access:  read_only
        .address_space:  global
        .offset:         64
        .size:           8
        .value_kind:     global_buffer
      - .actual_access:  read_only
        .address_space:  global
        .offset:         72
        .size:           8
        .value_kind:     global_buffer
      - .offset:         80
        .size:           8
        .value_kind:     by_value
      - .address_space:  global
        .offset:         88
        .size:           8
        .value_kind:     global_buffer
      - .offset:         96
        .size:           4
        .value_kind:     by_value
      - .offset:         100
        .size:           1
        .value_kind:     by_value
    .group_segment_fixed_size: 2116
    .kernarg_segment_align: 8
    .kernarg_segment_size: 104
    .language:       OpenCL C
    .language_version:
      - 2
      - 0
    .max_flat_workgroup_size: 529
    .name:           _ZN9rocsparseL20bsrxmvn_17_32_kernelILj23EfllaafEEvT2_20rocsparse_direction_NS_24const_host_device_scalarIT0_EES1_PKS1_PKT1_SA_S7_PKT3_PKT4_S5_PT5_21rocsparse_index_base_b
    .private_segment_fixed_size: 0
    .sgpr_count:     26
    .sgpr_spill_count: 0
    .symbol:         _ZN9rocsparseL20bsrxmvn_17_32_kernelILj23EfllaafEEvT2_20rocsparse_direction_NS_24const_host_device_scalarIT0_EES1_PKS1_PKT1_SA_S7_PKT3_PKT4_S5_PT5_21rocsparse_index_base_b.kd
    .uniform_work_group_size: 1
    .uses_dynamic_stack: false
    .vgpr_count:     15
    .vgpr_spill_count: 0
    .wavefront_size: 32
    .workgroup_processor_mode: 1
  - .args:
      - .offset:         0
        .size:           8
        .value_kind:     by_value
      - .offset:         8
        .size:           4
        .value_kind:     by_value
      - .offset:         16
        .size:           8
        .value_kind:     by_value
      - .offset:         24
        .size:           8
        .value_kind:     by_value
      - .actual_access:  read_only
        .address_space:  global
        .offset:         32
        .size:           8
        .value_kind:     global_buffer
      - .actual_access:  read_only
        .address_space:  global
        .offset:         40
        .size:           8
        .value_kind:     global_buffer
      - .actual_access:  read_only
        .address_space:  global
        .offset:         48
        .size:           8
        .value_kind:     global_buffer
      - .actual_access:  read_only
        .address_space:  global
        .offset:         56
        .size:           8
        .value_kind:     global_buffer
      - .actual_access:  read_only
        .address_space:  global
        .offset:         64
        .size:           8
        .value_kind:     global_buffer
      - .actual_access:  read_only
        .address_space:  global
        .offset:         72
        .size:           8
        .value_kind:     global_buffer
      - .offset:         80
        .size:           8
        .value_kind:     by_value
      - .address_space:  global
        .offset:         88
        .size:           8
        .value_kind:     global_buffer
      - .offset:         96
        .size:           4
        .value_kind:     by_value
      - .offset:         100
        .size:           1
        .value_kind:     by_value
    .group_segment_fixed_size: 2304
    .kernarg_segment_align: 8
    .kernarg_segment_size: 104
    .language:       OpenCL C
    .language_version:
      - 2
      - 0
    .max_flat_workgroup_size: 576
    .name:           _ZN9rocsparseL20bsrxmvn_17_32_kernelILj24EfllaafEEvT2_20rocsparse_direction_NS_24const_host_device_scalarIT0_EES1_PKS1_PKT1_SA_S7_PKT3_PKT4_S5_PT5_21rocsparse_index_base_b
    .private_segment_fixed_size: 0
    .sgpr_count:     26
    .sgpr_spill_count: 0
    .symbol:         _ZN9rocsparseL20bsrxmvn_17_32_kernelILj24EfllaafEEvT2_20rocsparse_direction_NS_24const_host_device_scalarIT0_EES1_PKS1_PKT1_SA_S7_PKT3_PKT4_S5_PT5_21rocsparse_index_base_b.kd
    .uniform_work_group_size: 1
    .uses_dynamic_stack: false
    .vgpr_count:     15
    .vgpr_spill_count: 0
    .wavefront_size: 32
    .workgroup_processor_mode: 1
  - .args:
      - .offset:         0
        .size:           8
        .value_kind:     by_value
      - .offset:         8
        .size:           4
        .value_kind:     by_value
      - .offset:         16
        .size:           8
        .value_kind:     by_value
      - .offset:         24
        .size:           8
        .value_kind:     by_value
      - .actual_access:  read_only
        .address_space:  global
        .offset:         32
        .size:           8
        .value_kind:     global_buffer
      - .actual_access:  read_only
        .address_space:  global
        .offset:         40
        .size:           8
        .value_kind:     global_buffer
      - .actual_access:  read_only
        .address_space:  global
        .offset:         48
        .size:           8
        .value_kind:     global_buffer
      - .actual_access:  read_only
        .address_space:  global
        .offset:         56
        .size:           8
        .value_kind:     global_buffer
      - .actual_access:  read_only
        .address_space:  global
        .offset:         64
        .size:           8
        .value_kind:     global_buffer
      - .actual_access:  read_only
        .address_space:  global
        .offset:         72
        .size:           8
        .value_kind:     global_buffer
      - .offset:         80
        .size:           8
        .value_kind:     by_value
      - .address_space:  global
        .offset:         88
        .size:           8
        .value_kind:     global_buffer
      - .offset:         96
        .size:           4
        .value_kind:     by_value
      - .offset:         100
        .size:           1
        .value_kind:     by_value
    .group_segment_fixed_size: 2500
    .kernarg_segment_align: 8
    .kernarg_segment_size: 104
    .language:       OpenCL C
    .language_version:
      - 2
      - 0
    .max_flat_workgroup_size: 625
    .name:           _ZN9rocsparseL20bsrxmvn_17_32_kernelILj25EfllaafEEvT2_20rocsparse_direction_NS_24const_host_device_scalarIT0_EES1_PKS1_PKT1_SA_S7_PKT3_PKT4_S5_PT5_21rocsparse_index_base_b
    .private_segment_fixed_size: 0
    .sgpr_count:     26
    .sgpr_spill_count: 0
    .symbol:         _ZN9rocsparseL20bsrxmvn_17_32_kernelILj25EfllaafEEvT2_20rocsparse_direction_NS_24const_host_device_scalarIT0_EES1_PKS1_PKT1_SA_S7_PKT3_PKT4_S5_PT5_21rocsparse_index_base_b.kd
    .uniform_work_group_size: 1
    .uses_dynamic_stack: false
    .vgpr_count:     15
    .vgpr_spill_count: 0
    .wavefront_size: 32
    .workgroup_processor_mode: 1
  - .args:
      - .offset:         0
        .size:           8
        .value_kind:     by_value
      - .offset:         8
        .size:           4
        .value_kind:     by_value
      - .offset:         16
        .size:           8
        .value_kind:     by_value
      - .offset:         24
        .size:           8
        .value_kind:     by_value
      - .actual_access:  read_only
        .address_space:  global
        .offset:         32
        .size:           8
        .value_kind:     global_buffer
      - .actual_access:  read_only
        .address_space:  global
        .offset:         40
        .size:           8
        .value_kind:     global_buffer
      - .actual_access:  read_only
        .address_space:  global
        .offset:         48
        .size:           8
        .value_kind:     global_buffer
      - .actual_access:  read_only
        .address_space:  global
        .offset:         56
        .size:           8
        .value_kind:     global_buffer
      - .actual_access:  read_only
        .address_space:  global
        .offset:         64
        .size:           8
        .value_kind:     global_buffer
      - .actual_access:  read_only
        .address_space:  global
        .offset:         72
        .size:           8
        .value_kind:     global_buffer
      - .offset:         80
        .size:           8
        .value_kind:     by_value
      - .address_space:  global
        .offset:         88
        .size:           8
        .value_kind:     global_buffer
      - .offset:         96
        .size:           4
        .value_kind:     by_value
      - .offset:         100
        .size:           1
        .value_kind:     by_value
    .group_segment_fixed_size: 2704
    .kernarg_segment_align: 8
    .kernarg_segment_size: 104
    .language:       OpenCL C
    .language_version:
      - 2
      - 0
    .max_flat_workgroup_size: 676
    .name:           _ZN9rocsparseL20bsrxmvn_17_32_kernelILj26EfllaafEEvT2_20rocsparse_direction_NS_24const_host_device_scalarIT0_EES1_PKS1_PKT1_SA_S7_PKT3_PKT4_S5_PT5_21rocsparse_index_base_b
    .private_segment_fixed_size: 0
    .sgpr_count:     26
    .sgpr_spill_count: 0
    .symbol:         _ZN9rocsparseL20bsrxmvn_17_32_kernelILj26EfllaafEEvT2_20rocsparse_direction_NS_24const_host_device_scalarIT0_EES1_PKS1_PKT1_SA_S7_PKT3_PKT4_S5_PT5_21rocsparse_index_base_b.kd
    .uniform_work_group_size: 1
    .uses_dynamic_stack: false
    .vgpr_count:     15
    .vgpr_spill_count: 0
    .wavefront_size: 32
    .workgroup_processor_mode: 1
  - .args:
      - .offset:         0
        .size:           8
        .value_kind:     by_value
      - .offset:         8
        .size:           4
        .value_kind:     by_value
      - .offset:         16
        .size:           8
        .value_kind:     by_value
      - .offset:         24
        .size:           8
        .value_kind:     by_value
      - .actual_access:  read_only
        .address_space:  global
        .offset:         32
        .size:           8
        .value_kind:     global_buffer
      - .actual_access:  read_only
        .address_space:  global
        .offset:         40
        .size:           8
        .value_kind:     global_buffer
      - .actual_access:  read_only
        .address_space:  global
        .offset:         48
        .size:           8
        .value_kind:     global_buffer
      - .actual_access:  read_only
        .address_space:  global
        .offset:         56
        .size:           8
        .value_kind:     global_buffer
      - .actual_access:  read_only
        .address_space:  global
        .offset:         64
        .size:           8
        .value_kind:     global_buffer
      - .actual_access:  read_only
        .address_space:  global
        .offset:         72
        .size:           8
        .value_kind:     global_buffer
      - .offset:         80
        .size:           8
        .value_kind:     by_value
      - .address_space:  global
        .offset:         88
        .size:           8
        .value_kind:     global_buffer
      - .offset:         96
        .size:           4
        .value_kind:     by_value
      - .offset:         100
        .size:           1
        .value_kind:     by_value
    .group_segment_fixed_size: 2916
    .kernarg_segment_align: 8
    .kernarg_segment_size: 104
    .language:       OpenCL C
    .language_version:
      - 2
      - 0
    .max_flat_workgroup_size: 729
    .name:           _ZN9rocsparseL20bsrxmvn_17_32_kernelILj27EfllaafEEvT2_20rocsparse_direction_NS_24const_host_device_scalarIT0_EES1_PKS1_PKT1_SA_S7_PKT3_PKT4_S5_PT5_21rocsparse_index_base_b
    .private_segment_fixed_size: 0
    .sgpr_count:     26
    .sgpr_spill_count: 0
    .symbol:         _ZN9rocsparseL20bsrxmvn_17_32_kernelILj27EfllaafEEvT2_20rocsparse_direction_NS_24const_host_device_scalarIT0_EES1_PKS1_PKT1_SA_S7_PKT3_PKT4_S5_PT5_21rocsparse_index_base_b.kd
    .uniform_work_group_size: 1
    .uses_dynamic_stack: false
    .vgpr_count:     15
    .vgpr_spill_count: 0
    .wavefront_size: 32
    .workgroup_processor_mode: 1
  - .args:
      - .offset:         0
        .size:           8
        .value_kind:     by_value
      - .offset:         8
        .size:           4
        .value_kind:     by_value
      - .offset:         16
        .size:           8
        .value_kind:     by_value
      - .offset:         24
        .size:           8
        .value_kind:     by_value
      - .actual_access:  read_only
        .address_space:  global
        .offset:         32
        .size:           8
        .value_kind:     global_buffer
      - .actual_access:  read_only
        .address_space:  global
        .offset:         40
        .size:           8
        .value_kind:     global_buffer
      - .actual_access:  read_only
        .address_space:  global
        .offset:         48
        .size:           8
        .value_kind:     global_buffer
      - .actual_access:  read_only
        .address_space:  global
        .offset:         56
        .size:           8
        .value_kind:     global_buffer
      - .actual_access:  read_only
        .address_space:  global
        .offset:         64
        .size:           8
        .value_kind:     global_buffer
      - .actual_access:  read_only
        .address_space:  global
        .offset:         72
        .size:           8
        .value_kind:     global_buffer
      - .offset:         80
        .size:           8
        .value_kind:     by_value
      - .address_space:  global
        .offset:         88
        .size:           8
        .value_kind:     global_buffer
      - .offset:         96
        .size:           4
        .value_kind:     by_value
      - .offset:         100
        .size:           1
        .value_kind:     by_value
    .group_segment_fixed_size: 3136
    .kernarg_segment_align: 8
    .kernarg_segment_size: 104
    .language:       OpenCL C
    .language_version:
      - 2
      - 0
    .max_flat_workgroup_size: 784
    .name:           _ZN9rocsparseL20bsrxmvn_17_32_kernelILj28EfllaafEEvT2_20rocsparse_direction_NS_24const_host_device_scalarIT0_EES1_PKS1_PKT1_SA_S7_PKT3_PKT4_S5_PT5_21rocsparse_index_base_b
    .private_segment_fixed_size: 0
    .sgpr_count:     26
    .sgpr_spill_count: 0
    .symbol:         _ZN9rocsparseL20bsrxmvn_17_32_kernelILj28EfllaafEEvT2_20rocsparse_direction_NS_24const_host_device_scalarIT0_EES1_PKS1_PKT1_SA_S7_PKT3_PKT4_S5_PT5_21rocsparse_index_base_b.kd
    .uniform_work_group_size: 1
    .uses_dynamic_stack: false
    .vgpr_count:     15
    .vgpr_spill_count: 0
    .wavefront_size: 32
    .workgroup_processor_mode: 1
  - .args:
      - .offset:         0
        .size:           8
        .value_kind:     by_value
      - .offset:         8
        .size:           4
        .value_kind:     by_value
      - .offset:         16
        .size:           8
        .value_kind:     by_value
      - .offset:         24
        .size:           8
        .value_kind:     by_value
      - .actual_access:  read_only
        .address_space:  global
        .offset:         32
        .size:           8
        .value_kind:     global_buffer
      - .actual_access:  read_only
        .address_space:  global
        .offset:         40
        .size:           8
        .value_kind:     global_buffer
      - .actual_access:  read_only
        .address_space:  global
        .offset:         48
        .size:           8
        .value_kind:     global_buffer
      - .actual_access:  read_only
        .address_space:  global
        .offset:         56
        .size:           8
        .value_kind:     global_buffer
      - .actual_access:  read_only
        .address_space:  global
        .offset:         64
        .size:           8
        .value_kind:     global_buffer
      - .actual_access:  read_only
        .address_space:  global
        .offset:         72
        .size:           8
        .value_kind:     global_buffer
      - .offset:         80
        .size:           8
        .value_kind:     by_value
      - .address_space:  global
        .offset:         88
        .size:           8
        .value_kind:     global_buffer
      - .offset:         96
        .size:           4
        .value_kind:     by_value
      - .offset:         100
        .size:           1
        .value_kind:     by_value
    .group_segment_fixed_size: 3364
    .kernarg_segment_align: 8
    .kernarg_segment_size: 104
    .language:       OpenCL C
    .language_version:
      - 2
      - 0
    .max_flat_workgroup_size: 841
    .name:           _ZN9rocsparseL20bsrxmvn_17_32_kernelILj29EfllaafEEvT2_20rocsparse_direction_NS_24const_host_device_scalarIT0_EES1_PKS1_PKT1_SA_S7_PKT3_PKT4_S5_PT5_21rocsparse_index_base_b
    .private_segment_fixed_size: 0
    .sgpr_count:     26
    .sgpr_spill_count: 0
    .symbol:         _ZN9rocsparseL20bsrxmvn_17_32_kernelILj29EfllaafEEvT2_20rocsparse_direction_NS_24const_host_device_scalarIT0_EES1_PKS1_PKT1_SA_S7_PKT3_PKT4_S5_PT5_21rocsparse_index_base_b.kd
    .uniform_work_group_size: 1
    .uses_dynamic_stack: false
    .vgpr_count:     15
    .vgpr_spill_count: 0
    .wavefront_size: 32
    .workgroup_processor_mode: 1
  - .args:
      - .offset:         0
        .size:           8
        .value_kind:     by_value
      - .offset:         8
        .size:           4
        .value_kind:     by_value
      - .offset:         16
        .size:           8
        .value_kind:     by_value
      - .offset:         24
        .size:           8
        .value_kind:     by_value
      - .actual_access:  read_only
        .address_space:  global
        .offset:         32
        .size:           8
        .value_kind:     global_buffer
      - .actual_access:  read_only
        .address_space:  global
        .offset:         40
        .size:           8
        .value_kind:     global_buffer
      - .actual_access:  read_only
        .address_space:  global
        .offset:         48
        .size:           8
        .value_kind:     global_buffer
      - .actual_access:  read_only
        .address_space:  global
        .offset:         56
        .size:           8
        .value_kind:     global_buffer
      - .actual_access:  read_only
        .address_space:  global
        .offset:         64
        .size:           8
        .value_kind:     global_buffer
      - .actual_access:  read_only
        .address_space:  global
        .offset:         72
        .size:           8
        .value_kind:     global_buffer
      - .offset:         80
        .size:           8
        .value_kind:     by_value
      - .address_space:  global
        .offset:         88
        .size:           8
        .value_kind:     global_buffer
      - .offset:         96
        .size:           4
        .value_kind:     by_value
      - .offset:         100
        .size:           1
        .value_kind:     by_value
    .group_segment_fixed_size: 3600
    .kernarg_segment_align: 8
    .kernarg_segment_size: 104
    .language:       OpenCL C
    .language_version:
      - 2
      - 0
    .max_flat_workgroup_size: 900
    .name:           _ZN9rocsparseL20bsrxmvn_17_32_kernelILj30EfllaafEEvT2_20rocsparse_direction_NS_24const_host_device_scalarIT0_EES1_PKS1_PKT1_SA_S7_PKT3_PKT4_S5_PT5_21rocsparse_index_base_b
    .private_segment_fixed_size: 0
    .sgpr_count:     26
    .sgpr_spill_count: 0
    .symbol:         _ZN9rocsparseL20bsrxmvn_17_32_kernelILj30EfllaafEEvT2_20rocsparse_direction_NS_24const_host_device_scalarIT0_EES1_PKS1_PKT1_SA_S7_PKT3_PKT4_S5_PT5_21rocsparse_index_base_b.kd
    .uniform_work_group_size: 1
    .uses_dynamic_stack: false
    .vgpr_count:     15
    .vgpr_spill_count: 0
    .wavefront_size: 32
    .workgroup_processor_mode: 1
  - .args:
      - .offset:         0
        .size:           8
        .value_kind:     by_value
      - .offset:         8
        .size:           4
        .value_kind:     by_value
      - .offset:         16
        .size:           8
        .value_kind:     by_value
      - .offset:         24
        .size:           8
        .value_kind:     by_value
      - .actual_access:  read_only
        .address_space:  global
        .offset:         32
        .size:           8
        .value_kind:     global_buffer
      - .actual_access:  read_only
        .address_space:  global
        .offset:         40
        .size:           8
        .value_kind:     global_buffer
      - .actual_access:  read_only
        .address_space:  global
        .offset:         48
        .size:           8
        .value_kind:     global_buffer
      - .actual_access:  read_only
        .address_space:  global
        .offset:         56
        .size:           8
        .value_kind:     global_buffer
      - .actual_access:  read_only
        .address_space:  global
        .offset:         64
        .size:           8
        .value_kind:     global_buffer
      - .actual_access:  read_only
        .address_space:  global
        .offset:         72
        .size:           8
        .value_kind:     global_buffer
      - .offset:         80
        .size:           8
        .value_kind:     by_value
      - .address_space:  global
        .offset:         88
        .size:           8
        .value_kind:     global_buffer
      - .offset:         96
        .size:           4
        .value_kind:     by_value
      - .offset:         100
        .size:           1
        .value_kind:     by_value
    .group_segment_fixed_size: 3844
    .kernarg_segment_align: 8
    .kernarg_segment_size: 104
    .language:       OpenCL C
    .language_version:
      - 2
      - 0
    .max_flat_workgroup_size: 961
    .name:           _ZN9rocsparseL20bsrxmvn_17_32_kernelILj31EfllaafEEvT2_20rocsparse_direction_NS_24const_host_device_scalarIT0_EES1_PKS1_PKT1_SA_S7_PKT3_PKT4_S5_PT5_21rocsparse_index_base_b
    .private_segment_fixed_size: 0
    .sgpr_count:     26
    .sgpr_spill_count: 0
    .symbol:         _ZN9rocsparseL20bsrxmvn_17_32_kernelILj31EfllaafEEvT2_20rocsparse_direction_NS_24const_host_device_scalarIT0_EES1_PKS1_PKT1_SA_S7_PKT3_PKT4_S5_PT5_21rocsparse_index_base_b.kd
    .uniform_work_group_size: 1
    .uses_dynamic_stack: false
    .vgpr_count:     15
    .vgpr_spill_count: 0
    .wavefront_size: 32
    .workgroup_processor_mode: 1
  - .args:
      - .offset:         0
        .size:           8
        .value_kind:     by_value
      - .offset:         8
        .size:           4
        .value_kind:     by_value
      - .offset:         16
        .size:           8
        .value_kind:     by_value
      - .offset:         24
        .size:           8
        .value_kind:     by_value
      - .actual_access:  read_only
        .address_space:  global
        .offset:         32
        .size:           8
        .value_kind:     global_buffer
      - .actual_access:  read_only
        .address_space:  global
        .offset:         40
        .size:           8
        .value_kind:     global_buffer
      - .actual_access:  read_only
        .address_space:  global
        .offset:         48
        .size:           8
        .value_kind:     global_buffer
      - .actual_access:  read_only
        .address_space:  global
        .offset:         56
        .size:           8
        .value_kind:     global_buffer
      - .actual_access:  read_only
        .address_space:  global
        .offset:         64
        .size:           8
        .value_kind:     global_buffer
      - .actual_access:  read_only
        .address_space:  global
        .offset:         72
        .size:           8
        .value_kind:     global_buffer
      - .offset:         80
        .size:           8
        .value_kind:     by_value
      - .address_space:  global
        .offset:         88
        .size:           8
        .value_kind:     global_buffer
      - .offset:         96
        .size:           4
        .value_kind:     by_value
      - .offset:         100
        .size:           1
        .value_kind:     by_value
    .group_segment_fixed_size: 4096
    .kernarg_segment_align: 8
    .kernarg_segment_size: 104
    .language:       OpenCL C
    .language_version:
      - 2
      - 0
    .max_flat_workgroup_size: 1024
    .name:           _ZN9rocsparseL20bsrxmvn_17_32_kernelILj32EfllaafEEvT2_20rocsparse_direction_NS_24const_host_device_scalarIT0_EES1_PKS1_PKT1_SA_S7_PKT3_PKT4_S5_PT5_21rocsparse_index_base_b
    .private_segment_fixed_size: 0
    .sgpr_count:     28
    .sgpr_spill_count: 0
    .symbol:         _ZN9rocsparseL20bsrxmvn_17_32_kernelILj32EfllaafEEvT2_20rocsparse_direction_NS_24const_host_device_scalarIT0_EES1_PKS1_PKT1_SA_S7_PKT3_PKT4_S5_PT5_21rocsparse_index_base_b.kd
    .uniform_work_group_size: 1
    .uses_dynamic_stack: false
    .vgpr_count:     10
    .vgpr_spill_count: 0
    .wavefront_size: 32
    .workgroup_processor_mode: 1
  - .args:
      - .offset:         0
        .size:           4
        .value_kind:     by_value
      - .offset:         4
        .size:           4
        .value_kind:     by_value
      - .offset:         8
        .size:           8
        .value_kind:     by_value
      - .offset:         16
        .size:           4
        .value_kind:     by_value
      - .actual_access:  read_only
        .address_space:  global
        .offset:         24
        .size:           8
        .value_kind:     global_buffer
      - .actual_access:  read_only
        .address_space:  global
        .offset:         32
        .size:           8
        .value_kind:     global_buffer
      - .actual_access:  read_only
        .address_space:  global
        .offset:         40
        .size:           8
        .value_kind:     global_buffer
      - .actual_access:  read_only
        .address_space:  global
        .offset:         48
        .size:           8
        .value_kind:     global_buffer
      - .actual_access:  read_only
        .address_space:  global
        .offset:         56
        .size:           8
        .value_kind:     global_buffer
      - .actual_access:  read_only
        .address_space:  global
        .offset:         64
        .size:           8
        .value_kind:     global_buffer
      - .offset:         72
        .size:           8
        .value_kind:     by_value
      - .address_space:  global
        .offset:         80
        .size:           8
        .value_kind:     global_buffer
      - .offset:         88
        .size:           4
        .value_kind:     by_value
      - .offset:         92
        .size:           1
        .value_kind:     by_value
    .group_segment_fixed_size: 1156
    .kernarg_segment_align: 8
    .kernarg_segment_size: 96
    .language:       OpenCL C
    .language_version:
      - 2
      - 0
    .max_flat_workgroup_size: 289
    .name:           _ZN9rocsparseL20bsrxmvn_17_32_kernelILj17EfiiDF16_DF16_fEEvT2_20rocsparse_direction_NS_24const_host_device_scalarIT0_EES1_PKS1_PKT1_SA_S7_PKT3_PKT4_S5_PT5_21rocsparse_index_base_b
    .private_segment_fixed_size: 0
    .sgpr_count:     19
    .sgpr_spill_count: 0
    .symbol:         _ZN9rocsparseL20bsrxmvn_17_32_kernelILj17EfiiDF16_DF16_fEEvT2_20rocsparse_direction_NS_24const_host_device_scalarIT0_EES1_PKS1_PKT1_SA_S7_PKT3_PKT4_S5_PT5_21rocsparse_index_base_b.kd
    .uniform_work_group_size: 1
    .uses_dynamic_stack: false
    .vgpr_count:     10
    .vgpr_spill_count: 0
    .wavefront_size: 32
    .workgroup_processor_mode: 1
  - .args:
      - .offset:         0
        .size:           4
        .value_kind:     by_value
      - .offset:         4
        .size:           4
        .value_kind:     by_value
      - .offset:         8
        .size:           8
        .value_kind:     by_value
      - .offset:         16
        .size:           4
        .value_kind:     by_value
      - .actual_access:  read_only
        .address_space:  global
        .offset:         24
        .size:           8
        .value_kind:     global_buffer
      - .actual_access:  read_only
        .address_space:  global
        .offset:         32
        .size:           8
        .value_kind:     global_buffer
      - .actual_access:  read_only
        .address_space:  global
        .offset:         40
        .size:           8
        .value_kind:     global_buffer
      - .actual_access:  read_only
        .address_space:  global
        .offset:         48
        .size:           8
        .value_kind:     global_buffer
      - .actual_access:  read_only
        .address_space:  global
        .offset:         56
        .size:           8
        .value_kind:     global_buffer
      - .actual_access:  read_only
        .address_space:  global
        .offset:         64
        .size:           8
        .value_kind:     global_buffer
      - .offset:         72
        .size:           8
        .value_kind:     by_value
      - .address_space:  global
        .offset:         80
        .size:           8
        .value_kind:     global_buffer
      - .offset:         88
        .size:           4
        .value_kind:     by_value
      - .offset:         92
        .size:           1
        .value_kind:     by_value
    .group_segment_fixed_size: 1296
    .kernarg_segment_align: 8
    .kernarg_segment_size: 96
    .language:       OpenCL C
    .language_version:
      - 2
      - 0
    .max_flat_workgroup_size: 324
    .name:           _ZN9rocsparseL20bsrxmvn_17_32_kernelILj18EfiiDF16_DF16_fEEvT2_20rocsparse_direction_NS_24const_host_device_scalarIT0_EES1_PKS1_PKT1_SA_S7_PKT3_PKT4_S5_PT5_21rocsparse_index_base_b
    .private_segment_fixed_size: 0
    .sgpr_count:     19
    .sgpr_spill_count: 0
    .symbol:         _ZN9rocsparseL20bsrxmvn_17_32_kernelILj18EfiiDF16_DF16_fEEvT2_20rocsparse_direction_NS_24const_host_device_scalarIT0_EES1_PKS1_PKT1_SA_S7_PKT3_PKT4_S5_PT5_21rocsparse_index_base_b.kd
    .uniform_work_group_size: 1
    .uses_dynamic_stack: false
    .vgpr_count:     10
    .vgpr_spill_count: 0
    .wavefront_size: 32
    .workgroup_processor_mode: 1
  - .args:
      - .offset:         0
        .size:           4
        .value_kind:     by_value
      - .offset:         4
        .size:           4
        .value_kind:     by_value
      - .offset:         8
        .size:           8
        .value_kind:     by_value
      - .offset:         16
        .size:           4
        .value_kind:     by_value
      - .actual_access:  read_only
        .address_space:  global
        .offset:         24
        .size:           8
        .value_kind:     global_buffer
      - .actual_access:  read_only
        .address_space:  global
        .offset:         32
        .size:           8
        .value_kind:     global_buffer
      - .actual_access:  read_only
        .address_space:  global
        .offset:         40
        .size:           8
        .value_kind:     global_buffer
      - .actual_access:  read_only
        .address_space:  global
        .offset:         48
        .size:           8
        .value_kind:     global_buffer
      - .actual_access:  read_only
        .address_space:  global
        .offset:         56
        .size:           8
        .value_kind:     global_buffer
      - .actual_access:  read_only
        .address_space:  global
        .offset:         64
        .size:           8
        .value_kind:     global_buffer
      - .offset:         72
        .size:           8
        .value_kind:     by_value
      - .address_space:  global
        .offset:         80
        .size:           8
        .value_kind:     global_buffer
      - .offset:         88
        .size:           4
        .value_kind:     by_value
      - .offset:         92
        .size:           1
        .value_kind:     by_value
    .group_segment_fixed_size: 1444
    .kernarg_segment_align: 8
    .kernarg_segment_size: 96
    .language:       OpenCL C
    .language_version:
      - 2
      - 0
    .max_flat_workgroup_size: 361
    .name:           _ZN9rocsparseL20bsrxmvn_17_32_kernelILj19EfiiDF16_DF16_fEEvT2_20rocsparse_direction_NS_24const_host_device_scalarIT0_EES1_PKS1_PKT1_SA_S7_PKT3_PKT4_S5_PT5_21rocsparse_index_base_b
    .private_segment_fixed_size: 0
    .sgpr_count:     19
    .sgpr_spill_count: 0
    .symbol:         _ZN9rocsparseL20bsrxmvn_17_32_kernelILj19EfiiDF16_DF16_fEEvT2_20rocsparse_direction_NS_24const_host_device_scalarIT0_EES1_PKS1_PKT1_SA_S7_PKT3_PKT4_S5_PT5_21rocsparse_index_base_b.kd
    .uniform_work_group_size: 1
    .uses_dynamic_stack: false
    .vgpr_count:     10
    .vgpr_spill_count: 0
    .wavefront_size: 32
    .workgroup_processor_mode: 1
  - .args:
      - .offset:         0
        .size:           4
        .value_kind:     by_value
      - .offset:         4
        .size:           4
        .value_kind:     by_value
      - .offset:         8
        .size:           8
        .value_kind:     by_value
      - .offset:         16
        .size:           4
        .value_kind:     by_value
      - .actual_access:  read_only
        .address_space:  global
        .offset:         24
        .size:           8
        .value_kind:     global_buffer
      - .actual_access:  read_only
        .address_space:  global
        .offset:         32
        .size:           8
        .value_kind:     global_buffer
      - .actual_access:  read_only
        .address_space:  global
        .offset:         40
        .size:           8
        .value_kind:     global_buffer
      - .actual_access:  read_only
        .address_space:  global
        .offset:         48
        .size:           8
        .value_kind:     global_buffer
      - .actual_access:  read_only
        .address_space:  global
        .offset:         56
        .size:           8
        .value_kind:     global_buffer
      - .actual_access:  read_only
        .address_space:  global
        .offset:         64
        .size:           8
        .value_kind:     global_buffer
      - .offset:         72
        .size:           8
        .value_kind:     by_value
      - .address_space:  global
        .offset:         80
        .size:           8
        .value_kind:     global_buffer
      - .offset:         88
        .size:           4
        .value_kind:     by_value
      - .offset:         92
        .size:           1
        .value_kind:     by_value
    .group_segment_fixed_size: 1600
    .kernarg_segment_align: 8
    .kernarg_segment_size: 96
    .language:       OpenCL C
    .language_version:
      - 2
      - 0
    .max_flat_workgroup_size: 400
    .name:           _ZN9rocsparseL20bsrxmvn_17_32_kernelILj20EfiiDF16_DF16_fEEvT2_20rocsparse_direction_NS_24const_host_device_scalarIT0_EES1_PKS1_PKT1_SA_S7_PKT3_PKT4_S5_PT5_21rocsparse_index_base_b
    .private_segment_fixed_size: 0
    .sgpr_count:     19
    .sgpr_spill_count: 0
    .symbol:         _ZN9rocsparseL20bsrxmvn_17_32_kernelILj20EfiiDF16_DF16_fEEvT2_20rocsparse_direction_NS_24const_host_device_scalarIT0_EES1_PKS1_PKT1_SA_S7_PKT3_PKT4_S5_PT5_21rocsparse_index_base_b.kd
    .uniform_work_group_size: 1
    .uses_dynamic_stack: false
    .vgpr_count:     10
    .vgpr_spill_count: 0
    .wavefront_size: 32
    .workgroup_processor_mode: 1
  - .args:
      - .offset:         0
        .size:           4
        .value_kind:     by_value
      - .offset:         4
        .size:           4
        .value_kind:     by_value
      - .offset:         8
        .size:           8
        .value_kind:     by_value
      - .offset:         16
        .size:           4
        .value_kind:     by_value
      - .actual_access:  read_only
        .address_space:  global
        .offset:         24
        .size:           8
        .value_kind:     global_buffer
      - .actual_access:  read_only
        .address_space:  global
        .offset:         32
        .size:           8
        .value_kind:     global_buffer
      - .actual_access:  read_only
        .address_space:  global
        .offset:         40
        .size:           8
        .value_kind:     global_buffer
      - .actual_access:  read_only
        .address_space:  global
        .offset:         48
        .size:           8
        .value_kind:     global_buffer
      - .actual_access:  read_only
        .address_space:  global
        .offset:         56
        .size:           8
        .value_kind:     global_buffer
      - .actual_access:  read_only
        .address_space:  global
        .offset:         64
        .size:           8
        .value_kind:     global_buffer
      - .offset:         72
        .size:           8
        .value_kind:     by_value
      - .address_space:  global
        .offset:         80
        .size:           8
        .value_kind:     global_buffer
      - .offset:         88
        .size:           4
        .value_kind:     by_value
      - .offset:         92
        .size:           1
        .value_kind:     by_value
    .group_segment_fixed_size: 1764
    .kernarg_segment_align: 8
    .kernarg_segment_size: 96
    .language:       OpenCL C
    .language_version:
      - 2
      - 0
    .max_flat_workgroup_size: 441
    .name:           _ZN9rocsparseL20bsrxmvn_17_32_kernelILj21EfiiDF16_DF16_fEEvT2_20rocsparse_direction_NS_24const_host_device_scalarIT0_EES1_PKS1_PKT1_SA_S7_PKT3_PKT4_S5_PT5_21rocsparse_index_base_b
    .private_segment_fixed_size: 0
    .sgpr_count:     19
    .sgpr_spill_count: 0
    .symbol:         _ZN9rocsparseL20bsrxmvn_17_32_kernelILj21EfiiDF16_DF16_fEEvT2_20rocsparse_direction_NS_24const_host_device_scalarIT0_EES1_PKS1_PKT1_SA_S7_PKT3_PKT4_S5_PT5_21rocsparse_index_base_b.kd
    .uniform_work_group_size: 1
    .uses_dynamic_stack: false
    .vgpr_count:     10
    .vgpr_spill_count: 0
    .wavefront_size: 32
    .workgroup_processor_mode: 1
  - .args:
      - .offset:         0
        .size:           4
        .value_kind:     by_value
      - .offset:         4
        .size:           4
        .value_kind:     by_value
      - .offset:         8
        .size:           8
        .value_kind:     by_value
      - .offset:         16
        .size:           4
        .value_kind:     by_value
      - .actual_access:  read_only
        .address_space:  global
        .offset:         24
        .size:           8
        .value_kind:     global_buffer
      - .actual_access:  read_only
        .address_space:  global
        .offset:         32
        .size:           8
        .value_kind:     global_buffer
      - .actual_access:  read_only
        .address_space:  global
        .offset:         40
        .size:           8
        .value_kind:     global_buffer
      - .actual_access:  read_only
        .address_space:  global
        .offset:         48
        .size:           8
        .value_kind:     global_buffer
      - .actual_access:  read_only
        .address_space:  global
        .offset:         56
        .size:           8
        .value_kind:     global_buffer
      - .actual_access:  read_only
        .address_space:  global
        .offset:         64
        .size:           8
        .value_kind:     global_buffer
      - .offset:         72
        .size:           8
        .value_kind:     by_value
      - .address_space:  global
        .offset:         80
        .size:           8
        .value_kind:     global_buffer
      - .offset:         88
        .size:           4
        .value_kind:     by_value
      - .offset:         92
        .size:           1
        .value_kind:     by_value
    .group_segment_fixed_size: 1936
    .kernarg_segment_align: 8
    .kernarg_segment_size: 96
    .language:       OpenCL C
    .language_version:
      - 2
      - 0
    .max_flat_workgroup_size: 484
    .name:           _ZN9rocsparseL20bsrxmvn_17_32_kernelILj22EfiiDF16_DF16_fEEvT2_20rocsparse_direction_NS_24const_host_device_scalarIT0_EES1_PKS1_PKT1_SA_S7_PKT3_PKT4_S5_PT5_21rocsparse_index_base_b
    .private_segment_fixed_size: 0
    .sgpr_count:     19
    .sgpr_spill_count: 0
    .symbol:         _ZN9rocsparseL20bsrxmvn_17_32_kernelILj22EfiiDF16_DF16_fEEvT2_20rocsparse_direction_NS_24const_host_device_scalarIT0_EES1_PKS1_PKT1_SA_S7_PKT3_PKT4_S5_PT5_21rocsparse_index_base_b.kd
    .uniform_work_group_size: 1
    .uses_dynamic_stack: false
    .vgpr_count:     10
    .vgpr_spill_count: 0
    .wavefront_size: 32
    .workgroup_processor_mode: 1
  - .args:
      - .offset:         0
        .size:           4
        .value_kind:     by_value
      - .offset:         4
        .size:           4
        .value_kind:     by_value
      - .offset:         8
        .size:           8
        .value_kind:     by_value
      - .offset:         16
        .size:           4
        .value_kind:     by_value
      - .actual_access:  read_only
        .address_space:  global
        .offset:         24
        .size:           8
        .value_kind:     global_buffer
      - .actual_access:  read_only
        .address_space:  global
        .offset:         32
        .size:           8
        .value_kind:     global_buffer
      - .actual_access:  read_only
        .address_space:  global
        .offset:         40
        .size:           8
        .value_kind:     global_buffer
      - .actual_access:  read_only
        .address_space:  global
        .offset:         48
        .size:           8
        .value_kind:     global_buffer
      - .actual_access:  read_only
        .address_space:  global
        .offset:         56
        .size:           8
        .value_kind:     global_buffer
      - .actual_access:  read_only
        .address_space:  global
        .offset:         64
        .size:           8
        .value_kind:     global_buffer
      - .offset:         72
        .size:           8
        .value_kind:     by_value
      - .address_space:  global
        .offset:         80
        .size:           8
        .value_kind:     global_buffer
      - .offset:         88
        .size:           4
        .value_kind:     by_value
      - .offset:         92
        .size:           1
        .value_kind:     by_value
    .group_segment_fixed_size: 2116
    .kernarg_segment_align: 8
    .kernarg_segment_size: 96
    .language:       OpenCL C
    .language_version:
      - 2
      - 0
    .max_flat_workgroup_size: 529
    .name:           _ZN9rocsparseL20bsrxmvn_17_32_kernelILj23EfiiDF16_DF16_fEEvT2_20rocsparse_direction_NS_24const_host_device_scalarIT0_EES1_PKS1_PKT1_SA_S7_PKT3_PKT4_S5_PT5_21rocsparse_index_base_b
    .private_segment_fixed_size: 0
    .sgpr_count:     20
    .sgpr_spill_count: 0
    .symbol:         _ZN9rocsparseL20bsrxmvn_17_32_kernelILj23EfiiDF16_DF16_fEEvT2_20rocsparse_direction_NS_24const_host_device_scalarIT0_EES1_PKS1_PKT1_SA_S7_PKT3_PKT4_S5_PT5_21rocsparse_index_base_b.kd
    .uniform_work_group_size: 1
    .uses_dynamic_stack: false
    .vgpr_count:     10
    .vgpr_spill_count: 0
    .wavefront_size: 32
    .workgroup_processor_mode: 1
  - .args:
      - .offset:         0
        .size:           4
        .value_kind:     by_value
      - .offset:         4
        .size:           4
        .value_kind:     by_value
      - .offset:         8
        .size:           8
        .value_kind:     by_value
      - .offset:         16
        .size:           4
        .value_kind:     by_value
      - .actual_access:  read_only
        .address_space:  global
        .offset:         24
        .size:           8
        .value_kind:     global_buffer
      - .actual_access:  read_only
        .address_space:  global
        .offset:         32
        .size:           8
        .value_kind:     global_buffer
      - .actual_access:  read_only
        .address_space:  global
        .offset:         40
        .size:           8
        .value_kind:     global_buffer
      - .actual_access:  read_only
        .address_space:  global
        .offset:         48
        .size:           8
        .value_kind:     global_buffer
      - .actual_access:  read_only
        .address_space:  global
        .offset:         56
        .size:           8
        .value_kind:     global_buffer
      - .actual_access:  read_only
        .address_space:  global
        .offset:         64
        .size:           8
        .value_kind:     global_buffer
      - .offset:         72
        .size:           8
        .value_kind:     by_value
      - .address_space:  global
        .offset:         80
        .size:           8
        .value_kind:     global_buffer
      - .offset:         88
        .size:           4
        .value_kind:     by_value
      - .offset:         92
        .size:           1
        .value_kind:     by_value
    .group_segment_fixed_size: 2304
    .kernarg_segment_align: 8
    .kernarg_segment_size: 96
    .language:       OpenCL C
    .language_version:
      - 2
      - 0
    .max_flat_workgroup_size: 576
    .name:           _ZN9rocsparseL20bsrxmvn_17_32_kernelILj24EfiiDF16_DF16_fEEvT2_20rocsparse_direction_NS_24const_host_device_scalarIT0_EES1_PKS1_PKT1_SA_S7_PKT3_PKT4_S5_PT5_21rocsparse_index_base_b
    .private_segment_fixed_size: 0
    .sgpr_count:     20
    .sgpr_spill_count: 0
    .symbol:         _ZN9rocsparseL20bsrxmvn_17_32_kernelILj24EfiiDF16_DF16_fEEvT2_20rocsparse_direction_NS_24const_host_device_scalarIT0_EES1_PKS1_PKT1_SA_S7_PKT3_PKT4_S5_PT5_21rocsparse_index_base_b.kd
    .uniform_work_group_size: 1
    .uses_dynamic_stack: false
    .vgpr_count:     10
    .vgpr_spill_count: 0
    .wavefront_size: 32
    .workgroup_processor_mode: 1
  - .args:
      - .offset:         0
        .size:           4
        .value_kind:     by_value
      - .offset:         4
        .size:           4
        .value_kind:     by_value
      - .offset:         8
        .size:           8
        .value_kind:     by_value
      - .offset:         16
        .size:           4
        .value_kind:     by_value
      - .actual_access:  read_only
        .address_space:  global
        .offset:         24
        .size:           8
        .value_kind:     global_buffer
      - .actual_access:  read_only
        .address_space:  global
        .offset:         32
        .size:           8
        .value_kind:     global_buffer
      - .actual_access:  read_only
        .address_space:  global
        .offset:         40
        .size:           8
        .value_kind:     global_buffer
      - .actual_access:  read_only
        .address_space:  global
        .offset:         48
        .size:           8
        .value_kind:     global_buffer
      - .actual_access:  read_only
        .address_space:  global
        .offset:         56
        .size:           8
        .value_kind:     global_buffer
      - .actual_access:  read_only
        .address_space:  global
        .offset:         64
        .size:           8
        .value_kind:     global_buffer
      - .offset:         72
        .size:           8
        .value_kind:     by_value
      - .address_space:  global
        .offset:         80
        .size:           8
        .value_kind:     global_buffer
      - .offset:         88
        .size:           4
        .value_kind:     by_value
      - .offset:         92
        .size:           1
        .value_kind:     by_value
    .group_segment_fixed_size: 2500
    .kernarg_segment_align: 8
    .kernarg_segment_size: 96
    .language:       OpenCL C
    .language_version:
      - 2
      - 0
    .max_flat_workgroup_size: 625
    .name:           _ZN9rocsparseL20bsrxmvn_17_32_kernelILj25EfiiDF16_DF16_fEEvT2_20rocsparse_direction_NS_24const_host_device_scalarIT0_EES1_PKS1_PKT1_SA_S7_PKT3_PKT4_S5_PT5_21rocsparse_index_base_b
    .private_segment_fixed_size: 0
    .sgpr_count:     20
    .sgpr_spill_count: 0
    .symbol:         _ZN9rocsparseL20bsrxmvn_17_32_kernelILj25EfiiDF16_DF16_fEEvT2_20rocsparse_direction_NS_24const_host_device_scalarIT0_EES1_PKS1_PKT1_SA_S7_PKT3_PKT4_S5_PT5_21rocsparse_index_base_b.kd
    .uniform_work_group_size: 1
    .uses_dynamic_stack: false
    .vgpr_count:     10
    .vgpr_spill_count: 0
    .wavefront_size: 32
    .workgroup_processor_mode: 1
  - .args:
      - .offset:         0
        .size:           4
        .value_kind:     by_value
      - .offset:         4
        .size:           4
        .value_kind:     by_value
      - .offset:         8
        .size:           8
        .value_kind:     by_value
      - .offset:         16
        .size:           4
        .value_kind:     by_value
      - .actual_access:  read_only
        .address_space:  global
        .offset:         24
        .size:           8
        .value_kind:     global_buffer
      - .actual_access:  read_only
        .address_space:  global
        .offset:         32
        .size:           8
        .value_kind:     global_buffer
      - .actual_access:  read_only
        .address_space:  global
        .offset:         40
        .size:           8
        .value_kind:     global_buffer
      - .actual_access:  read_only
        .address_space:  global
        .offset:         48
        .size:           8
        .value_kind:     global_buffer
      - .actual_access:  read_only
        .address_space:  global
        .offset:         56
        .size:           8
        .value_kind:     global_buffer
      - .actual_access:  read_only
        .address_space:  global
        .offset:         64
        .size:           8
        .value_kind:     global_buffer
      - .offset:         72
        .size:           8
        .value_kind:     by_value
      - .address_space:  global
        .offset:         80
        .size:           8
        .value_kind:     global_buffer
      - .offset:         88
        .size:           4
        .value_kind:     by_value
      - .offset:         92
        .size:           1
        .value_kind:     by_value
    .group_segment_fixed_size: 2704
    .kernarg_segment_align: 8
    .kernarg_segment_size: 96
    .language:       OpenCL C
    .language_version:
      - 2
      - 0
    .max_flat_workgroup_size: 676
    .name:           _ZN9rocsparseL20bsrxmvn_17_32_kernelILj26EfiiDF16_DF16_fEEvT2_20rocsparse_direction_NS_24const_host_device_scalarIT0_EES1_PKS1_PKT1_SA_S7_PKT3_PKT4_S5_PT5_21rocsparse_index_base_b
    .private_segment_fixed_size: 0
    .sgpr_count:     20
    .sgpr_spill_count: 0
    .symbol:         _ZN9rocsparseL20bsrxmvn_17_32_kernelILj26EfiiDF16_DF16_fEEvT2_20rocsparse_direction_NS_24const_host_device_scalarIT0_EES1_PKS1_PKT1_SA_S7_PKT3_PKT4_S5_PT5_21rocsparse_index_base_b.kd
    .uniform_work_group_size: 1
    .uses_dynamic_stack: false
    .vgpr_count:     10
    .vgpr_spill_count: 0
    .wavefront_size: 32
    .workgroup_processor_mode: 1
  - .args:
      - .offset:         0
        .size:           4
        .value_kind:     by_value
      - .offset:         4
        .size:           4
        .value_kind:     by_value
      - .offset:         8
        .size:           8
        .value_kind:     by_value
      - .offset:         16
        .size:           4
        .value_kind:     by_value
      - .actual_access:  read_only
        .address_space:  global
        .offset:         24
        .size:           8
        .value_kind:     global_buffer
      - .actual_access:  read_only
        .address_space:  global
        .offset:         32
        .size:           8
        .value_kind:     global_buffer
      - .actual_access:  read_only
        .address_space:  global
        .offset:         40
        .size:           8
        .value_kind:     global_buffer
      - .actual_access:  read_only
        .address_space:  global
        .offset:         48
        .size:           8
        .value_kind:     global_buffer
      - .actual_access:  read_only
        .address_space:  global
        .offset:         56
        .size:           8
        .value_kind:     global_buffer
      - .actual_access:  read_only
        .address_space:  global
        .offset:         64
        .size:           8
        .value_kind:     global_buffer
      - .offset:         72
        .size:           8
        .value_kind:     by_value
      - .address_space:  global
        .offset:         80
        .size:           8
        .value_kind:     global_buffer
      - .offset:         88
        .size:           4
        .value_kind:     by_value
      - .offset:         92
        .size:           1
        .value_kind:     by_value
    .group_segment_fixed_size: 2916
    .kernarg_segment_align: 8
    .kernarg_segment_size: 96
    .language:       OpenCL C
    .language_version:
      - 2
      - 0
    .max_flat_workgroup_size: 729
    .name:           _ZN9rocsparseL20bsrxmvn_17_32_kernelILj27EfiiDF16_DF16_fEEvT2_20rocsparse_direction_NS_24const_host_device_scalarIT0_EES1_PKS1_PKT1_SA_S7_PKT3_PKT4_S5_PT5_21rocsparse_index_base_b
    .private_segment_fixed_size: 0
    .sgpr_count:     20
    .sgpr_spill_count: 0
    .symbol:         _ZN9rocsparseL20bsrxmvn_17_32_kernelILj27EfiiDF16_DF16_fEEvT2_20rocsparse_direction_NS_24const_host_device_scalarIT0_EES1_PKS1_PKT1_SA_S7_PKT3_PKT4_S5_PT5_21rocsparse_index_base_b.kd
    .uniform_work_group_size: 1
    .uses_dynamic_stack: false
    .vgpr_count:     10
    .vgpr_spill_count: 0
    .wavefront_size: 32
    .workgroup_processor_mode: 1
  - .args:
      - .offset:         0
        .size:           4
        .value_kind:     by_value
      - .offset:         4
        .size:           4
        .value_kind:     by_value
      - .offset:         8
        .size:           8
        .value_kind:     by_value
      - .offset:         16
        .size:           4
        .value_kind:     by_value
      - .actual_access:  read_only
        .address_space:  global
        .offset:         24
        .size:           8
        .value_kind:     global_buffer
      - .actual_access:  read_only
        .address_space:  global
        .offset:         32
        .size:           8
        .value_kind:     global_buffer
      - .actual_access:  read_only
        .address_space:  global
        .offset:         40
        .size:           8
        .value_kind:     global_buffer
      - .actual_access:  read_only
        .address_space:  global
        .offset:         48
        .size:           8
        .value_kind:     global_buffer
      - .actual_access:  read_only
        .address_space:  global
        .offset:         56
        .size:           8
        .value_kind:     global_buffer
      - .actual_access:  read_only
        .address_space:  global
        .offset:         64
        .size:           8
        .value_kind:     global_buffer
      - .offset:         72
        .size:           8
        .value_kind:     by_value
      - .address_space:  global
        .offset:         80
        .size:           8
        .value_kind:     global_buffer
      - .offset:         88
        .size:           4
        .value_kind:     by_value
      - .offset:         92
        .size:           1
        .value_kind:     by_value
    .group_segment_fixed_size: 3136
    .kernarg_segment_align: 8
    .kernarg_segment_size: 96
    .language:       OpenCL C
    .language_version:
      - 2
      - 0
    .max_flat_workgroup_size: 784
    .name:           _ZN9rocsparseL20bsrxmvn_17_32_kernelILj28EfiiDF16_DF16_fEEvT2_20rocsparse_direction_NS_24const_host_device_scalarIT0_EES1_PKS1_PKT1_SA_S7_PKT3_PKT4_S5_PT5_21rocsparse_index_base_b
    .private_segment_fixed_size: 0
    .sgpr_count:     20
    .sgpr_spill_count: 0
    .symbol:         _ZN9rocsparseL20bsrxmvn_17_32_kernelILj28EfiiDF16_DF16_fEEvT2_20rocsparse_direction_NS_24const_host_device_scalarIT0_EES1_PKS1_PKT1_SA_S7_PKT3_PKT4_S5_PT5_21rocsparse_index_base_b.kd
    .uniform_work_group_size: 1
    .uses_dynamic_stack: false
    .vgpr_count:     10
    .vgpr_spill_count: 0
    .wavefront_size: 32
    .workgroup_processor_mode: 1
  - .args:
      - .offset:         0
        .size:           4
        .value_kind:     by_value
      - .offset:         4
        .size:           4
        .value_kind:     by_value
      - .offset:         8
        .size:           8
        .value_kind:     by_value
      - .offset:         16
        .size:           4
        .value_kind:     by_value
      - .actual_access:  read_only
        .address_space:  global
        .offset:         24
        .size:           8
        .value_kind:     global_buffer
      - .actual_access:  read_only
        .address_space:  global
        .offset:         32
        .size:           8
        .value_kind:     global_buffer
      - .actual_access:  read_only
        .address_space:  global
        .offset:         40
        .size:           8
        .value_kind:     global_buffer
      - .actual_access:  read_only
        .address_space:  global
        .offset:         48
        .size:           8
        .value_kind:     global_buffer
      - .actual_access:  read_only
        .address_space:  global
        .offset:         56
        .size:           8
        .value_kind:     global_buffer
      - .actual_access:  read_only
        .address_space:  global
        .offset:         64
        .size:           8
        .value_kind:     global_buffer
      - .offset:         72
        .size:           8
        .value_kind:     by_value
      - .address_space:  global
        .offset:         80
        .size:           8
        .value_kind:     global_buffer
      - .offset:         88
        .size:           4
        .value_kind:     by_value
      - .offset:         92
        .size:           1
        .value_kind:     by_value
    .group_segment_fixed_size: 3364
    .kernarg_segment_align: 8
    .kernarg_segment_size: 96
    .language:       OpenCL C
    .language_version:
      - 2
      - 0
    .max_flat_workgroup_size: 841
    .name:           _ZN9rocsparseL20bsrxmvn_17_32_kernelILj29EfiiDF16_DF16_fEEvT2_20rocsparse_direction_NS_24const_host_device_scalarIT0_EES1_PKS1_PKT1_SA_S7_PKT3_PKT4_S5_PT5_21rocsparse_index_base_b
    .private_segment_fixed_size: 0
    .sgpr_count:     20
    .sgpr_spill_count: 0
    .symbol:         _ZN9rocsparseL20bsrxmvn_17_32_kernelILj29EfiiDF16_DF16_fEEvT2_20rocsparse_direction_NS_24const_host_device_scalarIT0_EES1_PKS1_PKT1_SA_S7_PKT3_PKT4_S5_PT5_21rocsparse_index_base_b.kd
    .uniform_work_group_size: 1
    .uses_dynamic_stack: false
    .vgpr_count:     10
    .vgpr_spill_count: 0
    .wavefront_size: 32
    .workgroup_processor_mode: 1
  - .args:
      - .offset:         0
        .size:           4
        .value_kind:     by_value
      - .offset:         4
        .size:           4
        .value_kind:     by_value
      - .offset:         8
        .size:           8
        .value_kind:     by_value
      - .offset:         16
        .size:           4
        .value_kind:     by_value
      - .actual_access:  read_only
        .address_space:  global
        .offset:         24
        .size:           8
        .value_kind:     global_buffer
      - .actual_access:  read_only
        .address_space:  global
        .offset:         32
        .size:           8
        .value_kind:     global_buffer
      - .actual_access:  read_only
        .address_space:  global
        .offset:         40
        .size:           8
        .value_kind:     global_buffer
      - .actual_access:  read_only
        .address_space:  global
        .offset:         48
        .size:           8
        .value_kind:     global_buffer
      - .actual_access:  read_only
        .address_space:  global
        .offset:         56
        .size:           8
        .value_kind:     global_buffer
      - .actual_access:  read_only
        .address_space:  global
        .offset:         64
        .size:           8
        .value_kind:     global_buffer
      - .offset:         72
        .size:           8
        .value_kind:     by_value
      - .address_space:  global
        .offset:         80
        .size:           8
        .value_kind:     global_buffer
      - .offset:         88
        .size:           4
        .value_kind:     by_value
      - .offset:         92
        .size:           1
        .value_kind:     by_value
    .group_segment_fixed_size: 3600
    .kernarg_segment_align: 8
    .kernarg_segment_size: 96
    .language:       OpenCL C
    .language_version:
      - 2
      - 0
    .max_flat_workgroup_size: 900
    .name:           _ZN9rocsparseL20bsrxmvn_17_32_kernelILj30EfiiDF16_DF16_fEEvT2_20rocsparse_direction_NS_24const_host_device_scalarIT0_EES1_PKS1_PKT1_SA_S7_PKT3_PKT4_S5_PT5_21rocsparse_index_base_b
    .private_segment_fixed_size: 0
    .sgpr_count:     20
    .sgpr_spill_count: 0
    .symbol:         _ZN9rocsparseL20bsrxmvn_17_32_kernelILj30EfiiDF16_DF16_fEEvT2_20rocsparse_direction_NS_24const_host_device_scalarIT0_EES1_PKS1_PKT1_SA_S7_PKT3_PKT4_S5_PT5_21rocsparse_index_base_b.kd
    .uniform_work_group_size: 1
    .uses_dynamic_stack: false
    .vgpr_count:     10
    .vgpr_spill_count: 0
    .wavefront_size: 32
    .workgroup_processor_mode: 1
  - .args:
      - .offset:         0
        .size:           4
        .value_kind:     by_value
      - .offset:         4
        .size:           4
        .value_kind:     by_value
      - .offset:         8
        .size:           8
        .value_kind:     by_value
      - .offset:         16
        .size:           4
        .value_kind:     by_value
      - .actual_access:  read_only
        .address_space:  global
        .offset:         24
        .size:           8
        .value_kind:     global_buffer
      - .actual_access:  read_only
        .address_space:  global
        .offset:         32
        .size:           8
        .value_kind:     global_buffer
      - .actual_access:  read_only
        .address_space:  global
        .offset:         40
        .size:           8
        .value_kind:     global_buffer
      - .actual_access:  read_only
        .address_space:  global
        .offset:         48
        .size:           8
        .value_kind:     global_buffer
      - .actual_access:  read_only
        .address_space:  global
        .offset:         56
        .size:           8
        .value_kind:     global_buffer
      - .actual_access:  read_only
        .address_space:  global
        .offset:         64
        .size:           8
        .value_kind:     global_buffer
      - .offset:         72
        .size:           8
        .value_kind:     by_value
      - .address_space:  global
        .offset:         80
        .size:           8
        .value_kind:     global_buffer
      - .offset:         88
        .size:           4
        .value_kind:     by_value
      - .offset:         92
        .size:           1
        .value_kind:     by_value
    .group_segment_fixed_size: 3844
    .kernarg_segment_align: 8
    .kernarg_segment_size: 96
    .language:       OpenCL C
    .language_version:
      - 2
      - 0
    .max_flat_workgroup_size: 961
    .name:           _ZN9rocsparseL20bsrxmvn_17_32_kernelILj31EfiiDF16_DF16_fEEvT2_20rocsparse_direction_NS_24const_host_device_scalarIT0_EES1_PKS1_PKT1_SA_S7_PKT3_PKT4_S5_PT5_21rocsparse_index_base_b
    .private_segment_fixed_size: 0
    .sgpr_count:     20
    .sgpr_spill_count: 0
    .symbol:         _ZN9rocsparseL20bsrxmvn_17_32_kernelILj31EfiiDF16_DF16_fEEvT2_20rocsparse_direction_NS_24const_host_device_scalarIT0_EES1_PKS1_PKT1_SA_S7_PKT3_PKT4_S5_PT5_21rocsparse_index_base_b.kd
    .uniform_work_group_size: 1
    .uses_dynamic_stack: false
    .vgpr_count:     10
    .vgpr_spill_count: 0
    .wavefront_size: 32
    .workgroup_processor_mode: 1
  - .args:
      - .offset:         0
        .size:           4
        .value_kind:     by_value
      - .offset:         4
        .size:           4
        .value_kind:     by_value
      - .offset:         8
        .size:           8
        .value_kind:     by_value
      - .offset:         16
        .size:           4
        .value_kind:     by_value
      - .actual_access:  read_only
        .address_space:  global
        .offset:         24
        .size:           8
        .value_kind:     global_buffer
      - .actual_access:  read_only
        .address_space:  global
        .offset:         32
        .size:           8
        .value_kind:     global_buffer
      - .actual_access:  read_only
        .address_space:  global
        .offset:         40
        .size:           8
        .value_kind:     global_buffer
      - .actual_access:  read_only
        .address_space:  global
        .offset:         48
        .size:           8
        .value_kind:     global_buffer
      - .actual_access:  read_only
        .address_space:  global
        .offset:         56
        .size:           8
        .value_kind:     global_buffer
      - .actual_access:  read_only
        .address_space:  global
        .offset:         64
        .size:           8
        .value_kind:     global_buffer
      - .offset:         72
        .size:           8
        .value_kind:     by_value
      - .address_space:  global
        .offset:         80
        .size:           8
        .value_kind:     global_buffer
      - .offset:         88
        .size:           4
        .value_kind:     by_value
      - .offset:         92
        .size:           1
        .value_kind:     by_value
    .group_segment_fixed_size: 4096
    .kernarg_segment_align: 8
    .kernarg_segment_size: 96
    .language:       OpenCL C
    .language_version:
      - 2
      - 0
    .max_flat_workgroup_size: 1024
    .name:           _ZN9rocsparseL20bsrxmvn_17_32_kernelILj32EfiiDF16_DF16_fEEvT2_20rocsparse_direction_NS_24const_host_device_scalarIT0_EES1_PKS1_PKT1_SA_S7_PKT3_PKT4_S5_PT5_21rocsparse_index_base_b
    .private_segment_fixed_size: 0
    .sgpr_count:     24
    .sgpr_spill_count: 0
    .symbol:         _ZN9rocsparseL20bsrxmvn_17_32_kernelILj32EfiiDF16_DF16_fEEvT2_20rocsparse_direction_NS_24const_host_device_scalarIT0_EES1_PKS1_PKT1_SA_S7_PKT3_PKT4_S5_PT5_21rocsparse_index_base_b.kd
    .uniform_work_group_size: 1
    .uses_dynamic_stack: false
    .vgpr_count:     9
    .vgpr_spill_count: 0
    .wavefront_size: 32
    .workgroup_processor_mode: 1
  - .args:
      - .offset:         0
        .size:           4
        .value_kind:     by_value
      - .offset:         4
        .size:           4
        .value_kind:     by_value
      - .offset:         8
        .size:           8
        .value_kind:     by_value
      - .offset:         16
        .size:           4
        .value_kind:     by_value
      - .actual_access:  read_only
        .address_space:  global
        .offset:         24
        .size:           8
        .value_kind:     global_buffer
      - .actual_access:  read_only
        .address_space:  global
        .offset:         32
        .size:           8
        .value_kind:     global_buffer
      - .actual_access:  read_only
        .address_space:  global
        .offset:         40
        .size:           8
        .value_kind:     global_buffer
      - .actual_access:  read_only
        .address_space:  global
        .offset:         48
        .size:           8
        .value_kind:     global_buffer
      - .actual_access:  read_only
        .address_space:  global
        .offset:         56
        .size:           8
        .value_kind:     global_buffer
      - .actual_access:  read_only
        .address_space:  global
        .offset:         64
        .size:           8
        .value_kind:     global_buffer
      - .offset:         72
        .size:           8
        .value_kind:     by_value
      - .address_space:  global
        .offset:         80
        .size:           8
        .value_kind:     global_buffer
      - .offset:         88
        .size:           4
        .value_kind:     by_value
      - .offset:         92
        .size:           1
        .value_kind:     by_value
    .group_segment_fixed_size: 1156
    .kernarg_segment_align: 8
    .kernarg_segment_size: 96
    .language:       OpenCL C
    .language_version:
      - 2
      - 0
    .max_flat_workgroup_size: 289
    .name:           _ZN9rocsparseL20bsrxmvn_17_32_kernelILj17EfliDF16_DF16_fEEvT2_20rocsparse_direction_NS_24const_host_device_scalarIT0_EES1_PKS1_PKT1_SA_S7_PKT3_PKT4_S5_PT5_21rocsparse_index_base_b
    .private_segment_fixed_size: 0
    .sgpr_count:     26
    .sgpr_spill_count: 0
    .symbol:         _ZN9rocsparseL20bsrxmvn_17_32_kernelILj17EfliDF16_DF16_fEEvT2_20rocsparse_direction_NS_24const_host_device_scalarIT0_EES1_PKS1_PKT1_SA_S7_PKT3_PKT4_S5_PT5_21rocsparse_index_base_b.kd
    .uniform_work_group_size: 1
    .uses_dynamic_stack: false
    .vgpr_count:     12
    .vgpr_spill_count: 0
    .wavefront_size: 32
    .workgroup_processor_mode: 1
  - .args:
      - .offset:         0
        .size:           4
        .value_kind:     by_value
      - .offset:         4
        .size:           4
        .value_kind:     by_value
      - .offset:         8
        .size:           8
        .value_kind:     by_value
      - .offset:         16
        .size:           4
        .value_kind:     by_value
      - .actual_access:  read_only
        .address_space:  global
        .offset:         24
        .size:           8
        .value_kind:     global_buffer
      - .actual_access:  read_only
        .address_space:  global
        .offset:         32
        .size:           8
        .value_kind:     global_buffer
      - .actual_access:  read_only
        .address_space:  global
        .offset:         40
        .size:           8
        .value_kind:     global_buffer
      - .actual_access:  read_only
        .address_space:  global
        .offset:         48
        .size:           8
        .value_kind:     global_buffer
      - .actual_access:  read_only
        .address_space:  global
        .offset:         56
        .size:           8
        .value_kind:     global_buffer
      - .actual_access:  read_only
        .address_space:  global
        .offset:         64
        .size:           8
        .value_kind:     global_buffer
      - .offset:         72
        .size:           8
        .value_kind:     by_value
      - .address_space:  global
        .offset:         80
        .size:           8
        .value_kind:     global_buffer
      - .offset:         88
        .size:           4
        .value_kind:     by_value
      - .offset:         92
        .size:           1
        .value_kind:     by_value
    .group_segment_fixed_size: 1296
    .kernarg_segment_align: 8
    .kernarg_segment_size: 96
    .language:       OpenCL C
    .language_version:
      - 2
      - 0
    .max_flat_workgroup_size: 324
    .name:           _ZN9rocsparseL20bsrxmvn_17_32_kernelILj18EfliDF16_DF16_fEEvT2_20rocsparse_direction_NS_24const_host_device_scalarIT0_EES1_PKS1_PKT1_SA_S7_PKT3_PKT4_S5_PT5_21rocsparse_index_base_b
    .private_segment_fixed_size: 0
    .sgpr_count:     26
    .sgpr_spill_count: 0
    .symbol:         _ZN9rocsparseL20bsrxmvn_17_32_kernelILj18EfliDF16_DF16_fEEvT2_20rocsparse_direction_NS_24const_host_device_scalarIT0_EES1_PKS1_PKT1_SA_S7_PKT3_PKT4_S5_PT5_21rocsparse_index_base_b.kd
    .uniform_work_group_size: 1
    .uses_dynamic_stack: false
    .vgpr_count:     12
    .vgpr_spill_count: 0
    .wavefront_size: 32
    .workgroup_processor_mode: 1
  - .args:
      - .offset:         0
        .size:           4
        .value_kind:     by_value
      - .offset:         4
        .size:           4
        .value_kind:     by_value
      - .offset:         8
        .size:           8
        .value_kind:     by_value
      - .offset:         16
        .size:           4
        .value_kind:     by_value
      - .actual_access:  read_only
        .address_space:  global
        .offset:         24
        .size:           8
        .value_kind:     global_buffer
      - .actual_access:  read_only
        .address_space:  global
        .offset:         32
        .size:           8
        .value_kind:     global_buffer
      - .actual_access:  read_only
        .address_space:  global
        .offset:         40
        .size:           8
        .value_kind:     global_buffer
      - .actual_access:  read_only
        .address_space:  global
        .offset:         48
        .size:           8
        .value_kind:     global_buffer
      - .actual_access:  read_only
        .address_space:  global
        .offset:         56
        .size:           8
        .value_kind:     global_buffer
      - .actual_access:  read_only
        .address_space:  global
        .offset:         64
        .size:           8
        .value_kind:     global_buffer
      - .offset:         72
        .size:           8
        .value_kind:     by_value
      - .address_space:  global
        .offset:         80
        .size:           8
        .value_kind:     global_buffer
      - .offset:         88
        .size:           4
        .value_kind:     by_value
      - .offset:         92
        .size:           1
        .value_kind:     by_value
    .group_segment_fixed_size: 1444
    .kernarg_segment_align: 8
    .kernarg_segment_size: 96
    .language:       OpenCL C
    .language_version:
      - 2
      - 0
    .max_flat_workgroup_size: 361
    .name:           _ZN9rocsparseL20bsrxmvn_17_32_kernelILj19EfliDF16_DF16_fEEvT2_20rocsparse_direction_NS_24const_host_device_scalarIT0_EES1_PKS1_PKT1_SA_S7_PKT3_PKT4_S5_PT5_21rocsparse_index_base_b
    .private_segment_fixed_size: 0
    .sgpr_count:     26
    .sgpr_spill_count: 0
    .symbol:         _ZN9rocsparseL20bsrxmvn_17_32_kernelILj19EfliDF16_DF16_fEEvT2_20rocsparse_direction_NS_24const_host_device_scalarIT0_EES1_PKS1_PKT1_SA_S7_PKT3_PKT4_S5_PT5_21rocsparse_index_base_b.kd
    .uniform_work_group_size: 1
    .uses_dynamic_stack: false
    .vgpr_count:     12
    .vgpr_spill_count: 0
    .wavefront_size: 32
    .workgroup_processor_mode: 1
  - .args:
      - .offset:         0
        .size:           4
        .value_kind:     by_value
      - .offset:         4
        .size:           4
        .value_kind:     by_value
      - .offset:         8
        .size:           8
        .value_kind:     by_value
      - .offset:         16
        .size:           4
        .value_kind:     by_value
      - .actual_access:  read_only
        .address_space:  global
        .offset:         24
        .size:           8
        .value_kind:     global_buffer
      - .actual_access:  read_only
        .address_space:  global
        .offset:         32
        .size:           8
        .value_kind:     global_buffer
      - .actual_access:  read_only
        .address_space:  global
        .offset:         40
        .size:           8
        .value_kind:     global_buffer
      - .actual_access:  read_only
        .address_space:  global
        .offset:         48
        .size:           8
        .value_kind:     global_buffer
      - .actual_access:  read_only
        .address_space:  global
        .offset:         56
        .size:           8
        .value_kind:     global_buffer
      - .actual_access:  read_only
        .address_space:  global
        .offset:         64
        .size:           8
        .value_kind:     global_buffer
      - .offset:         72
        .size:           8
        .value_kind:     by_value
      - .address_space:  global
        .offset:         80
        .size:           8
        .value_kind:     global_buffer
      - .offset:         88
        .size:           4
        .value_kind:     by_value
      - .offset:         92
        .size:           1
        .value_kind:     by_value
    .group_segment_fixed_size: 1600
    .kernarg_segment_align: 8
    .kernarg_segment_size: 96
    .language:       OpenCL C
    .language_version:
      - 2
      - 0
    .max_flat_workgroup_size: 400
    .name:           _ZN9rocsparseL20bsrxmvn_17_32_kernelILj20EfliDF16_DF16_fEEvT2_20rocsparse_direction_NS_24const_host_device_scalarIT0_EES1_PKS1_PKT1_SA_S7_PKT3_PKT4_S5_PT5_21rocsparse_index_base_b
    .private_segment_fixed_size: 0
    .sgpr_count:     26
    .sgpr_spill_count: 0
    .symbol:         _ZN9rocsparseL20bsrxmvn_17_32_kernelILj20EfliDF16_DF16_fEEvT2_20rocsparse_direction_NS_24const_host_device_scalarIT0_EES1_PKS1_PKT1_SA_S7_PKT3_PKT4_S5_PT5_21rocsparse_index_base_b.kd
    .uniform_work_group_size: 1
    .uses_dynamic_stack: false
    .vgpr_count:     12
    .vgpr_spill_count: 0
    .wavefront_size: 32
    .workgroup_processor_mode: 1
  - .args:
      - .offset:         0
        .size:           4
        .value_kind:     by_value
      - .offset:         4
        .size:           4
        .value_kind:     by_value
      - .offset:         8
        .size:           8
        .value_kind:     by_value
      - .offset:         16
        .size:           4
        .value_kind:     by_value
      - .actual_access:  read_only
        .address_space:  global
        .offset:         24
        .size:           8
        .value_kind:     global_buffer
      - .actual_access:  read_only
        .address_space:  global
        .offset:         32
        .size:           8
        .value_kind:     global_buffer
      - .actual_access:  read_only
        .address_space:  global
        .offset:         40
        .size:           8
        .value_kind:     global_buffer
      - .actual_access:  read_only
        .address_space:  global
        .offset:         48
        .size:           8
        .value_kind:     global_buffer
      - .actual_access:  read_only
        .address_space:  global
        .offset:         56
        .size:           8
        .value_kind:     global_buffer
      - .actual_access:  read_only
        .address_space:  global
        .offset:         64
        .size:           8
        .value_kind:     global_buffer
      - .offset:         72
        .size:           8
        .value_kind:     by_value
      - .address_space:  global
        .offset:         80
        .size:           8
        .value_kind:     global_buffer
      - .offset:         88
        .size:           4
        .value_kind:     by_value
      - .offset:         92
        .size:           1
        .value_kind:     by_value
    .group_segment_fixed_size: 1764
    .kernarg_segment_align: 8
    .kernarg_segment_size: 96
    .language:       OpenCL C
    .language_version:
      - 2
      - 0
    .max_flat_workgroup_size: 441
    .name:           _ZN9rocsparseL20bsrxmvn_17_32_kernelILj21EfliDF16_DF16_fEEvT2_20rocsparse_direction_NS_24const_host_device_scalarIT0_EES1_PKS1_PKT1_SA_S7_PKT3_PKT4_S5_PT5_21rocsparse_index_base_b
    .private_segment_fixed_size: 0
    .sgpr_count:     26
    .sgpr_spill_count: 0
    .symbol:         _ZN9rocsparseL20bsrxmvn_17_32_kernelILj21EfliDF16_DF16_fEEvT2_20rocsparse_direction_NS_24const_host_device_scalarIT0_EES1_PKS1_PKT1_SA_S7_PKT3_PKT4_S5_PT5_21rocsparse_index_base_b.kd
    .uniform_work_group_size: 1
    .uses_dynamic_stack: false
    .vgpr_count:     12
    .vgpr_spill_count: 0
    .wavefront_size: 32
    .workgroup_processor_mode: 1
  - .args:
      - .offset:         0
        .size:           4
        .value_kind:     by_value
      - .offset:         4
        .size:           4
        .value_kind:     by_value
      - .offset:         8
        .size:           8
        .value_kind:     by_value
      - .offset:         16
        .size:           4
        .value_kind:     by_value
      - .actual_access:  read_only
        .address_space:  global
        .offset:         24
        .size:           8
        .value_kind:     global_buffer
      - .actual_access:  read_only
        .address_space:  global
        .offset:         32
        .size:           8
        .value_kind:     global_buffer
      - .actual_access:  read_only
        .address_space:  global
        .offset:         40
        .size:           8
        .value_kind:     global_buffer
      - .actual_access:  read_only
        .address_space:  global
        .offset:         48
        .size:           8
        .value_kind:     global_buffer
      - .actual_access:  read_only
        .address_space:  global
        .offset:         56
        .size:           8
        .value_kind:     global_buffer
      - .actual_access:  read_only
        .address_space:  global
        .offset:         64
        .size:           8
        .value_kind:     global_buffer
      - .offset:         72
        .size:           8
        .value_kind:     by_value
      - .address_space:  global
        .offset:         80
        .size:           8
        .value_kind:     global_buffer
      - .offset:         88
        .size:           4
        .value_kind:     by_value
      - .offset:         92
        .size:           1
        .value_kind:     by_value
    .group_segment_fixed_size: 1936
    .kernarg_segment_align: 8
    .kernarg_segment_size: 96
    .language:       OpenCL C
    .language_version:
      - 2
      - 0
    .max_flat_workgroup_size: 484
    .name:           _ZN9rocsparseL20bsrxmvn_17_32_kernelILj22EfliDF16_DF16_fEEvT2_20rocsparse_direction_NS_24const_host_device_scalarIT0_EES1_PKS1_PKT1_SA_S7_PKT3_PKT4_S5_PT5_21rocsparse_index_base_b
    .private_segment_fixed_size: 0
    .sgpr_count:     26
    .sgpr_spill_count: 0
    .symbol:         _ZN9rocsparseL20bsrxmvn_17_32_kernelILj22EfliDF16_DF16_fEEvT2_20rocsparse_direction_NS_24const_host_device_scalarIT0_EES1_PKS1_PKT1_SA_S7_PKT3_PKT4_S5_PT5_21rocsparse_index_base_b.kd
    .uniform_work_group_size: 1
    .uses_dynamic_stack: false
    .vgpr_count:     12
    .vgpr_spill_count: 0
    .wavefront_size: 32
    .workgroup_processor_mode: 1
  - .args:
      - .offset:         0
        .size:           4
        .value_kind:     by_value
      - .offset:         4
        .size:           4
        .value_kind:     by_value
      - .offset:         8
        .size:           8
        .value_kind:     by_value
      - .offset:         16
        .size:           4
        .value_kind:     by_value
      - .actual_access:  read_only
        .address_space:  global
        .offset:         24
        .size:           8
        .value_kind:     global_buffer
      - .actual_access:  read_only
        .address_space:  global
        .offset:         32
        .size:           8
        .value_kind:     global_buffer
      - .actual_access:  read_only
        .address_space:  global
        .offset:         40
        .size:           8
        .value_kind:     global_buffer
      - .actual_access:  read_only
        .address_space:  global
        .offset:         48
        .size:           8
        .value_kind:     global_buffer
      - .actual_access:  read_only
        .address_space:  global
        .offset:         56
        .size:           8
        .value_kind:     global_buffer
      - .actual_access:  read_only
        .address_space:  global
        .offset:         64
        .size:           8
        .value_kind:     global_buffer
      - .offset:         72
        .size:           8
        .value_kind:     by_value
      - .address_space:  global
        .offset:         80
        .size:           8
        .value_kind:     global_buffer
      - .offset:         88
        .size:           4
        .value_kind:     by_value
      - .offset:         92
        .size:           1
        .value_kind:     by_value
    .group_segment_fixed_size: 2116
    .kernarg_segment_align: 8
    .kernarg_segment_size: 96
    .language:       OpenCL C
    .language_version:
      - 2
      - 0
    .max_flat_workgroup_size: 529
    .name:           _ZN9rocsparseL20bsrxmvn_17_32_kernelILj23EfliDF16_DF16_fEEvT2_20rocsparse_direction_NS_24const_host_device_scalarIT0_EES1_PKS1_PKT1_SA_S7_PKT3_PKT4_S5_PT5_21rocsparse_index_base_b
    .private_segment_fixed_size: 0
    .sgpr_count:     26
    .sgpr_spill_count: 0
    .symbol:         _ZN9rocsparseL20bsrxmvn_17_32_kernelILj23EfliDF16_DF16_fEEvT2_20rocsparse_direction_NS_24const_host_device_scalarIT0_EES1_PKS1_PKT1_SA_S7_PKT3_PKT4_S5_PT5_21rocsparse_index_base_b.kd
    .uniform_work_group_size: 1
    .uses_dynamic_stack: false
    .vgpr_count:     12
    .vgpr_spill_count: 0
    .wavefront_size: 32
    .workgroup_processor_mode: 1
  - .args:
      - .offset:         0
        .size:           4
        .value_kind:     by_value
      - .offset:         4
        .size:           4
        .value_kind:     by_value
      - .offset:         8
        .size:           8
        .value_kind:     by_value
      - .offset:         16
        .size:           4
        .value_kind:     by_value
      - .actual_access:  read_only
        .address_space:  global
        .offset:         24
        .size:           8
        .value_kind:     global_buffer
      - .actual_access:  read_only
        .address_space:  global
        .offset:         32
        .size:           8
        .value_kind:     global_buffer
      - .actual_access:  read_only
        .address_space:  global
        .offset:         40
        .size:           8
        .value_kind:     global_buffer
      - .actual_access:  read_only
        .address_space:  global
        .offset:         48
        .size:           8
        .value_kind:     global_buffer
      - .actual_access:  read_only
        .address_space:  global
        .offset:         56
        .size:           8
        .value_kind:     global_buffer
      - .actual_access:  read_only
        .address_space:  global
        .offset:         64
        .size:           8
        .value_kind:     global_buffer
      - .offset:         72
        .size:           8
        .value_kind:     by_value
      - .address_space:  global
        .offset:         80
        .size:           8
        .value_kind:     global_buffer
      - .offset:         88
        .size:           4
        .value_kind:     by_value
      - .offset:         92
        .size:           1
        .value_kind:     by_value
    .group_segment_fixed_size: 2304
    .kernarg_segment_align: 8
    .kernarg_segment_size: 96
    .language:       OpenCL C
    .language_version:
      - 2
      - 0
    .max_flat_workgroup_size: 576
    .name:           _ZN9rocsparseL20bsrxmvn_17_32_kernelILj24EfliDF16_DF16_fEEvT2_20rocsparse_direction_NS_24const_host_device_scalarIT0_EES1_PKS1_PKT1_SA_S7_PKT3_PKT4_S5_PT5_21rocsparse_index_base_b
    .private_segment_fixed_size: 0
    .sgpr_count:     26
    .sgpr_spill_count: 0
    .symbol:         _ZN9rocsparseL20bsrxmvn_17_32_kernelILj24EfliDF16_DF16_fEEvT2_20rocsparse_direction_NS_24const_host_device_scalarIT0_EES1_PKS1_PKT1_SA_S7_PKT3_PKT4_S5_PT5_21rocsparse_index_base_b.kd
    .uniform_work_group_size: 1
    .uses_dynamic_stack: false
    .vgpr_count:     12
    .vgpr_spill_count: 0
    .wavefront_size: 32
    .workgroup_processor_mode: 1
  - .args:
      - .offset:         0
        .size:           4
        .value_kind:     by_value
      - .offset:         4
        .size:           4
        .value_kind:     by_value
      - .offset:         8
        .size:           8
        .value_kind:     by_value
      - .offset:         16
        .size:           4
        .value_kind:     by_value
      - .actual_access:  read_only
        .address_space:  global
        .offset:         24
        .size:           8
        .value_kind:     global_buffer
      - .actual_access:  read_only
        .address_space:  global
        .offset:         32
        .size:           8
        .value_kind:     global_buffer
      - .actual_access:  read_only
        .address_space:  global
        .offset:         40
        .size:           8
        .value_kind:     global_buffer
      - .actual_access:  read_only
        .address_space:  global
        .offset:         48
        .size:           8
        .value_kind:     global_buffer
      - .actual_access:  read_only
        .address_space:  global
        .offset:         56
        .size:           8
        .value_kind:     global_buffer
      - .actual_access:  read_only
        .address_space:  global
        .offset:         64
        .size:           8
        .value_kind:     global_buffer
      - .offset:         72
        .size:           8
        .value_kind:     by_value
      - .address_space:  global
        .offset:         80
        .size:           8
        .value_kind:     global_buffer
      - .offset:         88
        .size:           4
        .value_kind:     by_value
      - .offset:         92
        .size:           1
        .value_kind:     by_value
    .group_segment_fixed_size: 2500
    .kernarg_segment_align: 8
    .kernarg_segment_size: 96
    .language:       OpenCL C
    .language_version:
      - 2
      - 0
    .max_flat_workgroup_size: 625
    .name:           _ZN9rocsparseL20bsrxmvn_17_32_kernelILj25EfliDF16_DF16_fEEvT2_20rocsparse_direction_NS_24const_host_device_scalarIT0_EES1_PKS1_PKT1_SA_S7_PKT3_PKT4_S5_PT5_21rocsparse_index_base_b
    .private_segment_fixed_size: 0
    .sgpr_count:     26
    .sgpr_spill_count: 0
    .symbol:         _ZN9rocsparseL20bsrxmvn_17_32_kernelILj25EfliDF16_DF16_fEEvT2_20rocsparse_direction_NS_24const_host_device_scalarIT0_EES1_PKS1_PKT1_SA_S7_PKT3_PKT4_S5_PT5_21rocsparse_index_base_b.kd
    .uniform_work_group_size: 1
    .uses_dynamic_stack: false
    .vgpr_count:     12
    .vgpr_spill_count: 0
    .wavefront_size: 32
    .workgroup_processor_mode: 1
  - .args:
      - .offset:         0
        .size:           4
        .value_kind:     by_value
      - .offset:         4
        .size:           4
        .value_kind:     by_value
      - .offset:         8
        .size:           8
        .value_kind:     by_value
      - .offset:         16
        .size:           4
        .value_kind:     by_value
      - .actual_access:  read_only
        .address_space:  global
        .offset:         24
        .size:           8
        .value_kind:     global_buffer
      - .actual_access:  read_only
        .address_space:  global
        .offset:         32
        .size:           8
        .value_kind:     global_buffer
      - .actual_access:  read_only
        .address_space:  global
        .offset:         40
        .size:           8
        .value_kind:     global_buffer
      - .actual_access:  read_only
        .address_space:  global
        .offset:         48
        .size:           8
        .value_kind:     global_buffer
      - .actual_access:  read_only
        .address_space:  global
        .offset:         56
        .size:           8
        .value_kind:     global_buffer
      - .actual_access:  read_only
        .address_space:  global
        .offset:         64
        .size:           8
        .value_kind:     global_buffer
      - .offset:         72
        .size:           8
        .value_kind:     by_value
      - .address_space:  global
        .offset:         80
        .size:           8
        .value_kind:     global_buffer
      - .offset:         88
        .size:           4
        .value_kind:     by_value
      - .offset:         92
        .size:           1
        .value_kind:     by_value
    .group_segment_fixed_size: 2704
    .kernarg_segment_align: 8
    .kernarg_segment_size: 96
    .language:       OpenCL C
    .language_version:
      - 2
      - 0
    .max_flat_workgroup_size: 676
    .name:           _ZN9rocsparseL20bsrxmvn_17_32_kernelILj26EfliDF16_DF16_fEEvT2_20rocsparse_direction_NS_24const_host_device_scalarIT0_EES1_PKS1_PKT1_SA_S7_PKT3_PKT4_S5_PT5_21rocsparse_index_base_b
    .private_segment_fixed_size: 0
    .sgpr_count:     26
    .sgpr_spill_count: 0
    .symbol:         _ZN9rocsparseL20bsrxmvn_17_32_kernelILj26EfliDF16_DF16_fEEvT2_20rocsparse_direction_NS_24const_host_device_scalarIT0_EES1_PKS1_PKT1_SA_S7_PKT3_PKT4_S5_PT5_21rocsparse_index_base_b.kd
    .uniform_work_group_size: 1
    .uses_dynamic_stack: false
    .vgpr_count:     12
    .vgpr_spill_count: 0
    .wavefront_size: 32
    .workgroup_processor_mode: 1
  - .args:
      - .offset:         0
        .size:           4
        .value_kind:     by_value
      - .offset:         4
        .size:           4
        .value_kind:     by_value
      - .offset:         8
        .size:           8
        .value_kind:     by_value
      - .offset:         16
        .size:           4
        .value_kind:     by_value
      - .actual_access:  read_only
        .address_space:  global
        .offset:         24
        .size:           8
        .value_kind:     global_buffer
      - .actual_access:  read_only
        .address_space:  global
        .offset:         32
        .size:           8
        .value_kind:     global_buffer
      - .actual_access:  read_only
        .address_space:  global
        .offset:         40
        .size:           8
        .value_kind:     global_buffer
      - .actual_access:  read_only
        .address_space:  global
        .offset:         48
        .size:           8
        .value_kind:     global_buffer
      - .actual_access:  read_only
        .address_space:  global
        .offset:         56
        .size:           8
        .value_kind:     global_buffer
      - .actual_access:  read_only
        .address_space:  global
        .offset:         64
        .size:           8
        .value_kind:     global_buffer
      - .offset:         72
        .size:           8
        .value_kind:     by_value
      - .address_space:  global
        .offset:         80
        .size:           8
        .value_kind:     global_buffer
      - .offset:         88
        .size:           4
        .value_kind:     by_value
      - .offset:         92
        .size:           1
        .value_kind:     by_value
    .group_segment_fixed_size: 2916
    .kernarg_segment_align: 8
    .kernarg_segment_size: 96
    .language:       OpenCL C
    .language_version:
      - 2
      - 0
    .max_flat_workgroup_size: 729
    .name:           _ZN9rocsparseL20bsrxmvn_17_32_kernelILj27EfliDF16_DF16_fEEvT2_20rocsparse_direction_NS_24const_host_device_scalarIT0_EES1_PKS1_PKT1_SA_S7_PKT3_PKT4_S5_PT5_21rocsparse_index_base_b
    .private_segment_fixed_size: 0
    .sgpr_count:     26
    .sgpr_spill_count: 0
    .symbol:         _ZN9rocsparseL20bsrxmvn_17_32_kernelILj27EfliDF16_DF16_fEEvT2_20rocsparse_direction_NS_24const_host_device_scalarIT0_EES1_PKS1_PKT1_SA_S7_PKT3_PKT4_S5_PT5_21rocsparse_index_base_b.kd
    .uniform_work_group_size: 1
    .uses_dynamic_stack: false
    .vgpr_count:     12
    .vgpr_spill_count: 0
    .wavefront_size: 32
    .workgroup_processor_mode: 1
  - .args:
      - .offset:         0
        .size:           4
        .value_kind:     by_value
      - .offset:         4
        .size:           4
        .value_kind:     by_value
      - .offset:         8
        .size:           8
        .value_kind:     by_value
      - .offset:         16
        .size:           4
        .value_kind:     by_value
      - .actual_access:  read_only
        .address_space:  global
        .offset:         24
        .size:           8
        .value_kind:     global_buffer
      - .actual_access:  read_only
        .address_space:  global
        .offset:         32
        .size:           8
        .value_kind:     global_buffer
      - .actual_access:  read_only
        .address_space:  global
        .offset:         40
        .size:           8
        .value_kind:     global_buffer
      - .actual_access:  read_only
        .address_space:  global
        .offset:         48
        .size:           8
        .value_kind:     global_buffer
      - .actual_access:  read_only
        .address_space:  global
        .offset:         56
        .size:           8
        .value_kind:     global_buffer
      - .actual_access:  read_only
        .address_space:  global
        .offset:         64
        .size:           8
        .value_kind:     global_buffer
      - .offset:         72
        .size:           8
        .value_kind:     by_value
      - .address_space:  global
        .offset:         80
        .size:           8
        .value_kind:     global_buffer
      - .offset:         88
        .size:           4
        .value_kind:     by_value
      - .offset:         92
        .size:           1
        .value_kind:     by_value
    .group_segment_fixed_size: 3136
    .kernarg_segment_align: 8
    .kernarg_segment_size: 96
    .language:       OpenCL C
    .language_version:
      - 2
      - 0
    .max_flat_workgroup_size: 784
    .name:           _ZN9rocsparseL20bsrxmvn_17_32_kernelILj28EfliDF16_DF16_fEEvT2_20rocsparse_direction_NS_24const_host_device_scalarIT0_EES1_PKS1_PKT1_SA_S7_PKT3_PKT4_S5_PT5_21rocsparse_index_base_b
    .private_segment_fixed_size: 0
    .sgpr_count:     26
    .sgpr_spill_count: 0
    .symbol:         _ZN9rocsparseL20bsrxmvn_17_32_kernelILj28EfliDF16_DF16_fEEvT2_20rocsparse_direction_NS_24const_host_device_scalarIT0_EES1_PKS1_PKT1_SA_S7_PKT3_PKT4_S5_PT5_21rocsparse_index_base_b.kd
    .uniform_work_group_size: 1
    .uses_dynamic_stack: false
    .vgpr_count:     12
    .vgpr_spill_count: 0
    .wavefront_size: 32
    .workgroup_processor_mode: 1
  - .args:
      - .offset:         0
        .size:           4
        .value_kind:     by_value
      - .offset:         4
        .size:           4
        .value_kind:     by_value
      - .offset:         8
        .size:           8
        .value_kind:     by_value
      - .offset:         16
        .size:           4
        .value_kind:     by_value
      - .actual_access:  read_only
        .address_space:  global
        .offset:         24
        .size:           8
        .value_kind:     global_buffer
      - .actual_access:  read_only
        .address_space:  global
        .offset:         32
        .size:           8
        .value_kind:     global_buffer
      - .actual_access:  read_only
        .address_space:  global
        .offset:         40
        .size:           8
        .value_kind:     global_buffer
      - .actual_access:  read_only
        .address_space:  global
        .offset:         48
        .size:           8
        .value_kind:     global_buffer
      - .actual_access:  read_only
        .address_space:  global
        .offset:         56
        .size:           8
        .value_kind:     global_buffer
      - .actual_access:  read_only
        .address_space:  global
        .offset:         64
        .size:           8
        .value_kind:     global_buffer
      - .offset:         72
        .size:           8
        .value_kind:     by_value
      - .address_space:  global
        .offset:         80
        .size:           8
        .value_kind:     global_buffer
      - .offset:         88
        .size:           4
        .value_kind:     by_value
      - .offset:         92
        .size:           1
        .value_kind:     by_value
    .group_segment_fixed_size: 3364
    .kernarg_segment_align: 8
    .kernarg_segment_size: 96
    .language:       OpenCL C
    .language_version:
      - 2
      - 0
    .max_flat_workgroup_size: 841
    .name:           _ZN9rocsparseL20bsrxmvn_17_32_kernelILj29EfliDF16_DF16_fEEvT2_20rocsparse_direction_NS_24const_host_device_scalarIT0_EES1_PKS1_PKT1_SA_S7_PKT3_PKT4_S5_PT5_21rocsparse_index_base_b
    .private_segment_fixed_size: 0
    .sgpr_count:     26
    .sgpr_spill_count: 0
    .symbol:         _ZN9rocsparseL20bsrxmvn_17_32_kernelILj29EfliDF16_DF16_fEEvT2_20rocsparse_direction_NS_24const_host_device_scalarIT0_EES1_PKS1_PKT1_SA_S7_PKT3_PKT4_S5_PT5_21rocsparse_index_base_b.kd
    .uniform_work_group_size: 1
    .uses_dynamic_stack: false
    .vgpr_count:     12
    .vgpr_spill_count: 0
    .wavefront_size: 32
    .workgroup_processor_mode: 1
  - .args:
      - .offset:         0
        .size:           4
        .value_kind:     by_value
      - .offset:         4
        .size:           4
        .value_kind:     by_value
      - .offset:         8
        .size:           8
        .value_kind:     by_value
      - .offset:         16
        .size:           4
        .value_kind:     by_value
      - .actual_access:  read_only
        .address_space:  global
        .offset:         24
        .size:           8
        .value_kind:     global_buffer
      - .actual_access:  read_only
        .address_space:  global
        .offset:         32
        .size:           8
        .value_kind:     global_buffer
      - .actual_access:  read_only
        .address_space:  global
        .offset:         40
        .size:           8
        .value_kind:     global_buffer
      - .actual_access:  read_only
        .address_space:  global
        .offset:         48
        .size:           8
        .value_kind:     global_buffer
      - .actual_access:  read_only
        .address_space:  global
        .offset:         56
        .size:           8
        .value_kind:     global_buffer
      - .actual_access:  read_only
        .address_space:  global
        .offset:         64
        .size:           8
        .value_kind:     global_buffer
      - .offset:         72
        .size:           8
        .value_kind:     by_value
      - .address_space:  global
        .offset:         80
        .size:           8
        .value_kind:     global_buffer
      - .offset:         88
        .size:           4
        .value_kind:     by_value
      - .offset:         92
        .size:           1
        .value_kind:     by_value
    .group_segment_fixed_size: 3600
    .kernarg_segment_align: 8
    .kernarg_segment_size: 96
    .language:       OpenCL C
    .language_version:
      - 2
      - 0
    .max_flat_workgroup_size: 900
    .name:           _ZN9rocsparseL20bsrxmvn_17_32_kernelILj30EfliDF16_DF16_fEEvT2_20rocsparse_direction_NS_24const_host_device_scalarIT0_EES1_PKS1_PKT1_SA_S7_PKT3_PKT4_S5_PT5_21rocsparse_index_base_b
    .private_segment_fixed_size: 0
    .sgpr_count:     26
    .sgpr_spill_count: 0
    .symbol:         _ZN9rocsparseL20bsrxmvn_17_32_kernelILj30EfliDF16_DF16_fEEvT2_20rocsparse_direction_NS_24const_host_device_scalarIT0_EES1_PKS1_PKT1_SA_S7_PKT3_PKT4_S5_PT5_21rocsparse_index_base_b.kd
    .uniform_work_group_size: 1
    .uses_dynamic_stack: false
    .vgpr_count:     12
    .vgpr_spill_count: 0
    .wavefront_size: 32
    .workgroup_processor_mode: 1
  - .args:
      - .offset:         0
        .size:           4
        .value_kind:     by_value
      - .offset:         4
        .size:           4
        .value_kind:     by_value
      - .offset:         8
        .size:           8
        .value_kind:     by_value
      - .offset:         16
        .size:           4
        .value_kind:     by_value
      - .actual_access:  read_only
        .address_space:  global
        .offset:         24
        .size:           8
        .value_kind:     global_buffer
      - .actual_access:  read_only
        .address_space:  global
        .offset:         32
        .size:           8
        .value_kind:     global_buffer
      - .actual_access:  read_only
        .address_space:  global
        .offset:         40
        .size:           8
        .value_kind:     global_buffer
      - .actual_access:  read_only
        .address_space:  global
        .offset:         48
        .size:           8
        .value_kind:     global_buffer
      - .actual_access:  read_only
        .address_space:  global
        .offset:         56
        .size:           8
        .value_kind:     global_buffer
      - .actual_access:  read_only
        .address_space:  global
        .offset:         64
        .size:           8
        .value_kind:     global_buffer
      - .offset:         72
        .size:           8
        .value_kind:     by_value
      - .address_space:  global
        .offset:         80
        .size:           8
        .value_kind:     global_buffer
      - .offset:         88
        .size:           4
        .value_kind:     by_value
      - .offset:         92
        .size:           1
        .value_kind:     by_value
    .group_segment_fixed_size: 3844
    .kernarg_segment_align: 8
    .kernarg_segment_size: 96
    .language:       OpenCL C
    .language_version:
      - 2
      - 0
    .max_flat_workgroup_size: 961
    .name:           _ZN9rocsparseL20bsrxmvn_17_32_kernelILj31EfliDF16_DF16_fEEvT2_20rocsparse_direction_NS_24const_host_device_scalarIT0_EES1_PKS1_PKT1_SA_S7_PKT3_PKT4_S5_PT5_21rocsparse_index_base_b
    .private_segment_fixed_size: 0
    .sgpr_count:     26
    .sgpr_spill_count: 0
    .symbol:         _ZN9rocsparseL20bsrxmvn_17_32_kernelILj31EfliDF16_DF16_fEEvT2_20rocsparse_direction_NS_24const_host_device_scalarIT0_EES1_PKS1_PKT1_SA_S7_PKT3_PKT4_S5_PT5_21rocsparse_index_base_b.kd
    .uniform_work_group_size: 1
    .uses_dynamic_stack: false
    .vgpr_count:     12
    .vgpr_spill_count: 0
    .wavefront_size: 32
    .workgroup_processor_mode: 1
  - .args:
      - .offset:         0
        .size:           4
        .value_kind:     by_value
      - .offset:         4
        .size:           4
        .value_kind:     by_value
      - .offset:         8
        .size:           8
        .value_kind:     by_value
      - .offset:         16
        .size:           4
        .value_kind:     by_value
      - .actual_access:  read_only
        .address_space:  global
        .offset:         24
        .size:           8
        .value_kind:     global_buffer
      - .actual_access:  read_only
        .address_space:  global
        .offset:         32
        .size:           8
        .value_kind:     global_buffer
      - .actual_access:  read_only
        .address_space:  global
        .offset:         40
        .size:           8
        .value_kind:     global_buffer
      - .actual_access:  read_only
        .address_space:  global
        .offset:         48
        .size:           8
        .value_kind:     global_buffer
      - .actual_access:  read_only
        .address_space:  global
        .offset:         56
        .size:           8
        .value_kind:     global_buffer
      - .actual_access:  read_only
        .address_space:  global
        .offset:         64
        .size:           8
        .value_kind:     global_buffer
      - .offset:         72
        .size:           8
        .value_kind:     by_value
      - .address_space:  global
        .offset:         80
        .size:           8
        .value_kind:     global_buffer
      - .offset:         88
        .size:           4
        .value_kind:     by_value
      - .offset:         92
        .size:           1
        .value_kind:     by_value
    .group_segment_fixed_size: 4096
    .kernarg_segment_align: 8
    .kernarg_segment_size: 96
    .language:       OpenCL C
    .language_version:
      - 2
      - 0
    .max_flat_workgroup_size: 1024
    .name:           _ZN9rocsparseL20bsrxmvn_17_32_kernelILj32EfliDF16_DF16_fEEvT2_20rocsparse_direction_NS_24const_host_device_scalarIT0_EES1_PKS1_PKT1_SA_S7_PKT3_PKT4_S5_PT5_21rocsparse_index_base_b
    .private_segment_fixed_size: 0
    .sgpr_count:     30
    .sgpr_spill_count: 0
    .symbol:         _ZN9rocsparseL20bsrxmvn_17_32_kernelILj32EfliDF16_DF16_fEEvT2_20rocsparse_direction_NS_24const_host_device_scalarIT0_EES1_PKS1_PKT1_SA_S7_PKT3_PKT4_S5_PT5_21rocsparse_index_base_b.kd
    .uniform_work_group_size: 1
    .uses_dynamic_stack: false
    .vgpr_count:     9
    .vgpr_spill_count: 0
    .wavefront_size: 32
    .workgroup_processor_mode: 1
  - .args:
      - .offset:         0
        .size:           8
        .value_kind:     by_value
      - .offset:         8
        .size:           4
        .value_kind:     by_value
      - .offset:         16
        .size:           8
        .value_kind:     by_value
      - .offset:         24
        .size:           8
        .value_kind:     by_value
      - .actual_access:  read_only
        .address_space:  global
        .offset:         32
        .size:           8
        .value_kind:     global_buffer
      - .actual_access:  read_only
        .address_space:  global
        .offset:         40
        .size:           8
        .value_kind:     global_buffer
      - .actual_access:  read_only
        .address_space:  global
        .offset:         48
        .size:           8
        .value_kind:     global_buffer
      - .actual_access:  read_only
        .address_space:  global
        .offset:         56
        .size:           8
        .value_kind:     global_buffer
      - .actual_access:  read_only
        .address_space:  global
        .offset:         64
        .size:           8
        .value_kind:     global_buffer
      - .actual_access:  read_only
        .address_space:  global
        .offset:         72
        .size:           8
        .value_kind:     global_buffer
      - .offset:         80
        .size:           8
        .value_kind:     by_value
      - .address_space:  global
        .offset:         88
        .size:           8
        .value_kind:     global_buffer
      - .offset:         96
        .size:           4
        .value_kind:     by_value
      - .offset:         100
        .size:           1
        .value_kind:     by_value
    .group_segment_fixed_size: 1156
    .kernarg_segment_align: 8
    .kernarg_segment_size: 104
    .language:       OpenCL C
    .language_version:
      - 2
      - 0
    .max_flat_workgroup_size: 289
    .name:           _ZN9rocsparseL20bsrxmvn_17_32_kernelILj17EfllDF16_DF16_fEEvT2_20rocsparse_direction_NS_24const_host_device_scalarIT0_EES1_PKS1_PKT1_SA_S7_PKT3_PKT4_S5_PT5_21rocsparse_index_base_b
    .private_segment_fixed_size: 0
    .sgpr_count:     26
    .sgpr_spill_count: 0
    .symbol:         _ZN9rocsparseL20bsrxmvn_17_32_kernelILj17EfllDF16_DF16_fEEvT2_20rocsparse_direction_NS_24const_host_device_scalarIT0_EES1_PKS1_PKT1_SA_S7_PKT3_PKT4_S5_PT5_21rocsparse_index_base_b.kd
    .uniform_work_group_size: 1
    .uses_dynamic_stack: false
    .vgpr_count:     15
    .vgpr_spill_count: 0
    .wavefront_size: 32
    .workgroup_processor_mode: 1
  - .args:
      - .offset:         0
        .size:           8
        .value_kind:     by_value
      - .offset:         8
        .size:           4
        .value_kind:     by_value
      - .offset:         16
        .size:           8
        .value_kind:     by_value
      - .offset:         24
        .size:           8
        .value_kind:     by_value
      - .actual_access:  read_only
        .address_space:  global
        .offset:         32
        .size:           8
        .value_kind:     global_buffer
      - .actual_access:  read_only
        .address_space:  global
        .offset:         40
        .size:           8
        .value_kind:     global_buffer
      - .actual_access:  read_only
        .address_space:  global
        .offset:         48
        .size:           8
        .value_kind:     global_buffer
      - .actual_access:  read_only
        .address_space:  global
        .offset:         56
        .size:           8
        .value_kind:     global_buffer
      - .actual_access:  read_only
        .address_space:  global
        .offset:         64
        .size:           8
        .value_kind:     global_buffer
      - .actual_access:  read_only
        .address_space:  global
        .offset:         72
        .size:           8
        .value_kind:     global_buffer
      - .offset:         80
        .size:           8
        .value_kind:     by_value
      - .address_space:  global
        .offset:         88
        .size:           8
        .value_kind:     global_buffer
      - .offset:         96
        .size:           4
        .value_kind:     by_value
      - .offset:         100
        .size:           1
        .value_kind:     by_value
    .group_segment_fixed_size: 1296
    .kernarg_segment_align: 8
    .kernarg_segment_size: 104
    .language:       OpenCL C
    .language_version:
      - 2
      - 0
    .max_flat_workgroup_size: 324
    .name:           _ZN9rocsparseL20bsrxmvn_17_32_kernelILj18EfllDF16_DF16_fEEvT2_20rocsparse_direction_NS_24const_host_device_scalarIT0_EES1_PKS1_PKT1_SA_S7_PKT3_PKT4_S5_PT5_21rocsparse_index_base_b
    .private_segment_fixed_size: 0
    .sgpr_count:     26
    .sgpr_spill_count: 0
    .symbol:         _ZN9rocsparseL20bsrxmvn_17_32_kernelILj18EfllDF16_DF16_fEEvT2_20rocsparse_direction_NS_24const_host_device_scalarIT0_EES1_PKS1_PKT1_SA_S7_PKT3_PKT4_S5_PT5_21rocsparse_index_base_b.kd
    .uniform_work_group_size: 1
    .uses_dynamic_stack: false
    .vgpr_count:     15
    .vgpr_spill_count: 0
    .wavefront_size: 32
    .workgroup_processor_mode: 1
  - .args:
      - .offset:         0
        .size:           8
        .value_kind:     by_value
      - .offset:         8
        .size:           4
        .value_kind:     by_value
      - .offset:         16
        .size:           8
        .value_kind:     by_value
      - .offset:         24
        .size:           8
        .value_kind:     by_value
      - .actual_access:  read_only
        .address_space:  global
        .offset:         32
        .size:           8
        .value_kind:     global_buffer
      - .actual_access:  read_only
        .address_space:  global
        .offset:         40
        .size:           8
        .value_kind:     global_buffer
      - .actual_access:  read_only
        .address_space:  global
        .offset:         48
        .size:           8
        .value_kind:     global_buffer
      - .actual_access:  read_only
        .address_space:  global
        .offset:         56
        .size:           8
        .value_kind:     global_buffer
      - .actual_access:  read_only
        .address_space:  global
        .offset:         64
        .size:           8
        .value_kind:     global_buffer
      - .actual_access:  read_only
        .address_space:  global
        .offset:         72
        .size:           8
        .value_kind:     global_buffer
      - .offset:         80
        .size:           8
        .value_kind:     by_value
      - .address_space:  global
        .offset:         88
        .size:           8
        .value_kind:     global_buffer
      - .offset:         96
        .size:           4
        .value_kind:     by_value
      - .offset:         100
        .size:           1
        .value_kind:     by_value
    .group_segment_fixed_size: 1444
    .kernarg_segment_align: 8
    .kernarg_segment_size: 104
    .language:       OpenCL C
    .language_version:
      - 2
      - 0
    .max_flat_workgroup_size: 361
    .name:           _ZN9rocsparseL20bsrxmvn_17_32_kernelILj19EfllDF16_DF16_fEEvT2_20rocsparse_direction_NS_24const_host_device_scalarIT0_EES1_PKS1_PKT1_SA_S7_PKT3_PKT4_S5_PT5_21rocsparse_index_base_b
    .private_segment_fixed_size: 0
    .sgpr_count:     26
    .sgpr_spill_count: 0
    .symbol:         _ZN9rocsparseL20bsrxmvn_17_32_kernelILj19EfllDF16_DF16_fEEvT2_20rocsparse_direction_NS_24const_host_device_scalarIT0_EES1_PKS1_PKT1_SA_S7_PKT3_PKT4_S5_PT5_21rocsparse_index_base_b.kd
    .uniform_work_group_size: 1
    .uses_dynamic_stack: false
    .vgpr_count:     15
    .vgpr_spill_count: 0
    .wavefront_size: 32
    .workgroup_processor_mode: 1
  - .args:
      - .offset:         0
        .size:           8
        .value_kind:     by_value
      - .offset:         8
        .size:           4
        .value_kind:     by_value
      - .offset:         16
        .size:           8
        .value_kind:     by_value
      - .offset:         24
        .size:           8
        .value_kind:     by_value
      - .actual_access:  read_only
        .address_space:  global
        .offset:         32
        .size:           8
        .value_kind:     global_buffer
      - .actual_access:  read_only
        .address_space:  global
        .offset:         40
        .size:           8
        .value_kind:     global_buffer
      - .actual_access:  read_only
        .address_space:  global
        .offset:         48
        .size:           8
        .value_kind:     global_buffer
      - .actual_access:  read_only
        .address_space:  global
        .offset:         56
        .size:           8
        .value_kind:     global_buffer
      - .actual_access:  read_only
        .address_space:  global
        .offset:         64
        .size:           8
        .value_kind:     global_buffer
      - .actual_access:  read_only
        .address_space:  global
        .offset:         72
        .size:           8
        .value_kind:     global_buffer
      - .offset:         80
        .size:           8
        .value_kind:     by_value
      - .address_space:  global
        .offset:         88
        .size:           8
        .value_kind:     global_buffer
      - .offset:         96
        .size:           4
        .value_kind:     by_value
      - .offset:         100
        .size:           1
        .value_kind:     by_value
    .group_segment_fixed_size: 1600
    .kernarg_segment_align: 8
    .kernarg_segment_size: 104
    .language:       OpenCL C
    .language_version:
      - 2
      - 0
    .max_flat_workgroup_size: 400
    .name:           _ZN9rocsparseL20bsrxmvn_17_32_kernelILj20EfllDF16_DF16_fEEvT2_20rocsparse_direction_NS_24const_host_device_scalarIT0_EES1_PKS1_PKT1_SA_S7_PKT3_PKT4_S5_PT5_21rocsparse_index_base_b
    .private_segment_fixed_size: 0
    .sgpr_count:     26
    .sgpr_spill_count: 0
    .symbol:         _ZN9rocsparseL20bsrxmvn_17_32_kernelILj20EfllDF16_DF16_fEEvT2_20rocsparse_direction_NS_24const_host_device_scalarIT0_EES1_PKS1_PKT1_SA_S7_PKT3_PKT4_S5_PT5_21rocsparse_index_base_b.kd
    .uniform_work_group_size: 1
    .uses_dynamic_stack: false
    .vgpr_count:     15
    .vgpr_spill_count: 0
    .wavefront_size: 32
    .workgroup_processor_mode: 1
  - .args:
      - .offset:         0
        .size:           8
        .value_kind:     by_value
      - .offset:         8
        .size:           4
        .value_kind:     by_value
      - .offset:         16
        .size:           8
        .value_kind:     by_value
      - .offset:         24
        .size:           8
        .value_kind:     by_value
      - .actual_access:  read_only
        .address_space:  global
        .offset:         32
        .size:           8
        .value_kind:     global_buffer
      - .actual_access:  read_only
        .address_space:  global
        .offset:         40
        .size:           8
        .value_kind:     global_buffer
      - .actual_access:  read_only
        .address_space:  global
        .offset:         48
        .size:           8
        .value_kind:     global_buffer
      - .actual_access:  read_only
        .address_space:  global
        .offset:         56
        .size:           8
        .value_kind:     global_buffer
      - .actual_access:  read_only
        .address_space:  global
        .offset:         64
        .size:           8
        .value_kind:     global_buffer
      - .actual_access:  read_only
        .address_space:  global
        .offset:         72
        .size:           8
        .value_kind:     global_buffer
      - .offset:         80
        .size:           8
        .value_kind:     by_value
      - .address_space:  global
        .offset:         88
        .size:           8
        .value_kind:     global_buffer
      - .offset:         96
        .size:           4
        .value_kind:     by_value
      - .offset:         100
        .size:           1
        .value_kind:     by_value
    .group_segment_fixed_size: 1764
    .kernarg_segment_align: 8
    .kernarg_segment_size: 104
    .language:       OpenCL C
    .language_version:
      - 2
      - 0
    .max_flat_workgroup_size: 441
    .name:           _ZN9rocsparseL20bsrxmvn_17_32_kernelILj21EfllDF16_DF16_fEEvT2_20rocsparse_direction_NS_24const_host_device_scalarIT0_EES1_PKS1_PKT1_SA_S7_PKT3_PKT4_S5_PT5_21rocsparse_index_base_b
    .private_segment_fixed_size: 0
    .sgpr_count:     26
    .sgpr_spill_count: 0
    .symbol:         _ZN9rocsparseL20bsrxmvn_17_32_kernelILj21EfllDF16_DF16_fEEvT2_20rocsparse_direction_NS_24const_host_device_scalarIT0_EES1_PKS1_PKT1_SA_S7_PKT3_PKT4_S5_PT5_21rocsparse_index_base_b.kd
    .uniform_work_group_size: 1
    .uses_dynamic_stack: false
    .vgpr_count:     15
    .vgpr_spill_count: 0
    .wavefront_size: 32
    .workgroup_processor_mode: 1
  - .args:
      - .offset:         0
        .size:           8
        .value_kind:     by_value
      - .offset:         8
        .size:           4
        .value_kind:     by_value
      - .offset:         16
        .size:           8
        .value_kind:     by_value
      - .offset:         24
        .size:           8
        .value_kind:     by_value
      - .actual_access:  read_only
        .address_space:  global
        .offset:         32
        .size:           8
        .value_kind:     global_buffer
      - .actual_access:  read_only
        .address_space:  global
        .offset:         40
        .size:           8
        .value_kind:     global_buffer
      - .actual_access:  read_only
        .address_space:  global
        .offset:         48
        .size:           8
        .value_kind:     global_buffer
      - .actual_access:  read_only
        .address_space:  global
        .offset:         56
        .size:           8
        .value_kind:     global_buffer
      - .actual_access:  read_only
        .address_space:  global
        .offset:         64
        .size:           8
        .value_kind:     global_buffer
      - .actual_access:  read_only
        .address_space:  global
        .offset:         72
        .size:           8
        .value_kind:     global_buffer
      - .offset:         80
        .size:           8
        .value_kind:     by_value
      - .address_space:  global
        .offset:         88
        .size:           8
        .value_kind:     global_buffer
      - .offset:         96
        .size:           4
        .value_kind:     by_value
      - .offset:         100
        .size:           1
        .value_kind:     by_value
    .group_segment_fixed_size: 1936
    .kernarg_segment_align: 8
    .kernarg_segment_size: 104
    .language:       OpenCL C
    .language_version:
      - 2
      - 0
    .max_flat_workgroup_size: 484
    .name:           _ZN9rocsparseL20bsrxmvn_17_32_kernelILj22EfllDF16_DF16_fEEvT2_20rocsparse_direction_NS_24const_host_device_scalarIT0_EES1_PKS1_PKT1_SA_S7_PKT3_PKT4_S5_PT5_21rocsparse_index_base_b
    .private_segment_fixed_size: 0
    .sgpr_count:     26
    .sgpr_spill_count: 0
    .symbol:         _ZN9rocsparseL20bsrxmvn_17_32_kernelILj22EfllDF16_DF16_fEEvT2_20rocsparse_direction_NS_24const_host_device_scalarIT0_EES1_PKS1_PKT1_SA_S7_PKT3_PKT4_S5_PT5_21rocsparse_index_base_b.kd
    .uniform_work_group_size: 1
    .uses_dynamic_stack: false
    .vgpr_count:     15
    .vgpr_spill_count: 0
    .wavefront_size: 32
    .workgroup_processor_mode: 1
  - .args:
      - .offset:         0
        .size:           8
        .value_kind:     by_value
      - .offset:         8
        .size:           4
        .value_kind:     by_value
      - .offset:         16
        .size:           8
        .value_kind:     by_value
      - .offset:         24
        .size:           8
        .value_kind:     by_value
      - .actual_access:  read_only
        .address_space:  global
        .offset:         32
        .size:           8
        .value_kind:     global_buffer
      - .actual_access:  read_only
        .address_space:  global
        .offset:         40
        .size:           8
        .value_kind:     global_buffer
      - .actual_access:  read_only
        .address_space:  global
        .offset:         48
        .size:           8
        .value_kind:     global_buffer
      - .actual_access:  read_only
        .address_space:  global
        .offset:         56
        .size:           8
        .value_kind:     global_buffer
      - .actual_access:  read_only
        .address_space:  global
        .offset:         64
        .size:           8
        .value_kind:     global_buffer
      - .actual_access:  read_only
        .address_space:  global
        .offset:         72
        .size:           8
        .value_kind:     global_buffer
      - .offset:         80
        .size:           8
        .value_kind:     by_value
      - .address_space:  global
        .offset:         88
        .size:           8
        .value_kind:     global_buffer
      - .offset:         96
        .size:           4
        .value_kind:     by_value
      - .offset:         100
        .size:           1
        .value_kind:     by_value
    .group_segment_fixed_size: 2116
    .kernarg_segment_align: 8
    .kernarg_segment_size: 104
    .language:       OpenCL C
    .language_version:
      - 2
      - 0
    .max_flat_workgroup_size: 529
    .name:           _ZN9rocsparseL20bsrxmvn_17_32_kernelILj23EfllDF16_DF16_fEEvT2_20rocsparse_direction_NS_24const_host_device_scalarIT0_EES1_PKS1_PKT1_SA_S7_PKT3_PKT4_S5_PT5_21rocsparse_index_base_b
    .private_segment_fixed_size: 0
    .sgpr_count:     26
    .sgpr_spill_count: 0
    .symbol:         _ZN9rocsparseL20bsrxmvn_17_32_kernelILj23EfllDF16_DF16_fEEvT2_20rocsparse_direction_NS_24const_host_device_scalarIT0_EES1_PKS1_PKT1_SA_S7_PKT3_PKT4_S5_PT5_21rocsparse_index_base_b.kd
    .uniform_work_group_size: 1
    .uses_dynamic_stack: false
    .vgpr_count:     15
    .vgpr_spill_count: 0
    .wavefront_size: 32
    .workgroup_processor_mode: 1
  - .args:
      - .offset:         0
        .size:           8
        .value_kind:     by_value
      - .offset:         8
        .size:           4
        .value_kind:     by_value
      - .offset:         16
        .size:           8
        .value_kind:     by_value
      - .offset:         24
        .size:           8
        .value_kind:     by_value
      - .actual_access:  read_only
        .address_space:  global
        .offset:         32
        .size:           8
        .value_kind:     global_buffer
      - .actual_access:  read_only
        .address_space:  global
        .offset:         40
        .size:           8
        .value_kind:     global_buffer
      - .actual_access:  read_only
        .address_space:  global
        .offset:         48
        .size:           8
        .value_kind:     global_buffer
      - .actual_access:  read_only
        .address_space:  global
        .offset:         56
        .size:           8
        .value_kind:     global_buffer
      - .actual_access:  read_only
        .address_space:  global
        .offset:         64
        .size:           8
        .value_kind:     global_buffer
      - .actual_access:  read_only
        .address_space:  global
        .offset:         72
        .size:           8
        .value_kind:     global_buffer
      - .offset:         80
        .size:           8
        .value_kind:     by_value
      - .address_space:  global
        .offset:         88
        .size:           8
        .value_kind:     global_buffer
      - .offset:         96
        .size:           4
        .value_kind:     by_value
      - .offset:         100
        .size:           1
        .value_kind:     by_value
    .group_segment_fixed_size: 2304
    .kernarg_segment_align: 8
    .kernarg_segment_size: 104
    .language:       OpenCL C
    .language_version:
      - 2
      - 0
    .max_flat_workgroup_size: 576
    .name:           _ZN9rocsparseL20bsrxmvn_17_32_kernelILj24EfllDF16_DF16_fEEvT2_20rocsparse_direction_NS_24const_host_device_scalarIT0_EES1_PKS1_PKT1_SA_S7_PKT3_PKT4_S5_PT5_21rocsparse_index_base_b
    .private_segment_fixed_size: 0
    .sgpr_count:     26
    .sgpr_spill_count: 0
    .symbol:         _ZN9rocsparseL20bsrxmvn_17_32_kernelILj24EfllDF16_DF16_fEEvT2_20rocsparse_direction_NS_24const_host_device_scalarIT0_EES1_PKS1_PKT1_SA_S7_PKT3_PKT4_S5_PT5_21rocsparse_index_base_b.kd
    .uniform_work_group_size: 1
    .uses_dynamic_stack: false
    .vgpr_count:     15
    .vgpr_spill_count: 0
    .wavefront_size: 32
    .workgroup_processor_mode: 1
  - .args:
      - .offset:         0
        .size:           8
        .value_kind:     by_value
      - .offset:         8
        .size:           4
        .value_kind:     by_value
      - .offset:         16
        .size:           8
        .value_kind:     by_value
      - .offset:         24
        .size:           8
        .value_kind:     by_value
      - .actual_access:  read_only
        .address_space:  global
        .offset:         32
        .size:           8
        .value_kind:     global_buffer
      - .actual_access:  read_only
        .address_space:  global
        .offset:         40
        .size:           8
        .value_kind:     global_buffer
      - .actual_access:  read_only
        .address_space:  global
        .offset:         48
        .size:           8
        .value_kind:     global_buffer
      - .actual_access:  read_only
        .address_space:  global
        .offset:         56
        .size:           8
        .value_kind:     global_buffer
      - .actual_access:  read_only
        .address_space:  global
        .offset:         64
        .size:           8
        .value_kind:     global_buffer
      - .actual_access:  read_only
        .address_space:  global
        .offset:         72
        .size:           8
        .value_kind:     global_buffer
      - .offset:         80
        .size:           8
        .value_kind:     by_value
      - .address_space:  global
        .offset:         88
        .size:           8
        .value_kind:     global_buffer
      - .offset:         96
        .size:           4
        .value_kind:     by_value
      - .offset:         100
        .size:           1
        .value_kind:     by_value
    .group_segment_fixed_size: 2500
    .kernarg_segment_align: 8
    .kernarg_segment_size: 104
    .language:       OpenCL C
    .language_version:
      - 2
      - 0
    .max_flat_workgroup_size: 625
    .name:           _ZN9rocsparseL20bsrxmvn_17_32_kernelILj25EfllDF16_DF16_fEEvT2_20rocsparse_direction_NS_24const_host_device_scalarIT0_EES1_PKS1_PKT1_SA_S7_PKT3_PKT4_S5_PT5_21rocsparse_index_base_b
    .private_segment_fixed_size: 0
    .sgpr_count:     26
    .sgpr_spill_count: 0
    .symbol:         _ZN9rocsparseL20bsrxmvn_17_32_kernelILj25EfllDF16_DF16_fEEvT2_20rocsparse_direction_NS_24const_host_device_scalarIT0_EES1_PKS1_PKT1_SA_S7_PKT3_PKT4_S5_PT5_21rocsparse_index_base_b.kd
    .uniform_work_group_size: 1
    .uses_dynamic_stack: false
    .vgpr_count:     15
    .vgpr_spill_count: 0
    .wavefront_size: 32
    .workgroup_processor_mode: 1
  - .args:
      - .offset:         0
        .size:           8
        .value_kind:     by_value
      - .offset:         8
        .size:           4
        .value_kind:     by_value
      - .offset:         16
        .size:           8
        .value_kind:     by_value
      - .offset:         24
        .size:           8
        .value_kind:     by_value
      - .actual_access:  read_only
        .address_space:  global
        .offset:         32
        .size:           8
        .value_kind:     global_buffer
      - .actual_access:  read_only
        .address_space:  global
        .offset:         40
        .size:           8
        .value_kind:     global_buffer
      - .actual_access:  read_only
        .address_space:  global
        .offset:         48
        .size:           8
        .value_kind:     global_buffer
      - .actual_access:  read_only
        .address_space:  global
        .offset:         56
        .size:           8
        .value_kind:     global_buffer
      - .actual_access:  read_only
        .address_space:  global
        .offset:         64
        .size:           8
        .value_kind:     global_buffer
      - .actual_access:  read_only
        .address_space:  global
        .offset:         72
        .size:           8
        .value_kind:     global_buffer
      - .offset:         80
        .size:           8
        .value_kind:     by_value
      - .address_space:  global
        .offset:         88
        .size:           8
        .value_kind:     global_buffer
      - .offset:         96
        .size:           4
        .value_kind:     by_value
      - .offset:         100
        .size:           1
        .value_kind:     by_value
    .group_segment_fixed_size: 2704
    .kernarg_segment_align: 8
    .kernarg_segment_size: 104
    .language:       OpenCL C
    .language_version:
      - 2
      - 0
    .max_flat_workgroup_size: 676
    .name:           _ZN9rocsparseL20bsrxmvn_17_32_kernelILj26EfllDF16_DF16_fEEvT2_20rocsparse_direction_NS_24const_host_device_scalarIT0_EES1_PKS1_PKT1_SA_S7_PKT3_PKT4_S5_PT5_21rocsparse_index_base_b
    .private_segment_fixed_size: 0
    .sgpr_count:     26
    .sgpr_spill_count: 0
    .symbol:         _ZN9rocsparseL20bsrxmvn_17_32_kernelILj26EfllDF16_DF16_fEEvT2_20rocsparse_direction_NS_24const_host_device_scalarIT0_EES1_PKS1_PKT1_SA_S7_PKT3_PKT4_S5_PT5_21rocsparse_index_base_b.kd
    .uniform_work_group_size: 1
    .uses_dynamic_stack: false
    .vgpr_count:     15
    .vgpr_spill_count: 0
    .wavefront_size: 32
    .workgroup_processor_mode: 1
  - .args:
      - .offset:         0
        .size:           8
        .value_kind:     by_value
      - .offset:         8
        .size:           4
        .value_kind:     by_value
      - .offset:         16
        .size:           8
        .value_kind:     by_value
      - .offset:         24
        .size:           8
        .value_kind:     by_value
      - .actual_access:  read_only
        .address_space:  global
        .offset:         32
        .size:           8
        .value_kind:     global_buffer
      - .actual_access:  read_only
        .address_space:  global
        .offset:         40
        .size:           8
        .value_kind:     global_buffer
      - .actual_access:  read_only
        .address_space:  global
        .offset:         48
        .size:           8
        .value_kind:     global_buffer
      - .actual_access:  read_only
        .address_space:  global
        .offset:         56
        .size:           8
        .value_kind:     global_buffer
      - .actual_access:  read_only
        .address_space:  global
        .offset:         64
        .size:           8
        .value_kind:     global_buffer
      - .actual_access:  read_only
        .address_space:  global
        .offset:         72
        .size:           8
        .value_kind:     global_buffer
      - .offset:         80
        .size:           8
        .value_kind:     by_value
      - .address_space:  global
        .offset:         88
        .size:           8
        .value_kind:     global_buffer
      - .offset:         96
        .size:           4
        .value_kind:     by_value
      - .offset:         100
        .size:           1
        .value_kind:     by_value
    .group_segment_fixed_size: 2916
    .kernarg_segment_align: 8
    .kernarg_segment_size: 104
    .language:       OpenCL C
    .language_version:
      - 2
      - 0
    .max_flat_workgroup_size: 729
    .name:           _ZN9rocsparseL20bsrxmvn_17_32_kernelILj27EfllDF16_DF16_fEEvT2_20rocsparse_direction_NS_24const_host_device_scalarIT0_EES1_PKS1_PKT1_SA_S7_PKT3_PKT4_S5_PT5_21rocsparse_index_base_b
    .private_segment_fixed_size: 0
    .sgpr_count:     26
    .sgpr_spill_count: 0
    .symbol:         _ZN9rocsparseL20bsrxmvn_17_32_kernelILj27EfllDF16_DF16_fEEvT2_20rocsparse_direction_NS_24const_host_device_scalarIT0_EES1_PKS1_PKT1_SA_S7_PKT3_PKT4_S5_PT5_21rocsparse_index_base_b.kd
    .uniform_work_group_size: 1
    .uses_dynamic_stack: false
    .vgpr_count:     15
    .vgpr_spill_count: 0
    .wavefront_size: 32
    .workgroup_processor_mode: 1
  - .args:
      - .offset:         0
        .size:           8
        .value_kind:     by_value
      - .offset:         8
        .size:           4
        .value_kind:     by_value
      - .offset:         16
        .size:           8
        .value_kind:     by_value
      - .offset:         24
        .size:           8
        .value_kind:     by_value
      - .actual_access:  read_only
        .address_space:  global
        .offset:         32
        .size:           8
        .value_kind:     global_buffer
      - .actual_access:  read_only
        .address_space:  global
        .offset:         40
        .size:           8
        .value_kind:     global_buffer
      - .actual_access:  read_only
        .address_space:  global
        .offset:         48
        .size:           8
        .value_kind:     global_buffer
      - .actual_access:  read_only
        .address_space:  global
        .offset:         56
        .size:           8
        .value_kind:     global_buffer
      - .actual_access:  read_only
        .address_space:  global
        .offset:         64
        .size:           8
        .value_kind:     global_buffer
      - .actual_access:  read_only
        .address_space:  global
        .offset:         72
        .size:           8
        .value_kind:     global_buffer
      - .offset:         80
        .size:           8
        .value_kind:     by_value
      - .address_space:  global
        .offset:         88
        .size:           8
        .value_kind:     global_buffer
      - .offset:         96
        .size:           4
        .value_kind:     by_value
      - .offset:         100
        .size:           1
        .value_kind:     by_value
    .group_segment_fixed_size: 3136
    .kernarg_segment_align: 8
    .kernarg_segment_size: 104
    .language:       OpenCL C
    .language_version:
      - 2
      - 0
    .max_flat_workgroup_size: 784
    .name:           _ZN9rocsparseL20bsrxmvn_17_32_kernelILj28EfllDF16_DF16_fEEvT2_20rocsparse_direction_NS_24const_host_device_scalarIT0_EES1_PKS1_PKT1_SA_S7_PKT3_PKT4_S5_PT5_21rocsparse_index_base_b
    .private_segment_fixed_size: 0
    .sgpr_count:     26
    .sgpr_spill_count: 0
    .symbol:         _ZN9rocsparseL20bsrxmvn_17_32_kernelILj28EfllDF16_DF16_fEEvT2_20rocsparse_direction_NS_24const_host_device_scalarIT0_EES1_PKS1_PKT1_SA_S7_PKT3_PKT4_S5_PT5_21rocsparse_index_base_b.kd
    .uniform_work_group_size: 1
    .uses_dynamic_stack: false
    .vgpr_count:     15
    .vgpr_spill_count: 0
    .wavefront_size: 32
    .workgroup_processor_mode: 1
  - .args:
      - .offset:         0
        .size:           8
        .value_kind:     by_value
      - .offset:         8
        .size:           4
        .value_kind:     by_value
      - .offset:         16
        .size:           8
        .value_kind:     by_value
      - .offset:         24
        .size:           8
        .value_kind:     by_value
      - .actual_access:  read_only
        .address_space:  global
        .offset:         32
        .size:           8
        .value_kind:     global_buffer
      - .actual_access:  read_only
        .address_space:  global
        .offset:         40
        .size:           8
        .value_kind:     global_buffer
      - .actual_access:  read_only
        .address_space:  global
        .offset:         48
        .size:           8
        .value_kind:     global_buffer
      - .actual_access:  read_only
        .address_space:  global
        .offset:         56
        .size:           8
        .value_kind:     global_buffer
      - .actual_access:  read_only
        .address_space:  global
        .offset:         64
        .size:           8
        .value_kind:     global_buffer
      - .actual_access:  read_only
        .address_space:  global
        .offset:         72
        .size:           8
        .value_kind:     global_buffer
      - .offset:         80
        .size:           8
        .value_kind:     by_value
      - .address_space:  global
        .offset:         88
        .size:           8
        .value_kind:     global_buffer
      - .offset:         96
        .size:           4
        .value_kind:     by_value
      - .offset:         100
        .size:           1
        .value_kind:     by_value
    .group_segment_fixed_size: 3364
    .kernarg_segment_align: 8
    .kernarg_segment_size: 104
    .language:       OpenCL C
    .language_version:
      - 2
      - 0
    .max_flat_workgroup_size: 841
    .name:           _ZN9rocsparseL20bsrxmvn_17_32_kernelILj29EfllDF16_DF16_fEEvT2_20rocsparse_direction_NS_24const_host_device_scalarIT0_EES1_PKS1_PKT1_SA_S7_PKT3_PKT4_S5_PT5_21rocsparse_index_base_b
    .private_segment_fixed_size: 0
    .sgpr_count:     26
    .sgpr_spill_count: 0
    .symbol:         _ZN9rocsparseL20bsrxmvn_17_32_kernelILj29EfllDF16_DF16_fEEvT2_20rocsparse_direction_NS_24const_host_device_scalarIT0_EES1_PKS1_PKT1_SA_S7_PKT3_PKT4_S5_PT5_21rocsparse_index_base_b.kd
    .uniform_work_group_size: 1
    .uses_dynamic_stack: false
    .vgpr_count:     15
    .vgpr_spill_count: 0
    .wavefront_size: 32
    .workgroup_processor_mode: 1
  - .args:
      - .offset:         0
        .size:           8
        .value_kind:     by_value
      - .offset:         8
        .size:           4
        .value_kind:     by_value
      - .offset:         16
        .size:           8
        .value_kind:     by_value
      - .offset:         24
        .size:           8
        .value_kind:     by_value
      - .actual_access:  read_only
        .address_space:  global
        .offset:         32
        .size:           8
        .value_kind:     global_buffer
      - .actual_access:  read_only
        .address_space:  global
        .offset:         40
        .size:           8
        .value_kind:     global_buffer
      - .actual_access:  read_only
        .address_space:  global
        .offset:         48
        .size:           8
        .value_kind:     global_buffer
      - .actual_access:  read_only
        .address_space:  global
        .offset:         56
        .size:           8
        .value_kind:     global_buffer
      - .actual_access:  read_only
        .address_space:  global
        .offset:         64
        .size:           8
        .value_kind:     global_buffer
      - .actual_access:  read_only
        .address_space:  global
        .offset:         72
        .size:           8
        .value_kind:     global_buffer
      - .offset:         80
        .size:           8
        .value_kind:     by_value
      - .address_space:  global
        .offset:         88
        .size:           8
        .value_kind:     global_buffer
      - .offset:         96
        .size:           4
        .value_kind:     by_value
      - .offset:         100
        .size:           1
        .value_kind:     by_value
    .group_segment_fixed_size: 3600
    .kernarg_segment_align: 8
    .kernarg_segment_size: 104
    .language:       OpenCL C
    .language_version:
      - 2
      - 0
    .max_flat_workgroup_size: 900
    .name:           _ZN9rocsparseL20bsrxmvn_17_32_kernelILj30EfllDF16_DF16_fEEvT2_20rocsparse_direction_NS_24const_host_device_scalarIT0_EES1_PKS1_PKT1_SA_S7_PKT3_PKT4_S5_PT5_21rocsparse_index_base_b
    .private_segment_fixed_size: 0
    .sgpr_count:     26
    .sgpr_spill_count: 0
    .symbol:         _ZN9rocsparseL20bsrxmvn_17_32_kernelILj30EfllDF16_DF16_fEEvT2_20rocsparse_direction_NS_24const_host_device_scalarIT0_EES1_PKS1_PKT1_SA_S7_PKT3_PKT4_S5_PT5_21rocsparse_index_base_b.kd
    .uniform_work_group_size: 1
    .uses_dynamic_stack: false
    .vgpr_count:     15
    .vgpr_spill_count: 0
    .wavefront_size: 32
    .workgroup_processor_mode: 1
  - .args:
      - .offset:         0
        .size:           8
        .value_kind:     by_value
      - .offset:         8
        .size:           4
        .value_kind:     by_value
      - .offset:         16
        .size:           8
        .value_kind:     by_value
      - .offset:         24
        .size:           8
        .value_kind:     by_value
      - .actual_access:  read_only
        .address_space:  global
        .offset:         32
        .size:           8
        .value_kind:     global_buffer
      - .actual_access:  read_only
        .address_space:  global
        .offset:         40
        .size:           8
        .value_kind:     global_buffer
      - .actual_access:  read_only
        .address_space:  global
        .offset:         48
        .size:           8
        .value_kind:     global_buffer
      - .actual_access:  read_only
        .address_space:  global
        .offset:         56
        .size:           8
        .value_kind:     global_buffer
      - .actual_access:  read_only
        .address_space:  global
        .offset:         64
        .size:           8
        .value_kind:     global_buffer
      - .actual_access:  read_only
        .address_space:  global
        .offset:         72
        .size:           8
        .value_kind:     global_buffer
      - .offset:         80
        .size:           8
        .value_kind:     by_value
      - .address_space:  global
        .offset:         88
        .size:           8
        .value_kind:     global_buffer
      - .offset:         96
        .size:           4
        .value_kind:     by_value
      - .offset:         100
        .size:           1
        .value_kind:     by_value
    .group_segment_fixed_size: 3844
    .kernarg_segment_align: 8
    .kernarg_segment_size: 104
    .language:       OpenCL C
    .language_version:
      - 2
      - 0
    .max_flat_workgroup_size: 961
    .name:           _ZN9rocsparseL20bsrxmvn_17_32_kernelILj31EfllDF16_DF16_fEEvT2_20rocsparse_direction_NS_24const_host_device_scalarIT0_EES1_PKS1_PKT1_SA_S7_PKT3_PKT4_S5_PT5_21rocsparse_index_base_b
    .private_segment_fixed_size: 0
    .sgpr_count:     26
    .sgpr_spill_count: 0
    .symbol:         _ZN9rocsparseL20bsrxmvn_17_32_kernelILj31EfllDF16_DF16_fEEvT2_20rocsparse_direction_NS_24const_host_device_scalarIT0_EES1_PKS1_PKT1_SA_S7_PKT3_PKT4_S5_PT5_21rocsparse_index_base_b.kd
    .uniform_work_group_size: 1
    .uses_dynamic_stack: false
    .vgpr_count:     15
    .vgpr_spill_count: 0
    .wavefront_size: 32
    .workgroup_processor_mode: 1
  - .args:
      - .offset:         0
        .size:           8
        .value_kind:     by_value
      - .offset:         8
        .size:           4
        .value_kind:     by_value
      - .offset:         16
        .size:           8
        .value_kind:     by_value
      - .offset:         24
        .size:           8
        .value_kind:     by_value
      - .actual_access:  read_only
        .address_space:  global
        .offset:         32
        .size:           8
        .value_kind:     global_buffer
      - .actual_access:  read_only
        .address_space:  global
        .offset:         40
        .size:           8
        .value_kind:     global_buffer
      - .actual_access:  read_only
        .address_space:  global
        .offset:         48
        .size:           8
        .value_kind:     global_buffer
      - .actual_access:  read_only
        .address_space:  global
        .offset:         56
        .size:           8
        .value_kind:     global_buffer
      - .actual_access:  read_only
        .address_space:  global
        .offset:         64
        .size:           8
        .value_kind:     global_buffer
      - .actual_access:  read_only
        .address_space:  global
        .offset:         72
        .size:           8
        .value_kind:     global_buffer
      - .offset:         80
        .size:           8
        .value_kind:     by_value
      - .address_space:  global
        .offset:         88
        .size:           8
        .value_kind:     global_buffer
      - .offset:         96
        .size:           4
        .value_kind:     by_value
      - .offset:         100
        .size:           1
        .value_kind:     by_value
    .group_segment_fixed_size: 4096
    .kernarg_segment_align: 8
    .kernarg_segment_size: 104
    .language:       OpenCL C
    .language_version:
      - 2
      - 0
    .max_flat_workgroup_size: 1024
    .name:           _ZN9rocsparseL20bsrxmvn_17_32_kernelILj32EfllDF16_DF16_fEEvT2_20rocsparse_direction_NS_24const_host_device_scalarIT0_EES1_PKS1_PKT1_SA_S7_PKT3_PKT4_S5_PT5_21rocsparse_index_base_b
    .private_segment_fixed_size: 0
    .sgpr_count:     28
    .sgpr_spill_count: 0
    .symbol:         _ZN9rocsparseL20bsrxmvn_17_32_kernelILj32EfllDF16_DF16_fEEvT2_20rocsparse_direction_NS_24const_host_device_scalarIT0_EES1_PKS1_PKT1_SA_S7_PKT3_PKT4_S5_PT5_21rocsparse_index_base_b.kd
    .uniform_work_group_size: 1
    .uses_dynamic_stack: false
    .vgpr_count:     10
    .vgpr_spill_count: 0
    .wavefront_size: 32
    .workgroup_processor_mode: 1
  - .args:
      - .offset:         0
        .size:           4
        .value_kind:     by_value
      - .offset:         4
        .size:           4
        .value_kind:     by_value
      - .offset:         8
        .size:           8
        .value_kind:     by_value
      - .offset:         16
        .size:           4
        .value_kind:     by_value
      - .actual_access:  read_only
        .address_space:  global
        .offset:         24
        .size:           8
        .value_kind:     global_buffer
      - .actual_access:  read_only
        .address_space:  global
        .offset:         32
        .size:           8
        .value_kind:     global_buffer
      - .actual_access:  read_only
        .address_space:  global
        .offset:         40
        .size:           8
        .value_kind:     global_buffer
      - .actual_access:  read_only
        .address_space:  global
        .offset:         48
        .size:           8
        .value_kind:     global_buffer
      - .actual_access:  read_only
        .address_space:  global
        .offset:         56
        .size:           8
        .value_kind:     global_buffer
      - .actual_access:  read_only
        .address_space:  global
        .offset:         64
        .size:           8
        .value_kind:     global_buffer
      - .offset:         72
        .size:           8
        .value_kind:     by_value
      - .address_space:  global
        .offset:         80
        .size:           8
        .value_kind:     global_buffer
      - .offset:         88
        .size:           4
        .value_kind:     by_value
      - .offset:         92
        .size:           1
        .value_kind:     by_value
    .group_segment_fixed_size: 1156
    .kernarg_segment_align: 8
    .kernarg_segment_size: 96
    .language:       OpenCL C
    .language_version:
      - 2
      - 0
    .max_flat_workgroup_size: 289
    .name:           _ZN9rocsparseL20bsrxmvn_17_32_kernelILj17Efii18rocsparse_bfloat16S1_fEEvT2_20rocsparse_direction_NS_24const_host_device_scalarIT0_EES2_PKS2_PKT1_SB_S8_PKT3_PKT4_S6_PT5_21rocsparse_index_base_b
    .private_segment_fixed_size: 0
    .sgpr_count:     19
    .sgpr_spill_count: 0
    .symbol:         _ZN9rocsparseL20bsrxmvn_17_32_kernelILj17Efii18rocsparse_bfloat16S1_fEEvT2_20rocsparse_direction_NS_24const_host_device_scalarIT0_EES2_PKS2_PKT1_SB_S8_PKT3_PKT4_S6_PT5_21rocsparse_index_base_b.kd
    .uniform_work_group_size: 1
    .uses_dynamic_stack: false
    .vgpr_count:     10
    .vgpr_spill_count: 0
    .wavefront_size: 32
    .workgroup_processor_mode: 1
  - .args:
      - .offset:         0
        .size:           4
        .value_kind:     by_value
      - .offset:         4
        .size:           4
        .value_kind:     by_value
      - .offset:         8
        .size:           8
        .value_kind:     by_value
      - .offset:         16
        .size:           4
        .value_kind:     by_value
      - .actual_access:  read_only
        .address_space:  global
        .offset:         24
        .size:           8
        .value_kind:     global_buffer
      - .actual_access:  read_only
        .address_space:  global
        .offset:         32
        .size:           8
        .value_kind:     global_buffer
      - .actual_access:  read_only
        .address_space:  global
        .offset:         40
        .size:           8
        .value_kind:     global_buffer
      - .actual_access:  read_only
        .address_space:  global
        .offset:         48
        .size:           8
        .value_kind:     global_buffer
      - .actual_access:  read_only
        .address_space:  global
        .offset:         56
        .size:           8
        .value_kind:     global_buffer
      - .actual_access:  read_only
        .address_space:  global
        .offset:         64
        .size:           8
        .value_kind:     global_buffer
      - .offset:         72
        .size:           8
        .value_kind:     by_value
      - .address_space:  global
        .offset:         80
        .size:           8
        .value_kind:     global_buffer
      - .offset:         88
        .size:           4
        .value_kind:     by_value
      - .offset:         92
        .size:           1
        .value_kind:     by_value
    .group_segment_fixed_size: 1296
    .kernarg_segment_align: 8
    .kernarg_segment_size: 96
    .language:       OpenCL C
    .language_version:
      - 2
      - 0
    .max_flat_workgroup_size: 324
    .name:           _ZN9rocsparseL20bsrxmvn_17_32_kernelILj18Efii18rocsparse_bfloat16S1_fEEvT2_20rocsparse_direction_NS_24const_host_device_scalarIT0_EES2_PKS2_PKT1_SB_S8_PKT3_PKT4_S6_PT5_21rocsparse_index_base_b
    .private_segment_fixed_size: 0
    .sgpr_count:     19
    .sgpr_spill_count: 0
    .symbol:         _ZN9rocsparseL20bsrxmvn_17_32_kernelILj18Efii18rocsparse_bfloat16S1_fEEvT2_20rocsparse_direction_NS_24const_host_device_scalarIT0_EES2_PKS2_PKT1_SB_S8_PKT3_PKT4_S6_PT5_21rocsparse_index_base_b.kd
    .uniform_work_group_size: 1
    .uses_dynamic_stack: false
    .vgpr_count:     10
    .vgpr_spill_count: 0
    .wavefront_size: 32
    .workgroup_processor_mode: 1
  - .args:
      - .offset:         0
        .size:           4
        .value_kind:     by_value
      - .offset:         4
        .size:           4
        .value_kind:     by_value
      - .offset:         8
        .size:           8
        .value_kind:     by_value
      - .offset:         16
        .size:           4
        .value_kind:     by_value
      - .actual_access:  read_only
        .address_space:  global
        .offset:         24
        .size:           8
        .value_kind:     global_buffer
      - .actual_access:  read_only
        .address_space:  global
        .offset:         32
        .size:           8
        .value_kind:     global_buffer
      - .actual_access:  read_only
        .address_space:  global
        .offset:         40
        .size:           8
        .value_kind:     global_buffer
      - .actual_access:  read_only
        .address_space:  global
        .offset:         48
        .size:           8
        .value_kind:     global_buffer
      - .actual_access:  read_only
        .address_space:  global
        .offset:         56
        .size:           8
        .value_kind:     global_buffer
      - .actual_access:  read_only
        .address_space:  global
        .offset:         64
        .size:           8
        .value_kind:     global_buffer
      - .offset:         72
        .size:           8
        .value_kind:     by_value
      - .address_space:  global
        .offset:         80
        .size:           8
        .value_kind:     global_buffer
      - .offset:         88
        .size:           4
        .value_kind:     by_value
      - .offset:         92
        .size:           1
        .value_kind:     by_value
    .group_segment_fixed_size: 1444
    .kernarg_segment_align: 8
    .kernarg_segment_size: 96
    .language:       OpenCL C
    .language_version:
      - 2
      - 0
    .max_flat_workgroup_size: 361
    .name:           _ZN9rocsparseL20bsrxmvn_17_32_kernelILj19Efii18rocsparse_bfloat16S1_fEEvT2_20rocsparse_direction_NS_24const_host_device_scalarIT0_EES2_PKS2_PKT1_SB_S8_PKT3_PKT4_S6_PT5_21rocsparse_index_base_b
    .private_segment_fixed_size: 0
    .sgpr_count:     19
    .sgpr_spill_count: 0
    .symbol:         _ZN9rocsparseL20bsrxmvn_17_32_kernelILj19Efii18rocsparse_bfloat16S1_fEEvT2_20rocsparse_direction_NS_24const_host_device_scalarIT0_EES2_PKS2_PKT1_SB_S8_PKT3_PKT4_S6_PT5_21rocsparse_index_base_b.kd
    .uniform_work_group_size: 1
    .uses_dynamic_stack: false
    .vgpr_count:     10
    .vgpr_spill_count: 0
    .wavefront_size: 32
    .workgroup_processor_mode: 1
  - .args:
      - .offset:         0
        .size:           4
        .value_kind:     by_value
      - .offset:         4
        .size:           4
        .value_kind:     by_value
      - .offset:         8
        .size:           8
        .value_kind:     by_value
      - .offset:         16
        .size:           4
        .value_kind:     by_value
      - .actual_access:  read_only
        .address_space:  global
        .offset:         24
        .size:           8
        .value_kind:     global_buffer
      - .actual_access:  read_only
        .address_space:  global
        .offset:         32
        .size:           8
        .value_kind:     global_buffer
      - .actual_access:  read_only
        .address_space:  global
        .offset:         40
        .size:           8
        .value_kind:     global_buffer
      - .actual_access:  read_only
        .address_space:  global
        .offset:         48
        .size:           8
        .value_kind:     global_buffer
      - .actual_access:  read_only
        .address_space:  global
        .offset:         56
        .size:           8
        .value_kind:     global_buffer
      - .actual_access:  read_only
        .address_space:  global
        .offset:         64
        .size:           8
        .value_kind:     global_buffer
      - .offset:         72
        .size:           8
        .value_kind:     by_value
      - .address_space:  global
        .offset:         80
        .size:           8
        .value_kind:     global_buffer
      - .offset:         88
        .size:           4
        .value_kind:     by_value
      - .offset:         92
        .size:           1
        .value_kind:     by_value
    .group_segment_fixed_size: 1600
    .kernarg_segment_align: 8
    .kernarg_segment_size: 96
    .language:       OpenCL C
    .language_version:
      - 2
      - 0
    .max_flat_workgroup_size: 400
    .name:           _ZN9rocsparseL20bsrxmvn_17_32_kernelILj20Efii18rocsparse_bfloat16S1_fEEvT2_20rocsparse_direction_NS_24const_host_device_scalarIT0_EES2_PKS2_PKT1_SB_S8_PKT3_PKT4_S6_PT5_21rocsparse_index_base_b
    .private_segment_fixed_size: 0
    .sgpr_count:     19
    .sgpr_spill_count: 0
    .symbol:         _ZN9rocsparseL20bsrxmvn_17_32_kernelILj20Efii18rocsparse_bfloat16S1_fEEvT2_20rocsparse_direction_NS_24const_host_device_scalarIT0_EES2_PKS2_PKT1_SB_S8_PKT3_PKT4_S6_PT5_21rocsparse_index_base_b.kd
    .uniform_work_group_size: 1
    .uses_dynamic_stack: false
    .vgpr_count:     10
    .vgpr_spill_count: 0
    .wavefront_size: 32
    .workgroup_processor_mode: 1
  - .args:
      - .offset:         0
        .size:           4
        .value_kind:     by_value
      - .offset:         4
        .size:           4
        .value_kind:     by_value
      - .offset:         8
        .size:           8
        .value_kind:     by_value
      - .offset:         16
        .size:           4
        .value_kind:     by_value
      - .actual_access:  read_only
        .address_space:  global
        .offset:         24
        .size:           8
        .value_kind:     global_buffer
      - .actual_access:  read_only
        .address_space:  global
        .offset:         32
        .size:           8
        .value_kind:     global_buffer
      - .actual_access:  read_only
        .address_space:  global
        .offset:         40
        .size:           8
        .value_kind:     global_buffer
      - .actual_access:  read_only
        .address_space:  global
        .offset:         48
        .size:           8
        .value_kind:     global_buffer
      - .actual_access:  read_only
        .address_space:  global
        .offset:         56
        .size:           8
        .value_kind:     global_buffer
      - .actual_access:  read_only
        .address_space:  global
        .offset:         64
        .size:           8
        .value_kind:     global_buffer
      - .offset:         72
        .size:           8
        .value_kind:     by_value
      - .address_space:  global
        .offset:         80
        .size:           8
        .value_kind:     global_buffer
      - .offset:         88
        .size:           4
        .value_kind:     by_value
      - .offset:         92
        .size:           1
        .value_kind:     by_value
    .group_segment_fixed_size: 1764
    .kernarg_segment_align: 8
    .kernarg_segment_size: 96
    .language:       OpenCL C
    .language_version:
      - 2
      - 0
    .max_flat_workgroup_size: 441
    .name:           _ZN9rocsparseL20bsrxmvn_17_32_kernelILj21Efii18rocsparse_bfloat16S1_fEEvT2_20rocsparse_direction_NS_24const_host_device_scalarIT0_EES2_PKS2_PKT1_SB_S8_PKT3_PKT4_S6_PT5_21rocsparse_index_base_b
    .private_segment_fixed_size: 0
    .sgpr_count:     19
    .sgpr_spill_count: 0
    .symbol:         _ZN9rocsparseL20bsrxmvn_17_32_kernelILj21Efii18rocsparse_bfloat16S1_fEEvT2_20rocsparse_direction_NS_24const_host_device_scalarIT0_EES2_PKS2_PKT1_SB_S8_PKT3_PKT4_S6_PT5_21rocsparse_index_base_b.kd
    .uniform_work_group_size: 1
    .uses_dynamic_stack: false
    .vgpr_count:     10
    .vgpr_spill_count: 0
    .wavefront_size: 32
    .workgroup_processor_mode: 1
  - .args:
      - .offset:         0
        .size:           4
        .value_kind:     by_value
      - .offset:         4
        .size:           4
        .value_kind:     by_value
      - .offset:         8
        .size:           8
        .value_kind:     by_value
      - .offset:         16
        .size:           4
        .value_kind:     by_value
      - .actual_access:  read_only
        .address_space:  global
        .offset:         24
        .size:           8
        .value_kind:     global_buffer
      - .actual_access:  read_only
        .address_space:  global
        .offset:         32
        .size:           8
        .value_kind:     global_buffer
      - .actual_access:  read_only
        .address_space:  global
        .offset:         40
        .size:           8
        .value_kind:     global_buffer
      - .actual_access:  read_only
        .address_space:  global
        .offset:         48
        .size:           8
        .value_kind:     global_buffer
      - .actual_access:  read_only
        .address_space:  global
        .offset:         56
        .size:           8
        .value_kind:     global_buffer
      - .actual_access:  read_only
        .address_space:  global
        .offset:         64
        .size:           8
        .value_kind:     global_buffer
      - .offset:         72
        .size:           8
        .value_kind:     by_value
      - .address_space:  global
        .offset:         80
        .size:           8
        .value_kind:     global_buffer
      - .offset:         88
        .size:           4
        .value_kind:     by_value
      - .offset:         92
        .size:           1
        .value_kind:     by_value
    .group_segment_fixed_size: 1936
    .kernarg_segment_align: 8
    .kernarg_segment_size: 96
    .language:       OpenCL C
    .language_version:
      - 2
      - 0
    .max_flat_workgroup_size: 484
    .name:           _ZN9rocsparseL20bsrxmvn_17_32_kernelILj22Efii18rocsparse_bfloat16S1_fEEvT2_20rocsparse_direction_NS_24const_host_device_scalarIT0_EES2_PKS2_PKT1_SB_S8_PKT3_PKT4_S6_PT5_21rocsparse_index_base_b
    .private_segment_fixed_size: 0
    .sgpr_count:     19
    .sgpr_spill_count: 0
    .symbol:         _ZN9rocsparseL20bsrxmvn_17_32_kernelILj22Efii18rocsparse_bfloat16S1_fEEvT2_20rocsparse_direction_NS_24const_host_device_scalarIT0_EES2_PKS2_PKT1_SB_S8_PKT3_PKT4_S6_PT5_21rocsparse_index_base_b.kd
    .uniform_work_group_size: 1
    .uses_dynamic_stack: false
    .vgpr_count:     10
    .vgpr_spill_count: 0
    .wavefront_size: 32
    .workgroup_processor_mode: 1
  - .args:
      - .offset:         0
        .size:           4
        .value_kind:     by_value
      - .offset:         4
        .size:           4
        .value_kind:     by_value
      - .offset:         8
        .size:           8
        .value_kind:     by_value
      - .offset:         16
        .size:           4
        .value_kind:     by_value
      - .actual_access:  read_only
        .address_space:  global
        .offset:         24
        .size:           8
        .value_kind:     global_buffer
      - .actual_access:  read_only
        .address_space:  global
        .offset:         32
        .size:           8
        .value_kind:     global_buffer
      - .actual_access:  read_only
        .address_space:  global
        .offset:         40
        .size:           8
        .value_kind:     global_buffer
      - .actual_access:  read_only
        .address_space:  global
        .offset:         48
        .size:           8
        .value_kind:     global_buffer
      - .actual_access:  read_only
        .address_space:  global
        .offset:         56
        .size:           8
        .value_kind:     global_buffer
      - .actual_access:  read_only
        .address_space:  global
        .offset:         64
        .size:           8
        .value_kind:     global_buffer
      - .offset:         72
        .size:           8
        .value_kind:     by_value
      - .address_space:  global
        .offset:         80
        .size:           8
        .value_kind:     global_buffer
      - .offset:         88
        .size:           4
        .value_kind:     by_value
      - .offset:         92
        .size:           1
        .value_kind:     by_value
    .group_segment_fixed_size: 2116
    .kernarg_segment_align: 8
    .kernarg_segment_size: 96
    .language:       OpenCL C
    .language_version:
      - 2
      - 0
    .max_flat_workgroup_size: 529
    .name:           _ZN9rocsparseL20bsrxmvn_17_32_kernelILj23Efii18rocsparse_bfloat16S1_fEEvT2_20rocsparse_direction_NS_24const_host_device_scalarIT0_EES2_PKS2_PKT1_SB_S8_PKT3_PKT4_S6_PT5_21rocsparse_index_base_b
    .private_segment_fixed_size: 0
    .sgpr_count:     20
    .sgpr_spill_count: 0
    .symbol:         _ZN9rocsparseL20bsrxmvn_17_32_kernelILj23Efii18rocsparse_bfloat16S1_fEEvT2_20rocsparse_direction_NS_24const_host_device_scalarIT0_EES2_PKS2_PKT1_SB_S8_PKT3_PKT4_S6_PT5_21rocsparse_index_base_b.kd
    .uniform_work_group_size: 1
    .uses_dynamic_stack: false
    .vgpr_count:     10
    .vgpr_spill_count: 0
    .wavefront_size: 32
    .workgroup_processor_mode: 1
  - .args:
      - .offset:         0
        .size:           4
        .value_kind:     by_value
      - .offset:         4
        .size:           4
        .value_kind:     by_value
      - .offset:         8
        .size:           8
        .value_kind:     by_value
      - .offset:         16
        .size:           4
        .value_kind:     by_value
      - .actual_access:  read_only
        .address_space:  global
        .offset:         24
        .size:           8
        .value_kind:     global_buffer
      - .actual_access:  read_only
        .address_space:  global
        .offset:         32
        .size:           8
        .value_kind:     global_buffer
      - .actual_access:  read_only
        .address_space:  global
        .offset:         40
        .size:           8
        .value_kind:     global_buffer
      - .actual_access:  read_only
        .address_space:  global
        .offset:         48
        .size:           8
        .value_kind:     global_buffer
      - .actual_access:  read_only
        .address_space:  global
        .offset:         56
        .size:           8
        .value_kind:     global_buffer
      - .actual_access:  read_only
        .address_space:  global
        .offset:         64
        .size:           8
        .value_kind:     global_buffer
      - .offset:         72
        .size:           8
        .value_kind:     by_value
      - .address_space:  global
        .offset:         80
        .size:           8
        .value_kind:     global_buffer
      - .offset:         88
        .size:           4
        .value_kind:     by_value
      - .offset:         92
        .size:           1
        .value_kind:     by_value
    .group_segment_fixed_size: 2304
    .kernarg_segment_align: 8
    .kernarg_segment_size: 96
    .language:       OpenCL C
    .language_version:
      - 2
      - 0
    .max_flat_workgroup_size: 576
    .name:           _ZN9rocsparseL20bsrxmvn_17_32_kernelILj24Efii18rocsparse_bfloat16S1_fEEvT2_20rocsparse_direction_NS_24const_host_device_scalarIT0_EES2_PKS2_PKT1_SB_S8_PKT3_PKT4_S6_PT5_21rocsparse_index_base_b
    .private_segment_fixed_size: 0
    .sgpr_count:     20
    .sgpr_spill_count: 0
    .symbol:         _ZN9rocsparseL20bsrxmvn_17_32_kernelILj24Efii18rocsparse_bfloat16S1_fEEvT2_20rocsparse_direction_NS_24const_host_device_scalarIT0_EES2_PKS2_PKT1_SB_S8_PKT3_PKT4_S6_PT5_21rocsparse_index_base_b.kd
    .uniform_work_group_size: 1
    .uses_dynamic_stack: false
    .vgpr_count:     10
    .vgpr_spill_count: 0
    .wavefront_size: 32
    .workgroup_processor_mode: 1
  - .args:
      - .offset:         0
        .size:           4
        .value_kind:     by_value
      - .offset:         4
        .size:           4
        .value_kind:     by_value
      - .offset:         8
        .size:           8
        .value_kind:     by_value
      - .offset:         16
        .size:           4
        .value_kind:     by_value
      - .actual_access:  read_only
        .address_space:  global
        .offset:         24
        .size:           8
        .value_kind:     global_buffer
      - .actual_access:  read_only
        .address_space:  global
        .offset:         32
        .size:           8
        .value_kind:     global_buffer
      - .actual_access:  read_only
        .address_space:  global
        .offset:         40
        .size:           8
        .value_kind:     global_buffer
      - .actual_access:  read_only
        .address_space:  global
        .offset:         48
        .size:           8
        .value_kind:     global_buffer
      - .actual_access:  read_only
        .address_space:  global
        .offset:         56
        .size:           8
        .value_kind:     global_buffer
      - .actual_access:  read_only
        .address_space:  global
        .offset:         64
        .size:           8
        .value_kind:     global_buffer
      - .offset:         72
        .size:           8
        .value_kind:     by_value
      - .address_space:  global
        .offset:         80
        .size:           8
        .value_kind:     global_buffer
      - .offset:         88
        .size:           4
        .value_kind:     by_value
      - .offset:         92
        .size:           1
        .value_kind:     by_value
    .group_segment_fixed_size: 2500
    .kernarg_segment_align: 8
    .kernarg_segment_size: 96
    .language:       OpenCL C
    .language_version:
      - 2
      - 0
    .max_flat_workgroup_size: 625
    .name:           _ZN9rocsparseL20bsrxmvn_17_32_kernelILj25Efii18rocsparse_bfloat16S1_fEEvT2_20rocsparse_direction_NS_24const_host_device_scalarIT0_EES2_PKS2_PKT1_SB_S8_PKT3_PKT4_S6_PT5_21rocsparse_index_base_b
    .private_segment_fixed_size: 0
    .sgpr_count:     20
    .sgpr_spill_count: 0
    .symbol:         _ZN9rocsparseL20bsrxmvn_17_32_kernelILj25Efii18rocsparse_bfloat16S1_fEEvT2_20rocsparse_direction_NS_24const_host_device_scalarIT0_EES2_PKS2_PKT1_SB_S8_PKT3_PKT4_S6_PT5_21rocsparse_index_base_b.kd
    .uniform_work_group_size: 1
    .uses_dynamic_stack: false
    .vgpr_count:     10
    .vgpr_spill_count: 0
    .wavefront_size: 32
    .workgroup_processor_mode: 1
  - .args:
      - .offset:         0
        .size:           4
        .value_kind:     by_value
      - .offset:         4
        .size:           4
        .value_kind:     by_value
      - .offset:         8
        .size:           8
        .value_kind:     by_value
      - .offset:         16
        .size:           4
        .value_kind:     by_value
      - .actual_access:  read_only
        .address_space:  global
        .offset:         24
        .size:           8
        .value_kind:     global_buffer
      - .actual_access:  read_only
        .address_space:  global
        .offset:         32
        .size:           8
        .value_kind:     global_buffer
      - .actual_access:  read_only
        .address_space:  global
        .offset:         40
        .size:           8
        .value_kind:     global_buffer
      - .actual_access:  read_only
        .address_space:  global
        .offset:         48
        .size:           8
        .value_kind:     global_buffer
      - .actual_access:  read_only
        .address_space:  global
        .offset:         56
        .size:           8
        .value_kind:     global_buffer
      - .actual_access:  read_only
        .address_space:  global
        .offset:         64
        .size:           8
        .value_kind:     global_buffer
      - .offset:         72
        .size:           8
        .value_kind:     by_value
      - .address_space:  global
        .offset:         80
        .size:           8
        .value_kind:     global_buffer
      - .offset:         88
        .size:           4
        .value_kind:     by_value
      - .offset:         92
        .size:           1
        .value_kind:     by_value
    .group_segment_fixed_size: 2704
    .kernarg_segment_align: 8
    .kernarg_segment_size: 96
    .language:       OpenCL C
    .language_version:
      - 2
      - 0
    .max_flat_workgroup_size: 676
    .name:           _ZN9rocsparseL20bsrxmvn_17_32_kernelILj26Efii18rocsparse_bfloat16S1_fEEvT2_20rocsparse_direction_NS_24const_host_device_scalarIT0_EES2_PKS2_PKT1_SB_S8_PKT3_PKT4_S6_PT5_21rocsparse_index_base_b
    .private_segment_fixed_size: 0
    .sgpr_count:     20
    .sgpr_spill_count: 0
    .symbol:         _ZN9rocsparseL20bsrxmvn_17_32_kernelILj26Efii18rocsparse_bfloat16S1_fEEvT2_20rocsparse_direction_NS_24const_host_device_scalarIT0_EES2_PKS2_PKT1_SB_S8_PKT3_PKT4_S6_PT5_21rocsparse_index_base_b.kd
    .uniform_work_group_size: 1
    .uses_dynamic_stack: false
    .vgpr_count:     10
    .vgpr_spill_count: 0
    .wavefront_size: 32
    .workgroup_processor_mode: 1
  - .args:
      - .offset:         0
        .size:           4
        .value_kind:     by_value
      - .offset:         4
        .size:           4
        .value_kind:     by_value
      - .offset:         8
        .size:           8
        .value_kind:     by_value
      - .offset:         16
        .size:           4
        .value_kind:     by_value
      - .actual_access:  read_only
        .address_space:  global
        .offset:         24
        .size:           8
        .value_kind:     global_buffer
      - .actual_access:  read_only
        .address_space:  global
        .offset:         32
        .size:           8
        .value_kind:     global_buffer
      - .actual_access:  read_only
        .address_space:  global
        .offset:         40
        .size:           8
        .value_kind:     global_buffer
      - .actual_access:  read_only
        .address_space:  global
        .offset:         48
        .size:           8
        .value_kind:     global_buffer
      - .actual_access:  read_only
        .address_space:  global
        .offset:         56
        .size:           8
        .value_kind:     global_buffer
      - .actual_access:  read_only
        .address_space:  global
        .offset:         64
        .size:           8
        .value_kind:     global_buffer
      - .offset:         72
        .size:           8
        .value_kind:     by_value
      - .address_space:  global
        .offset:         80
        .size:           8
        .value_kind:     global_buffer
      - .offset:         88
        .size:           4
        .value_kind:     by_value
      - .offset:         92
        .size:           1
        .value_kind:     by_value
    .group_segment_fixed_size: 2916
    .kernarg_segment_align: 8
    .kernarg_segment_size: 96
    .language:       OpenCL C
    .language_version:
      - 2
      - 0
    .max_flat_workgroup_size: 729
    .name:           _ZN9rocsparseL20bsrxmvn_17_32_kernelILj27Efii18rocsparse_bfloat16S1_fEEvT2_20rocsparse_direction_NS_24const_host_device_scalarIT0_EES2_PKS2_PKT1_SB_S8_PKT3_PKT4_S6_PT5_21rocsparse_index_base_b
    .private_segment_fixed_size: 0
    .sgpr_count:     20
    .sgpr_spill_count: 0
    .symbol:         _ZN9rocsparseL20bsrxmvn_17_32_kernelILj27Efii18rocsparse_bfloat16S1_fEEvT2_20rocsparse_direction_NS_24const_host_device_scalarIT0_EES2_PKS2_PKT1_SB_S8_PKT3_PKT4_S6_PT5_21rocsparse_index_base_b.kd
    .uniform_work_group_size: 1
    .uses_dynamic_stack: false
    .vgpr_count:     10
    .vgpr_spill_count: 0
    .wavefront_size: 32
    .workgroup_processor_mode: 1
  - .args:
      - .offset:         0
        .size:           4
        .value_kind:     by_value
      - .offset:         4
        .size:           4
        .value_kind:     by_value
      - .offset:         8
        .size:           8
        .value_kind:     by_value
      - .offset:         16
        .size:           4
        .value_kind:     by_value
      - .actual_access:  read_only
        .address_space:  global
        .offset:         24
        .size:           8
        .value_kind:     global_buffer
      - .actual_access:  read_only
        .address_space:  global
        .offset:         32
        .size:           8
        .value_kind:     global_buffer
      - .actual_access:  read_only
        .address_space:  global
        .offset:         40
        .size:           8
        .value_kind:     global_buffer
      - .actual_access:  read_only
        .address_space:  global
        .offset:         48
        .size:           8
        .value_kind:     global_buffer
      - .actual_access:  read_only
        .address_space:  global
        .offset:         56
        .size:           8
        .value_kind:     global_buffer
      - .actual_access:  read_only
        .address_space:  global
        .offset:         64
        .size:           8
        .value_kind:     global_buffer
      - .offset:         72
        .size:           8
        .value_kind:     by_value
      - .address_space:  global
        .offset:         80
        .size:           8
        .value_kind:     global_buffer
      - .offset:         88
        .size:           4
        .value_kind:     by_value
      - .offset:         92
        .size:           1
        .value_kind:     by_value
    .group_segment_fixed_size: 3136
    .kernarg_segment_align: 8
    .kernarg_segment_size: 96
    .language:       OpenCL C
    .language_version:
      - 2
      - 0
    .max_flat_workgroup_size: 784
    .name:           _ZN9rocsparseL20bsrxmvn_17_32_kernelILj28Efii18rocsparse_bfloat16S1_fEEvT2_20rocsparse_direction_NS_24const_host_device_scalarIT0_EES2_PKS2_PKT1_SB_S8_PKT3_PKT4_S6_PT5_21rocsparse_index_base_b
    .private_segment_fixed_size: 0
    .sgpr_count:     20
    .sgpr_spill_count: 0
    .symbol:         _ZN9rocsparseL20bsrxmvn_17_32_kernelILj28Efii18rocsparse_bfloat16S1_fEEvT2_20rocsparse_direction_NS_24const_host_device_scalarIT0_EES2_PKS2_PKT1_SB_S8_PKT3_PKT4_S6_PT5_21rocsparse_index_base_b.kd
    .uniform_work_group_size: 1
    .uses_dynamic_stack: false
    .vgpr_count:     10
    .vgpr_spill_count: 0
    .wavefront_size: 32
    .workgroup_processor_mode: 1
  - .args:
      - .offset:         0
        .size:           4
        .value_kind:     by_value
      - .offset:         4
        .size:           4
        .value_kind:     by_value
      - .offset:         8
        .size:           8
        .value_kind:     by_value
      - .offset:         16
        .size:           4
        .value_kind:     by_value
      - .actual_access:  read_only
        .address_space:  global
        .offset:         24
        .size:           8
        .value_kind:     global_buffer
      - .actual_access:  read_only
        .address_space:  global
        .offset:         32
        .size:           8
        .value_kind:     global_buffer
      - .actual_access:  read_only
        .address_space:  global
        .offset:         40
        .size:           8
        .value_kind:     global_buffer
      - .actual_access:  read_only
        .address_space:  global
        .offset:         48
        .size:           8
        .value_kind:     global_buffer
      - .actual_access:  read_only
        .address_space:  global
        .offset:         56
        .size:           8
        .value_kind:     global_buffer
      - .actual_access:  read_only
        .address_space:  global
        .offset:         64
        .size:           8
        .value_kind:     global_buffer
      - .offset:         72
        .size:           8
        .value_kind:     by_value
      - .address_space:  global
        .offset:         80
        .size:           8
        .value_kind:     global_buffer
      - .offset:         88
        .size:           4
        .value_kind:     by_value
      - .offset:         92
        .size:           1
        .value_kind:     by_value
    .group_segment_fixed_size: 3364
    .kernarg_segment_align: 8
    .kernarg_segment_size: 96
    .language:       OpenCL C
    .language_version:
      - 2
      - 0
    .max_flat_workgroup_size: 841
    .name:           _ZN9rocsparseL20bsrxmvn_17_32_kernelILj29Efii18rocsparse_bfloat16S1_fEEvT2_20rocsparse_direction_NS_24const_host_device_scalarIT0_EES2_PKS2_PKT1_SB_S8_PKT3_PKT4_S6_PT5_21rocsparse_index_base_b
    .private_segment_fixed_size: 0
    .sgpr_count:     20
    .sgpr_spill_count: 0
    .symbol:         _ZN9rocsparseL20bsrxmvn_17_32_kernelILj29Efii18rocsparse_bfloat16S1_fEEvT2_20rocsparse_direction_NS_24const_host_device_scalarIT0_EES2_PKS2_PKT1_SB_S8_PKT3_PKT4_S6_PT5_21rocsparse_index_base_b.kd
    .uniform_work_group_size: 1
    .uses_dynamic_stack: false
    .vgpr_count:     10
    .vgpr_spill_count: 0
    .wavefront_size: 32
    .workgroup_processor_mode: 1
  - .args:
      - .offset:         0
        .size:           4
        .value_kind:     by_value
      - .offset:         4
        .size:           4
        .value_kind:     by_value
      - .offset:         8
        .size:           8
        .value_kind:     by_value
      - .offset:         16
        .size:           4
        .value_kind:     by_value
      - .actual_access:  read_only
        .address_space:  global
        .offset:         24
        .size:           8
        .value_kind:     global_buffer
      - .actual_access:  read_only
        .address_space:  global
        .offset:         32
        .size:           8
        .value_kind:     global_buffer
      - .actual_access:  read_only
        .address_space:  global
        .offset:         40
        .size:           8
        .value_kind:     global_buffer
      - .actual_access:  read_only
        .address_space:  global
        .offset:         48
        .size:           8
        .value_kind:     global_buffer
      - .actual_access:  read_only
        .address_space:  global
        .offset:         56
        .size:           8
        .value_kind:     global_buffer
      - .actual_access:  read_only
        .address_space:  global
        .offset:         64
        .size:           8
        .value_kind:     global_buffer
      - .offset:         72
        .size:           8
        .value_kind:     by_value
      - .address_space:  global
        .offset:         80
        .size:           8
        .value_kind:     global_buffer
      - .offset:         88
        .size:           4
        .value_kind:     by_value
      - .offset:         92
        .size:           1
        .value_kind:     by_value
    .group_segment_fixed_size: 3600
    .kernarg_segment_align: 8
    .kernarg_segment_size: 96
    .language:       OpenCL C
    .language_version:
      - 2
      - 0
    .max_flat_workgroup_size: 900
    .name:           _ZN9rocsparseL20bsrxmvn_17_32_kernelILj30Efii18rocsparse_bfloat16S1_fEEvT2_20rocsparse_direction_NS_24const_host_device_scalarIT0_EES2_PKS2_PKT1_SB_S8_PKT3_PKT4_S6_PT5_21rocsparse_index_base_b
    .private_segment_fixed_size: 0
    .sgpr_count:     20
    .sgpr_spill_count: 0
    .symbol:         _ZN9rocsparseL20bsrxmvn_17_32_kernelILj30Efii18rocsparse_bfloat16S1_fEEvT2_20rocsparse_direction_NS_24const_host_device_scalarIT0_EES2_PKS2_PKT1_SB_S8_PKT3_PKT4_S6_PT5_21rocsparse_index_base_b.kd
    .uniform_work_group_size: 1
    .uses_dynamic_stack: false
    .vgpr_count:     10
    .vgpr_spill_count: 0
    .wavefront_size: 32
    .workgroup_processor_mode: 1
  - .args:
      - .offset:         0
        .size:           4
        .value_kind:     by_value
      - .offset:         4
        .size:           4
        .value_kind:     by_value
      - .offset:         8
        .size:           8
        .value_kind:     by_value
      - .offset:         16
        .size:           4
        .value_kind:     by_value
      - .actual_access:  read_only
        .address_space:  global
        .offset:         24
        .size:           8
        .value_kind:     global_buffer
      - .actual_access:  read_only
        .address_space:  global
        .offset:         32
        .size:           8
        .value_kind:     global_buffer
      - .actual_access:  read_only
        .address_space:  global
        .offset:         40
        .size:           8
        .value_kind:     global_buffer
      - .actual_access:  read_only
        .address_space:  global
        .offset:         48
        .size:           8
        .value_kind:     global_buffer
      - .actual_access:  read_only
        .address_space:  global
        .offset:         56
        .size:           8
        .value_kind:     global_buffer
      - .actual_access:  read_only
        .address_space:  global
        .offset:         64
        .size:           8
        .value_kind:     global_buffer
      - .offset:         72
        .size:           8
        .value_kind:     by_value
      - .address_space:  global
        .offset:         80
        .size:           8
        .value_kind:     global_buffer
      - .offset:         88
        .size:           4
        .value_kind:     by_value
      - .offset:         92
        .size:           1
        .value_kind:     by_value
    .group_segment_fixed_size: 3844
    .kernarg_segment_align: 8
    .kernarg_segment_size: 96
    .language:       OpenCL C
    .language_version:
      - 2
      - 0
    .max_flat_workgroup_size: 961
    .name:           _ZN9rocsparseL20bsrxmvn_17_32_kernelILj31Efii18rocsparse_bfloat16S1_fEEvT2_20rocsparse_direction_NS_24const_host_device_scalarIT0_EES2_PKS2_PKT1_SB_S8_PKT3_PKT4_S6_PT5_21rocsparse_index_base_b
    .private_segment_fixed_size: 0
    .sgpr_count:     20
    .sgpr_spill_count: 0
    .symbol:         _ZN9rocsparseL20bsrxmvn_17_32_kernelILj31Efii18rocsparse_bfloat16S1_fEEvT2_20rocsparse_direction_NS_24const_host_device_scalarIT0_EES2_PKS2_PKT1_SB_S8_PKT3_PKT4_S6_PT5_21rocsparse_index_base_b.kd
    .uniform_work_group_size: 1
    .uses_dynamic_stack: false
    .vgpr_count:     10
    .vgpr_spill_count: 0
    .wavefront_size: 32
    .workgroup_processor_mode: 1
  - .args:
      - .offset:         0
        .size:           4
        .value_kind:     by_value
      - .offset:         4
        .size:           4
        .value_kind:     by_value
      - .offset:         8
        .size:           8
        .value_kind:     by_value
      - .offset:         16
        .size:           4
        .value_kind:     by_value
      - .actual_access:  read_only
        .address_space:  global
        .offset:         24
        .size:           8
        .value_kind:     global_buffer
      - .actual_access:  read_only
        .address_space:  global
        .offset:         32
        .size:           8
        .value_kind:     global_buffer
      - .actual_access:  read_only
        .address_space:  global
        .offset:         40
        .size:           8
        .value_kind:     global_buffer
      - .actual_access:  read_only
        .address_space:  global
        .offset:         48
        .size:           8
        .value_kind:     global_buffer
      - .actual_access:  read_only
        .address_space:  global
        .offset:         56
        .size:           8
        .value_kind:     global_buffer
      - .actual_access:  read_only
        .address_space:  global
        .offset:         64
        .size:           8
        .value_kind:     global_buffer
      - .offset:         72
        .size:           8
        .value_kind:     by_value
      - .address_space:  global
        .offset:         80
        .size:           8
        .value_kind:     global_buffer
      - .offset:         88
        .size:           4
        .value_kind:     by_value
      - .offset:         92
        .size:           1
        .value_kind:     by_value
    .group_segment_fixed_size: 4096
    .kernarg_segment_align: 8
    .kernarg_segment_size: 96
    .language:       OpenCL C
    .language_version:
      - 2
      - 0
    .max_flat_workgroup_size: 1024
    .name:           _ZN9rocsparseL20bsrxmvn_17_32_kernelILj32Efii18rocsparse_bfloat16S1_fEEvT2_20rocsparse_direction_NS_24const_host_device_scalarIT0_EES2_PKS2_PKT1_SB_S8_PKT3_PKT4_S6_PT5_21rocsparse_index_base_b
    .private_segment_fixed_size: 0
    .sgpr_count:     24
    .sgpr_spill_count: 0
    .symbol:         _ZN9rocsparseL20bsrxmvn_17_32_kernelILj32Efii18rocsparse_bfloat16S1_fEEvT2_20rocsparse_direction_NS_24const_host_device_scalarIT0_EES2_PKS2_PKT1_SB_S8_PKT3_PKT4_S6_PT5_21rocsparse_index_base_b.kd
    .uniform_work_group_size: 1
    .uses_dynamic_stack: false
    .vgpr_count:     9
    .vgpr_spill_count: 0
    .wavefront_size: 32
    .workgroup_processor_mode: 1
  - .args:
      - .offset:         0
        .size:           4
        .value_kind:     by_value
      - .offset:         4
        .size:           4
        .value_kind:     by_value
      - .offset:         8
        .size:           8
        .value_kind:     by_value
      - .offset:         16
        .size:           4
        .value_kind:     by_value
      - .actual_access:  read_only
        .address_space:  global
        .offset:         24
        .size:           8
        .value_kind:     global_buffer
      - .actual_access:  read_only
        .address_space:  global
        .offset:         32
        .size:           8
        .value_kind:     global_buffer
      - .actual_access:  read_only
        .address_space:  global
        .offset:         40
        .size:           8
        .value_kind:     global_buffer
      - .actual_access:  read_only
        .address_space:  global
        .offset:         48
        .size:           8
        .value_kind:     global_buffer
      - .actual_access:  read_only
        .address_space:  global
        .offset:         56
        .size:           8
        .value_kind:     global_buffer
      - .actual_access:  read_only
        .address_space:  global
        .offset:         64
        .size:           8
        .value_kind:     global_buffer
      - .offset:         72
        .size:           8
        .value_kind:     by_value
      - .address_space:  global
        .offset:         80
        .size:           8
        .value_kind:     global_buffer
      - .offset:         88
        .size:           4
        .value_kind:     by_value
      - .offset:         92
        .size:           1
        .value_kind:     by_value
    .group_segment_fixed_size: 1156
    .kernarg_segment_align: 8
    .kernarg_segment_size: 96
    .language:       OpenCL C
    .language_version:
      - 2
      - 0
    .max_flat_workgroup_size: 289
    .name:           _ZN9rocsparseL20bsrxmvn_17_32_kernelILj17Efli18rocsparse_bfloat16S1_fEEvT2_20rocsparse_direction_NS_24const_host_device_scalarIT0_EES2_PKS2_PKT1_SB_S8_PKT3_PKT4_S6_PT5_21rocsparse_index_base_b
    .private_segment_fixed_size: 0
    .sgpr_count:     26
    .sgpr_spill_count: 0
    .symbol:         _ZN9rocsparseL20bsrxmvn_17_32_kernelILj17Efli18rocsparse_bfloat16S1_fEEvT2_20rocsparse_direction_NS_24const_host_device_scalarIT0_EES2_PKS2_PKT1_SB_S8_PKT3_PKT4_S6_PT5_21rocsparse_index_base_b.kd
    .uniform_work_group_size: 1
    .uses_dynamic_stack: false
    .vgpr_count:     12
    .vgpr_spill_count: 0
    .wavefront_size: 32
    .workgroup_processor_mode: 1
  - .args:
      - .offset:         0
        .size:           4
        .value_kind:     by_value
      - .offset:         4
        .size:           4
        .value_kind:     by_value
      - .offset:         8
        .size:           8
        .value_kind:     by_value
      - .offset:         16
        .size:           4
        .value_kind:     by_value
      - .actual_access:  read_only
        .address_space:  global
        .offset:         24
        .size:           8
        .value_kind:     global_buffer
      - .actual_access:  read_only
        .address_space:  global
        .offset:         32
        .size:           8
        .value_kind:     global_buffer
      - .actual_access:  read_only
        .address_space:  global
        .offset:         40
        .size:           8
        .value_kind:     global_buffer
      - .actual_access:  read_only
        .address_space:  global
        .offset:         48
        .size:           8
        .value_kind:     global_buffer
      - .actual_access:  read_only
        .address_space:  global
        .offset:         56
        .size:           8
        .value_kind:     global_buffer
      - .actual_access:  read_only
        .address_space:  global
        .offset:         64
        .size:           8
        .value_kind:     global_buffer
      - .offset:         72
        .size:           8
        .value_kind:     by_value
      - .address_space:  global
        .offset:         80
        .size:           8
        .value_kind:     global_buffer
      - .offset:         88
        .size:           4
        .value_kind:     by_value
      - .offset:         92
        .size:           1
        .value_kind:     by_value
    .group_segment_fixed_size: 1296
    .kernarg_segment_align: 8
    .kernarg_segment_size: 96
    .language:       OpenCL C
    .language_version:
      - 2
      - 0
    .max_flat_workgroup_size: 324
    .name:           _ZN9rocsparseL20bsrxmvn_17_32_kernelILj18Efli18rocsparse_bfloat16S1_fEEvT2_20rocsparse_direction_NS_24const_host_device_scalarIT0_EES2_PKS2_PKT1_SB_S8_PKT3_PKT4_S6_PT5_21rocsparse_index_base_b
    .private_segment_fixed_size: 0
    .sgpr_count:     26
    .sgpr_spill_count: 0
    .symbol:         _ZN9rocsparseL20bsrxmvn_17_32_kernelILj18Efli18rocsparse_bfloat16S1_fEEvT2_20rocsparse_direction_NS_24const_host_device_scalarIT0_EES2_PKS2_PKT1_SB_S8_PKT3_PKT4_S6_PT5_21rocsparse_index_base_b.kd
    .uniform_work_group_size: 1
    .uses_dynamic_stack: false
    .vgpr_count:     12
    .vgpr_spill_count: 0
    .wavefront_size: 32
    .workgroup_processor_mode: 1
  - .args:
      - .offset:         0
        .size:           4
        .value_kind:     by_value
      - .offset:         4
        .size:           4
        .value_kind:     by_value
      - .offset:         8
        .size:           8
        .value_kind:     by_value
      - .offset:         16
        .size:           4
        .value_kind:     by_value
      - .actual_access:  read_only
        .address_space:  global
        .offset:         24
        .size:           8
        .value_kind:     global_buffer
      - .actual_access:  read_only
        .address_space:  global
        .offset:         32
        .size:           8
        .value_kind:     global_buffer
      - .actual_access:  read_only
        .address_space:  global
        .offset:         40
        .size:           8
        .value_kind:     global_buffer
      - .actual_access:  read_only
        .address_space:  global
        .offset:         48
        .size:           8
        .value_kind:     global_buffer
      - .actual_access:  read_only
        .address_space:  global
        .offset:         56
        .size:           8
        .value_kind:     global_buffer
      - .actual_access:  read_only
        .address_space:  global
        .offset:         64
        .size:           8
        .value_kind:     global_buffer
      - .offset:         72
        .size:           8
        .value_kind:     by_value
      - .address_space:  global
        .offset:         80
        .size:           8
        .value_kind:     global_buffer
      - .offset:         88
        .size:           4
        .value_kind:     by_value
      - .offset:         92
        .size:           1
        .value_kind:     by_value
    .group_segment_fixed_size: 1444
    .kernarg_segment_align: 8
    .kernarg_segment_size: 96
    .language:       OpenCL C
    .language_version:
      - 2
      - 0
    .max_flat_workgroup_size: 361
    .name:           _ZN9rocsparseL20bsrxmvn_17_32_kernelILj19Efli18rocsparse_bfloat16S1_fEEvT2_20rocsparse_direction_NS_24const_host_device_scalarIT0_EES2_PKS2_PKT1_SB_S8_PKT3_PKT4_S6_PT5_21rocsparse_index_base_b
    .private_segment_fixed_size: 0
    .sgpr_count:     26
    .sgpr_spill_count: 0
    .symbol:         _ZN9rocsparseL20bsrxmvn_17_32_kernelILj19Efli18rocsparse_bfloat16S1_fEEvT2_20rocsparse_direction_NS_24const_host_device_scalarIT0_EES2_PKS2_PKT1_SB_S8_PKT3_PKT4_S6_PT5_21rocsparse_index_base_b.kd
    .uniform_work_group_size: 1
    .uses_dynamic_stack: false
    .vgpr_count:     12
    .vgpr_spill_count: 0
    .wavefront_size: 32
    .workgroup_processor_mode: 1
  - .args:
      - .offset:         0
        .size:           4
        .value_kind:     by_value
      - .offset:         4
        .size:           4
        .value_kind:     by_value
      - .offset:         8
        .size:           8
        .value_kind:     by_value
      - .offset:         16
        .size:           4
        .value_kind:     by_value
      - .actual_access:  read_only
        .address_space:  global
        .offset:         24
        .size:           8
        .value_kind:     global_buffer
      - .actual_access:  read_only
        .address_space:  global
        .offset:         32
        .size:           8
        .value_kind:     global_buffer
      - .actual_access:  read_only
        .address_space:  global
        .offset:         40
        .size:           8
        .value_kind:     global_buffer
      - .actual_access:  read_only
        .address_space:  global
        .offset:         48
        .size:           8
        .value_kind:     global_buffer
      - .actual_access:  read_only
        .address_space:  global
        .offset:         56
        .size:           8
        .value_kind:     global_buffer
      - .actual_access:  read_only
        .address_space:  global
        .offset:         64
        .size:           8
        .value_kind:     global_buffer
      - .offset:         72
        .size:           8
        .value_kind:     by_value
      - .address_space:  global
        .offset:         80
        .size:           8
        .value_kind:     global_buffer
      - .offset:         88
        .size:           4
        .value_kind:     by_value
      - .offset:         92
        .size:           1
        .value_kind:     by_value
    .group_segment_fixed_size: 1600
    .kernarg_segment_align: 8
    .kernarg_segment_size: 96
    .language:       OpenCL C
    .language_version:
      - 2
      - 0
    .max_flat_workgroup_size: 400
    .name:           _ZN9rocsparseL20bsrxmvn_17_32_kernelILj20Efli18rocsparse_bfloat16S1_fEEvT2_20rocsparse_direction_NS_24const_host_device_scalarIT0_EES2_PKS2_PKT1_SB_S8_PKT3_PKT4_S6_PT5_21rocsparse_index_base_b
    .private_segment_fixed_size: 0
    .sgpr_count:     26
    .sgpr_spill_count: 0
    .symbol:         _ZN9rocsparseL20bsrxmvn_17_32_kernelILj20Efli18rocsparse_bfloat16S1_fEEvT2_20rocsparse_direction_NS_24const_host_device_scalarIT0_EES2_PKS2_PKT1_SB_S8_PKT3_PKT4_S6_PT5_21rocsparse_index_base_b.kd
    .uniform_work_group_size: 1
    .uses_dynamic_stack: false
    .vgpr_count:     12
    .vgpr_spill_count: 0
    .wavefront_size: 32
    .workgroup_processor_mode: 1
  - .args:
      - .offset:         0
        .size:           4
        .value_kind:     by_value
      - .offset:         4
        .size:           4
        .value_kind:     by_value
      - .offset:         8
        .size:           8
        .value_kind:     by_value
      - .offset:         16
        .size:           4
        .value_kind:     by_value
      - .actual_access:  read_only
        .address_space:  global
        .offset:         24
        .size:           8
        .value_kind:     global_buffer
      - .actual_access:  read_only
        .address_space:  global
        .offset:         32
        .size:           8
        .value_kind:     global_buffer
      - .actual_access:  read_only
        .address_space:  global
        .offset:         40
        .size:           8
        .value_kind:     global_buffer
      - .actual_access:  read_only
        .address_space:  global
        .offset:         48
        .size:           8
        .value_kind:     global_buffer
      - .actual_access:  read_only
        .address_space:  global
        .offset:         56
        .size:           8
        .value_kind:     global_buffer
      - .actual_access:  read_only
        .address_space:  global
        .offset:         64
        .size:           8
        .value_kind:     global_buffer
      - .offset:         72
        .size:           8
        .value_kind:     by_value
      - .address_space:  global
        .offset:         80
        .size:           8
        .value_kind:     global_buffer
      - .offset:         88
        .size:           4
        .value_kind:     by_value
      - .offset:         92
        .size:           1
        .value_kind:     by_value
    .group_segment_fixed_size: 1764
    .kernarg_segment_align: 8
    .kernarg_segment_size: 96
    .language:       OpenCL C
    .language_version:
      - 2
      - 0
    .max_flat_workgroup_size: 441
    .name:           _ZN9rocsparseL20bsrxmvn_17_32_kernelILj21Efli18rocsparse_bfloat16S1_fEEvT2_20rocsparse_direction_NS_24const_host_device_scalarIT0_EES2_PKS2_PKT1_SB_S8_PKT3_PKT4_S6_PT5_21rocsparse_index_base_b
    .private_segment_fixed_size: 0
    .sgpr_count:     26
    .sgpr_spill_count: 0
    .symbol:         _ZN9rocsparseL20bsrxmvn_17_32_kernelILj21Efli18rocsparse_bfloat16S1_fEEvT2_20rocsparse_direction_NS_24const_host_device_scalarIT0_EES2_PKS2_PKT1_SB_S8_PKT3_PKT4_S6_PT5_21rocsparse_index_base_b.kd
    .uniform_work_group_size: 1
    .uses_dynamic_stack: false
    .vgpr_count:     12
    .vgpr_spill_count: 0
    .wavefront_size: 32
    .workgroup_processor_mode: 1
  - .args:
      - .offset:         0
        .size:           4
        .value_kind:     by_value
      - .offset:         4
        .size:           4
        .value_kind:     by_value
      - .offset:         8
        .size:           8
        .value_kind:     by_value
      - .offset:         16
        .size:           4
        .value_kind:     by_value
      - .actual_access:  read_only
        .address_space:  global
        .offset:         24
        .size:           8
        .value_kind:     global_buffer
      - .actual_access:  read_only
        .address_space:  global
        .offset:         32
        .size:           8
        .value_kind:     global_buffer
      - .actual_access:  read_only
        .address_space:  global
        .offset:         40
        .size:           8
        .value_kind:     global_buffer
      - .actual_access:  read_only
        .address_space:  global
        .offset:         48
        .size:           8
        .value_kind:     global_buffer
      - .actual_access:  read_only
        .address_space:  global
        .offset:         56
        .size:           8
        .value_kind:     global_buffer
      - .actual_access:  read_only
        .address_space:  global
        .offset:         64
        .size:           8
        .value_kind:     global_buffer
      - .offset:         72
        .size:           8
        .value_kind:     by_value
      - .address_space:  global
        .offset:         80
        .size:           8
        .value_kind:     global_buffer
      - .offset:         88
        .size:           4
        .value_kind:     by_value
      - .offset:         92
        .size:           1
        .value_kind:     by_value
    .group_segment_fixed_size: 1936
    .kernarg_segment_align: 8
    .kernarg_segment_size: 96
    .language:       OpenCL C
    .language_version:
      - 2
      - 0
    .max_flat_workgroup_size: 484
    .name:           _ZN9rocsparseL20bsrxmvn_17_32_kernelILj22Efli18rocsparse_bfloat16S1_fEEvT2_20rocsparse_direction_NS_24const_host_device_scalarIT0_EES2_PKS2_PKT1_SB_S8_PKT3_PKT4_S6_PT5_21rocsparse_index_base_b
    .private_segment_fixed_size: 0
    .sgpr_count:     26
    .sgpr_spill_count: 0
    .symbol:         _ZN9rocsparseL20bsrxmvn_17_32_kernelILj22Efli18rocsparse_bfloat16S1_fEEvT2_20rocsparse_direction_NS_24const_host_device_scalarIT0_EES2_PKS2_PKT1_SB_S8_PKT3_PKT4_S6_PT5_21rocsparse_index_base_b.kd
    .uniform_work_group_size: 1
    .uses_dynamic_stack: false
    .vgpr_count:     12
    .vgpr_spill_count: 0
    .wavefront_size: 32
    .workgroup_processor_mode: 1
  - .args:
      - .offset:         0
        .size:           4
        .value_kind:     by_value
      - .offset:         4
        .size:           4
        .value_kind:     by_value
      - .offset:         8
        .size:           8
        .value_kind:     by_value
      - .offset:         16
        .size:           4
        .value_kind:     by_value
      - .actual_access:  read_only
        .address_space:  global
        .offset:         24
        .size:           8
        .value_kind:     global_buffer
      - .actual_access:  read_only
        .address_space:  global
        .offset:         32
        .size:           8
        .value_kind:     global_buffer
      - .actual_access:  read_only
        .address_space:  global
        .offset:         40
        .size:           8
        .value_kind:     global_buffer
      - .actual_access:  read_only
        .address_space:  global
        .offset:         48
        .size:           8
        .value_kind:     global_buffer
      - .actual_access:  read_only
        .address_space:  global
        .offset:         56
        .size:           8
        .value_kind:     global_buffer
      - .actual_access:  read_only
        .address_space:  global
        .offset:         64
        .size:           8
        .value_kind:     global_buffer
      - .offset:         72
        .size:           8
        .value_kind:     by_value
      - .address_space:  global
        .offset:         80
        .size:           8
        .value_kind:     global_buffer
      - .offset:         88
        .size:           4
        .value_kind:     by_value
      - .offset:         92
        .size:           1
        .value_kind:     by_value
    .group_segment_fixed_size: 2116
    .kernarg_segment_align: 8
    .kernarg_segment_size: 96
    .language:       OpenCL C
    .language_version:
      - 2
      - 0
    .max_flat_workgroup_size: 529
    .name:           _ZN9rocsparseL20bsrxmvn_17_32_kernelILj23Efli18rocsparse_bfloat16S1_fEEvT2_20rocsparse_direction_NS_24const_host_device_scalarIT0_EES2_PKS2_PKT1_SB_S8_PKT3_PKT4_S6_PT5_21rocsparse_index_base_b
    .private_segment_fixed_size: 0
    .sgpr_count:     26
    .sgpr_spill_count: 0
    .symbol:         _ZN9rocsparseL20bsrxmvn_17_32_kernelILj23Efli18rocsparse_bfloat16S1_fEEvT2_20rocsparse_direction_NS_24const_host_device_scalarIT0_EES2_PKS2_PKT1_SB_S8_PKT3_PKT4_S6_PT5_21rocsparse_index_base_b.kd
    .uniform_work_group_size: 1
    .uses_dynamic_stack: false
    .vgpr_count:     12
    .vgpr_spill_count: 0
    .wavefront_size: 32
    .workgroup_processor_mode: 1
  - .args:
      - .offset:         0
        .size:           4
        .value_kind:     by_value
      - .offset:         4
        .size:           4
        .value_kind:     by_value
      - .offset:         8
        .size:           8
        .value_kind:     by_value
      - .offset:         16
        .size:           4
        .value_kind:     by_value
      - .actual_access:  read_only
        .address_space:  global
        .offset:         24
        .size:           8
        .value_kind:     global_buffer
      - .actual_access:  read_only
        .address_space:  global
        .offset:         32
        .size:           8
        .value_kind:     global_buffer
      - .actual_access:  read_only
        .address_space:  global
        .offset:         40
        .size:           8
        .value_kind:     global_buffer
      - .actual_access:  read_only
        .address_space:  global
        .offset:         48
        .size:           8
        .value_kind:     global_buffer
      - .actual_access:  read_only
        .address_space:  global
        .offset:         56
        .size:           8
        .value_kind:     global_buffer
      - .actual_access:  read_only
        .address_space:  global
        .offset:         64
        .size:           8
        .value_kind:     global_buffer
      - .offset:         72
        .size:           8
        .value_kind:     by_value
      - .address_space:  global
        .offset:         80
        .size:           8
        .value_kind:     global_buffer
      - .offset:         88
        .size:           4
        .value_kind:     by_value
      - .offset:         92
        .size:           1
        .value_kind:     by_value
    .group_segment_fixed_size: 2304
    .kernarg_segment_align: 8
    .kernarg_segment_size: 96
    .language:       OpenCL C
    .language_version:
      - 2
      - 0
    .max_flat_workgroup_size: 576
    .name:           _ZN9rocsparseL20bsrxmvn_17_32_kernelILj24Efli18rocsparse_bfloat16S1_fEEvT2_20rocsparse_direction_NS_24const_host_device_scalarIT0_EES2_PKS2_PKT1_SB_S8_PKT3_PKT4_S6_PT5_21rocsparse_index_base_b
    .private_segment_fixed_size: 0
    .sgpr_count:     26
    .sgpr_spill_count: 0
    .symbol:         _ZN9rocsparseL20bsrxmvn_17_32_kernelILj24Efli18rocsparse_bfloat16S1_fEEvT2_20rocsparse_direction_NS_24const_host_device_scalarIT0_EES2_PKS2_PKT1_SB_S8_PKT3_PKT4_S6_PT5_21rocsparse_index_base_b.kd
    .uniform_work_group_size: 1
    .uses_dynamic_stack: false
    .vgpr_count:     12
    .vgpr_spill_count: 0
    .wavefront_size: 32
    .workgroup_processor_mode: 1
  - .args:
      - .offset:         0
        .size:           4
        .value_kind:     by_value
      - .offset:         4
        .size:           4
        .value_kind:     by_value
      - .offset:         8
        .size:           8
        .value_kind:     by_value
      - .offset:         16
        .size:           4
        .value_kind:     by_value
      - .actual_access:  read_only
        .address_space:  global
        .offset:         24
        .size:           8
        .value_kind:     global_buffer
      - .actual_access:  read_only
        .address_space:  global
        .offset:         32
        .size:           8
        .value_kind:     global_buffer
      - .actual_access:  read_only
        .address_space:  global
        .offset:         40
        .size:           8
        .value_kind:     global_buffer
      - .actual_access:  read_only
        .address_space:  global
        .offset:         48
        .size:           8
        .value_kind:     global_buffer
      - .actual_access:  read_only
        .address_space:  global
        .offset:         56
        .size:           8
        .value_kind:     global_buffer
      - .actual_access:  read_only
        .address_space:  global
        .offset:         64
        .size:           8
        .value_kind:     global_buffer
      - .offset:         72
        .size:           8
        .value_kind:     by_value
      - .address_space:  global
        .offset:         80
        .size:           8
        .value_kind:     global_buffer
      - .offset:         88
        .size:           4
        .value_kind:     by_value
      - .offset:         92
        .size:           1
        .value_kind:     by_value
    .group_segment_fixed_size: 2500
    .kernarg_segment_align: 8
    .kernarg_segment_size: 96
    .language:       OpenCL C
    .language_version:
      - 2
      - 0
    .max_flat_workgroup_size: 625
    .name:           _ZN9rocsparseL20bsrxmvn_17_32_kernelILj25Efli18rocsparse_bfloat16S1_fEEvT2_20rocsparse_direction_NS_24const_host_device_scalarIT0_EES2_PKS2_PKT1_SB_S8_PKT3_PKT4_S6_PT5_21rocsparse_index_base_b
    .private_segment_fixed_size: 0
    .sgpr_count:     26
    .sgpr_spill_count: 0
    .symbol:         _ZN9rocsparseL20bsrxmvn_17_32_kernelILj25Efli18rocsparse_bfloat16S1_fEEvT2_20rocsparse_direction_NS_24const_host_device_scalarIT0_EES2_PKS2_PKT1_SB_S8_PKT3_PKT4_S6_PT5_21rocsparse_index_base_b.kd
    .uniform_work_group_size: 1
    .uses_dynamic_stack: false
    .vgpr_count:     12
    .vgpr_spill_count: 0
    .wavefront_size: 32
    .workgroup_processor_mode: 1
  - .args:
      - .offset:         0
        .size:           4
        .value_kind:     by_value
      - .offset:         4
        .size:           4
        .value_kind:     by_value
      - .offset:         8
        .size:           8
        .value_kind:     by_value
      - .offset:         16
        .size:           4
        .value_kind:     by_value
      - .actual_access:  read_only
        .address_space:  global
        .offset:         24
        .size:           8
        .value_kind:     global_buffer
      - .actual_access:  read_only
        .address_space:  global
        .offset:         32
        .size:           8
        .value_kind:     global_buffer
      - .actual_access:  read_only
        .address_space:  global
        .offset:         40
        .size:           8
        .value_kind:     global_buffer
      - .actual_access:  read_only
        .address_space:  global
        .offset:         48
        .size:           8
        .value_kind:     global_buffer
      - .actual_access:  read_only
        .address_space:  global
        .offset:         56
        .size:           8
        .value_kind:     global_buffer
      - .actual_access:  read_only
        .address_space:  global
        .offset:         64
        .size:           8
        .value_kind:     global_buffer
      - .offset:         72
        .size:           8
        .value_kind:     by_value
      - .address_space:  global
        .offset:         80
        .size:           8
        .value_kind:     global_buffer
      - .offset:         88
        .size:           4
        .value_kind:     by_value
      - .offset:         92
        .size:           1
        .value_kind:     by_value
    .group_segment_fixed_size: 2704
    .kernarg_segment_align: 8
    .kernarg_segment_size: 96
    .language:       OpenCL C
    .language_version:
      - 2
      - 0
    .max_flat_workgroup_size: 676
    .name:           _ZN9rocsparseL20bsrxmvn_17_32_kernelILj26Efli18rocsparse_bfloat16S1_fEEvT2_20rocsparse_direction_NS_24const_host_device_scalarIT0_EES2_PKS2_PKT1_SB_S8_PKT3_PKT4_S6_PT5_21rocsparse_index_base_b
    .private_segment_fixed_size: 0
    .sgpr_count:     26
    .sgpr_spill_count: 0
    .symbol:         _ZN9rocsparseL20bsrxmvn_17_32_kernelILj26Efli18rocsparse_bfloat16S1_fEEvT2_20rocsparse_direction_NS_24const_host_device_scalarIT0_EES2_PKS2_PKT1_SB_S8_PKT3_PKT4_S6_PT5_21rocsparse_index_base_b.kd
    .uniform_work_group_size: 1
    .uses_dynamic_stack: false
    .vgpr_count:     12
    .vgpr_spill_count: 0
    .wavefront_size: 32
    .workgroup_processor_mode: 1
  - .args:
      - .offset:         0
        .size:           4
        .value_kind:     by_value
      - .offset:         4
        .size:           4
        .value_kind:     by_value
      - .offset:         8
        .size:           8
        .value_kind:     by_value
      - .offset:         16
        .size:           4
        .value_kind:     by_value
      - .actual_access:  read_only
        .address_space:  global
        .offset:         24
        .size:           8
        .value_kind:     global_buffer
      - .actual_access:  read_only
        .address_space:  global
        .offset:         32
        .size:           8
        .value_kind:     global_buffer
      - .actual_access:  read_only
        .address_space:  global
        .offset:         40
        .size:           8
        .value_kind:     global_buffer
      - .actual_access:  read_only
        .address_space:  global
        .offset:         48
        .size:           8
        .value_kind:     global_buffer
      - .actual_access:  read_only
        .address_space:  global
        .offset:         56
        .size:           8
        .value_kind:     global_buffer
      - .actual_access:  read_only
        .address_space:  global
        .offset:         64
        .size:           8
        .value_kind:     global_buffer
      - .offset:         72
        .size:           8
        .value_kind:     by_value
      - .address_space:  global
        .offset:         80
        .size:           8
        .value_kind:     global_buffer
      - .offset:         88
        .size:           4
        .value_kind:     by_value
      - .offset:         92
        .size:           1
        .value_kind:     by_value
    .group_segment_fixed_size: 2916
    .kernarg_segment_align: 8
    .kernarg_segment_size: 96
    .language:       OpenCL C
    .language_version:
      - 2
      - 0
    .max_flat_workgroup_size: 729
    .name:           _ZN9rocsparseL20bsrxmvn_17_32_kernelILj27Efli18rocsparse_bfloat16S1_fEEvT2_20rocsparse_direction_NS_24const_host_device_scalarIT0_EES2_PKS2_PKT1_SB_S8_PKT3_PKT4_S6_PT5_21rocsparse_index_base_b
    .private_segment_fixed_size: 0
    .sgpr_count:     26
    .sgpr_spill_count: 0
    .symbol:         _ZN9rocsparseL20bsrxmvn_17_32_kernelILj27Efli18rocsparse_bfloat16S1_fEEvT2_20rocsparse_direction_NS_24const_host_device_scalarIT0_EES2_PKS2_PKT1_SB_S8_PKT3_PKT4_S6_PT5_21rocsparse_index_base_b.kd
    .uniform_work_group_size: 1
    .uses_dynamic_stack: false
    .vgpr_count:     12
    .vgpr_spill_count: 0
    .wavefront_size: 32
    .workgroup_processor_mode: 1
  - .args:
      - .offset:         0
        .size:           4
        .value_kind:     by_value
      - .offset:         4
        .size:           4
        .value_kind:     by_value
      - .offset:         8
        .size:           8
        .value_kind:     by_value
      - .offset:         16
        .size:           4
        .value_kind:     by_value
      - .actual_access:  read_only
        .address_space:  global
        .offset:         24
        .size:           8
        .value_kind:     global_buffer
      - .actual_access:  read_only
        .address_space:  global
        .offset:         32
        .size:           8
        .value_kind:     global_buffer
      - .actual_access:  read_only
        .address_space:  global
        .offset:         40
        .size:           8
        .value_kind:     global_buffer
      - .actual_access:  read_only
        .address_space:  global
        .offset:         48
        .size:           8
        .value_kind:     global_buffer
      - .actual_access:  read_only
        .address_space:  global
        .offset:         56
        .size:           8
        .value_kind:     global_buffer
      - .actual_access:  read_only
        .address_space:  global
        .offset:         64
        .size:           8
        .value_kind:     global_buffer
      - .offset:         72
        .size:           8
        .value_kind:     by_value
      - .address_space:  global
        .offset:         80
        .size:           8
        .value_kind:     global_buffer
      - .offset:         88
        .size:           4
        .value_kind:     by_value
      - .offset:         92
        .size:           1
        .value_kind:     by_value
    .group_segment_fixed_size: 3136
    .kernarg_segment_align: 8
    .kernarg_segment_size: 96
    .language:       OpenCL C
    .language_version:
      - 2
      - 0
    .max_flat_workgroup_size: 784
    .name:           _ZN9rocsparseL20bsrxmvn_17_32_kernelILj28Efli18rocsparse_bfloat16S1_fEEvT2_20rocsparse_direction_NS_24const_host_device_scalarIT0_EES2_PKS2_PKT1_SB_S8_PKT3_PKT4_S6_PT5_21rocsparse_index_base_b
    .private_segment_fixed_size: 0
    .sgpr_count:     26
    .sgpr_spill_count: 0
    .symbol:         _ZN9rocsparseL20bsrxmvn_17_32_kernelILj28Efli18rocsparse_bfloat16S1_fEEvT2_20rocsparse_direction_NS_24const_host_device_scalarIT0_EES2_PKS2_PKT1_SB_S8_PKT3_PKT4_S6_PT5_21rocsparse_index_base_b.kd
    .uniform_work_group_size: 1
    .uses_dynamic_stack: false
    .vgpr_count:     12
    .vgpr_spill_count: 0
    .wavefront_size: 32
    .workgroup_processor_mode: 1
  - .args:
      - .offset:         0
        .size:           4
        .value_kind:     by_value
      - .offset:         4
        .size:           4
        .value_kind:     by_value
      - .offset:         8
        .size:           8
        .value_kind:     by_value
      - .offset:         16
        .size:           4
        .value_kind:     by_value
      - .actual_access:  read_only
        .address_space:  global
        .offset:         24
        .size:           8
        .value_kind:     global_buffer
      - .actual_access:  read_only
        .address_space:  global
        .offset:         32
        .size:           8
        .value_kind:     global_buffer
      - .actual_access:  read_only
        .address_space:  global
        .offset:         40
        .size:           8
        .value_kind:     global_buffer
      - .actual_access:  read_only
        .address_space:  global
        .offset:         48
        .size:           8
        .value_kind:     global_buffer
      - .actual_access:  read_only
        .address_space:  global
        .offset:         56
        .size:           8
        .value_kind:     global_buffer
      - .actual_access:  read_only
        .address_space:  global
        .offset:         64
        .size:           8
        .value_kind:     global_buffer
      - .offset:         72
        .size:           8
        .value_kind:     by_value
      - .address_space:  global
        .offset:         80
        .size:           8
        .value_kind:     global_buffer
      - .offset:         88
        .size:           4
        .value_kind:     by_value
      - .offset:         92
        .size:           1
        .value_kind:     by_value
    .group_segment_fixed_size: 3364
    .kernarg_segment_align: 8
    .kernarg_segment_size: 96
    .language:       OpenCL C
    .language_version:
      - 2
      - 0
    .max_flat_workgroup_size: 841
    .name:           _ZN9rocsparseL20bsrxmvn_17_32_kernelILj29Efli18rocsparse_bfloat16S1_fEEvT2_20rocsparse_direction_NS_24const_host_device_scalarIT0_EES2_PKS2_PKT1_SB_S8_PKT3_PKT4_S6_PT5_21rocsparse_index_base_b
    .private_segment_fixed_size: 0
    .sgpr_count:     26
    .sgpr_spill_count: 0
    .symbol:         _ZN9rocsparseL20bsrxmvn_17_32_kernelILj29Efli18rocsparse_bfloat16S1_fEEvT2_20rocsparse_direction_NS_24const_host_device_scalarIT0_EES2_PKS2_PKT1_SB_S8_PKT3_PKT4_S6_PT5_21rocsparse_index_base_b.kd
    .uniform_work_group_size: 1
    .uses_dynamic_stack: false
    .vgpr_count:     12
    .vgpr_spill_count: 0
    .wavefront_size: 32
    .workgroup_processor_mode: 1
  - .args:
      - .offset:         0
        .size:           4
        .value_kind:     by_value
      - .offset:         4
        .size:           4
        .value_kind:     by_value
      - .offset:         8
        .size:           8
        .value_kind:     by_value
      - .offset:         16
        .size:           4
        .value_kind:     by_value
      - .actual_access:  read_only
        .address_space:  global
        .offset:         24
        .size:           8
        .value_kind:     global_buffer
      - .actual_access:  read_only
        .address_space:  global
        .offset:         32
        .size:           8
        .value_kind:     global_buffer
      - .actual_access:  read_only
        .address_space:  global
        .offset:         40
        .size:           8
        .value_kind:     global_buffer
      - .actual_access:  read_only
        .address_space:  global
        .offset:         48
        .size:           8
        .value_kind:     global_buffer
      - .actual_access:  read_only
        .address_space:  global
        .offset:         56
        .size:           8
        .value_kind:     global_buffer
      - .actual_access:  read_only
        .address_space:  global
        .offset:         64
        .size:           8
        .value_kind:     global_buffer
      - .offset:         72
        .size:           8
        .value_kind:     by_value
      - .address_space:  global
        .offset:         80
        .size:           8
        .value_kind:     global_buffer
      - .offset:         88
        .size:           4
        .value_kind:     by_value
      - .offset:         92
        .size:           1
        .value_kind:     by_value
    .group_segment_fixed_size: 3600
    .kernarg_segment_align: 8
    .kernarg_segment_size: 96
    .language:       OpenCL C
    .language_version:
      - 2
      - 0
    .max_flat_workgroup_size: 900
    .name:           _ZN9rocsparseL20bsrxmvn_17_32_kernelILj30Efli18rocsparse_bfloat16S1_fEEvT2_20rocsparse_direction_NS_24const_host_device_scalarIT0_EES2_PKS2_PKT1_SB_S8_PKT3_PKT4_S6_PT5_21rocsparse_index_base_b
    .private_segment_fixed_size: 0
    .sgpr_count:     26
    .sgpr_spill_count: 0
    .symbol:         _ZN9rocsparseL20bsrxmvn_17_32_kernelILj30Efli18rocsparse_bfloat16S1_fEEvT2_20rocsparse_direction_NS_24const_host_device_scalarIT0_EES2_PKS2_PKT1_SB_S8_PKT3_PKT4_S6_PT5_21rocsparse_index_base_b.kd
    .uniform_work_group_size: 1
    .uses_dynamic_stack: false
    .vgpr_count:     12
    .vgpr_spill_count: 0
    .wavefront_size: 32
    .workgroup_processor_mode: 1
  - .args:
      - .offset:         0
        .size:           4
        .value_kind:     by_value
      - .offset:         4
        .size:           4
        .value_kind:     by_value
      - .offset:         8
        .size:           8
        .value_kind:     by_value
      - .offset:         16
        .size:           4
        .value_kind:     by_value
      - .actual_access:  read_only
        .address_space:  global
        .offset:         24
        .size:           8
        .value_kind:     global_buffer
      - .actual_access:  read_only
        .address_space:  global
        .offset:         32
        .size:           8
        .value_kind:     global_buffer
      - .actual_access:  read_only
        .address_space:  global
        .offset:         40
        .size:           8
        .value_kind:     global_buffer
      - .actual_access:  read_only
        .address_space:  global
        .offset:         48
        .size:           8
        .value_kind:     global_buffer
      - .actual_access:  read_only
        .address_space:  global
        .offset:         56
        .size:           8
        .value_kind:     global_buffer
      - .actual_access:  read_only
        .address_space:  global
        .offset:         64
        .size:           8
        .value_kind:     global_buffer
      - .offset:         72
        .size:           8
        .value_kind:     by_value
      - .address_space:  global
        .offset:         80
        .size:           8
        .value_kind:     global_buffer
      - .offset:         88
        .size:           4
        .value_kind:     by_value
      - .offset:         92
        .size:           1
        .value_kind:     by_value
    .group_segment_fixed_size: 3844
    .kernarg_segment_align: 8
    .kernarg_segment_size: 96
    .language:       OpenCL C
    .language_version:
      - 2
      - 0
    .max_flat_workgroup_size: 961
    .name:           _ZN9rocsparseL20bsrxmvn_17_32_kernelILj31Efli18rocsparse_bfloat16S1_fEEvT2_20rocsparse_direction_NS_24const_host_device_scalarIT0_EES2_PKS2_PKT1_SB_S8_PKT3_PKT4_S6_PT5_21rocsparse_index_base_b
    .private_segment_fixed_size: 0
    .sgpr_count:     26
    .sgpr_spill_count: 0
    .symbol:         _ZN9rocsparseL20bsrxmvn_17_32_kernelILj31Efli18rocsparse_bfloat16S1_fEEvT2_20rocsparse_direction_NS_24const_host_device_scalarIT0_EES2_PKS2_PKT1_SB_S8_PKT3_PKT4_S6_PT5_21rocsparse_index_base_b.kd
    .uniform_work_group_size: 1
    .uses_dynamic_stack: false
    .vgpr_count:     12
    .vgpr_spill_count: 0
    .wavefront_size: 32
    .workgroup_processor_mode: 1
  - .args:
      - .offset:         0
        .size:           4
        .value_kind:     by_value
      - .offset:         4
        .size:           4
        .value_kind:     by_value
      - .offset:         8
        .size:           8
        .value_kind:     by_value
      - .offset:         16
        .size:           4
        .value_kind:     by_value
      - .actual_access:  read_only
        .address_space:  global
        .offset:         24
        .size:           8
        .value_kind:     global_buffer
      - .actual_access:  read_only
        .address_space:  global
        .offset:         32
        .size:           8
        .value_kind:     global_buffer
      - .actual_access:  read_only
        .address_space:  global
        .offset:         40
        .size:           8
        .value_kind:     global_buffer
      - .actual_access:  read_only
        .address_space:  global
        .offset:         48
        .size:           8
        .value_kind:     global_buffer
      - .actual_access:  read_only
        .address_space:  global
        .offset:         56
        .size:           8
        .value_kind:     global_buffer
      - .actual_access:  read_only
        .address_space:  global
        .offset:         64
        .size:           8
        .value_kind:     global_buffer
      - .offset:         72
        .size:           8
        .value_kind:     by_value
      - .address_space:  global
        .offset:         80
        .size:           8
        .value_kind:     global_buffer
      - .offset:         88
        .size:           4
        .value_kind:     by_value
      - .offset:         92
        .size:           1
        .value_kind:     by_value
    .group_segment_fixed_size: 4096
    .kernarg_segment_align: 8
    .kernarg_segment_size: 96
    .language:       OpenCL C
    .language_version:
      - 2
      - 0
    .max_flat_workgroup_size: 1024
    .name:           _ZN9rocsparseL20bsrxmvn_17_32_kernelILj32Efli18rocsparse_bfloat16S1_fEEvT2_20rocsparse_direction_NS_24const_host_device_scalarIT0_EES2_PKS2_PKT1_SB_S8_PKT3_PKT4_S6_PT5_21rocsparse_index_base_b
    .private_segment_fixed_size: 0
    .sgpr_count:     30
    .sgpr_spill_count: 0
    .symbol:         _ZN9rocsparseL20bsrxmvn_17_32_kernelILj32Efli18rocsparse_bfloat16S1_fEEvT2_20rocsparse_direction_NS_24const_host_device_scalarIT0_EES2_PKS2_PKT1_SB_S8_PKT3_PKT4_S6_PT5_21rocsparse_index_base_b.kd
    .uniform_work_group_size: 1
    .uses_dynamic_stack: false
    .vgpr_count:     9
    .vgpr_spill_count: 0
    .wavefront_size: 32
    .workgroup_processor_mode: 1
  - .args:
      - .offset:         0
        .size:           8
        .value_kind:     by_value
      - .offset:         8
        .size:           4
        .value_kind:     by_value
      - .offset:         16
        .size:           8
        .value_kind:     by_value
      - .offset:         24
        .size:           8
        .value_kind:     by_value
      - .actual_access:  read_only
        .address_space:  global
        .offset:         32
        .size:           8
        .value_kind:     global_buffer
      - .actual_access:  read_only
        .address_space:  global
        .offset:         40
        .size:           8
        .value_kind:     global_buffer
      - .actual_access:  read_only
        .address_space:  global
        .offset:         48
        .size:           8
        .value_kind:     global_buffer
      - .actual_access:  read_only
        .address_space:  global
        .offset:         56
        .size:           8
        .value_kind:     global_buffer
      - .actual_access:  read_only
        .address_space:  global
        .offset:         64
        .size:           8
        .value_kind:     global_buffer
      - .actual_access:  read_only
        .address_space:  global
        .offset:         72
        .size:           8
        .value_kind:     global_buffer
      - .offset:         80
        .size:           8
        .value_kind:     by_value
      - .address_space:  global
        .offset:         88
        .size:           8
        .value_kind:     global_buffer
      - .offset:         96
        .size:           4
        .value_kind:     by_value
      - .offset:         100
        .size:           1
        .value_kind:     by_value
    .group_segment_fixed_size: 1156
    .kernarg_segment_align: 8
    .kernarg_segment_size: 104
    .language:       OpenCL C
    .language_version:
      - 2
      - 0
    .max_flat_workgroup_size: 289
    .name:           _ZN9rocsparseL20bsrxmvn_17_32_kernelILj17Efll18rocsparse_bfloat16S1_fEEvT2_20rocsparse_direction_NS_24const_host_device_scalarIT0_EES2_PKS2_PKT1_SB_S8_PKT3_PKT4_S6_PT5_21rocsparse_index_base_b
    .private_segment_fixed_size: 0
    .sgpr_count:     26
    .sgpr_spill_count: 0
    .symbol:         _ZN9rocsparseL20bsrxmvn_17_32_kernelILj17Efll18rocsparse_bfloat16S1_fEEvT2_20rocsparse_direction_NS_24const_host_device_scalarIT0_EES2_PKS2_PKT1_SB_S8_PKT3_PKT4_S6_PT5_21rocsparse_index_base_b.kd
    .uniform_work_group_size: 1
    .uses_dynamic_stack: false
    .vgpr_count:     15
    .vgpr_spill_count: 0
    .wavefront_size: 32
    .workgroup_processor_mode: 1
  - .args:
      - .offset:         0
        .size:           8
        .value_kind:     by_value
      - .offset:         8
        .size:           4
        .value_kind:     by_value
      - .offset:         16
        .size:           8
        .value_kind:     by_value
      - .offset:         24
        .size:           8
        .value_kind:     by_value
      - .actual_access:  read_only
        .address_space:  global
        .offset:         32
        .size:           8
        .value_kind:     global_buffer
      - .actual_access:  read_only
        .address_space:  global
        .offset:         40
        .size:           8
        .value_kind:     global_buffer
      - .actual_access:  read_only
        .address_space:  global
        .offset:         48
        .size:           8
        .value_kind:     global_buffer
      - .actual_access:  read_only
        .address_space:  global
        .offset:         56
        .size:           8
        .value_kind:     global_buffer
      - .actual_access:  read_only
        .address_space:  global
        .offset:         64
        .size:           8
        .value_kind:     global_buffer
      - .actual_access:  read_only
        .address_space:  global
        .offset:         72
        .size:           8
        .value_kind:     global_buffer
      - .offset:         80
        .size:           8
        .value_kind:     by_value
      - .address_space:  global
        .offset:         88
        .size:           8
        .value_kind:     global_buffer
      - .offset:         96
        .size:           4
        .value_kind:     by_value
      - .offset:         100
        .size:           1
        .value_kind:     by_value
    .group_segment_fixed_size: 1296
    .kernarg_segment_align: 8
    .kernarg_segment_size: 104
    .language:       OpenCL C
    .language_version:
      - 2
      - 0
    .max_flat_workgroup_size: 324
    .name:           _ZN9rocsparseL20bsrxmvn_17_32_kernelILj18Efll18rocsparse_bfloat16S1_fEEvT2_20rocsparse_direction_NS_24const_host_device_scalarIT0_EES2_PKS2_PKT1_SB_S8_PKT3_PKT4_S6_PT5_21rocsparse_index_base_b
    .private_segment_fixed_size: 0
    .sgpr_count:     26
    .sgpr_spill_count: 0
    .symbol:         _ZN9rocsparseL20bsrxmvn_17_32_kernelILj18Efll18rocsparse_bfloat16S1_fEEvT2_20rocsparse_direction_NS_24const_host_device_scalarIT0_EES2_PKS2_PKT1_SB_S8_PKT3_PKT4_S6_PT5_21rocsparse_index_base_b.kd
    .uniform_work_group_size: 1
    .uses_dynamic_stack: false
    .vgpr_count:     15
    .vgpr_spill_count: 0
    .wavefront_size: 32
    .workgroup_processor_mode: 1
  - .args:
      - .offset:         0
        .size:           8
        .value_kind:     by_value
      - .offset:         8
        .size:           4
        .value_kind:     by_value
      - .offset:         16
        .size:           8
        .value_kind:     by_value
      - .offset:         24
        .size:           8
        .value_kind:     by_value
      - .actual_access:  read_only
        .address_space:  global
        .offset:         32
        .size:           8
        .value_kind:     global_buffer
      - .actual_access:  read_only
        .address_space:  global
        .offset:         40
        .size:           8
        .value_kind:     global_buffer
      - .actual_access:  read_only
        .address_space:  global
        .offset:         48
        .size:           8
        .value_kind:     global_buffer
      - .actual_access:  read_only
        .address_space:  global
        .offset:         56
        .size:           8
        .value_kind:     global_buffer
      - .actual_access:  read_only
        .address_space:  global
        .offset:         64
        .size:           8
        .value_kind:     global_buffer
      - .actual_access:  read_only
        .address_space:  global
        .offset:         72
        .size:           8
        .value_kind:     global_buffer
      - .offset:         80
        .size:           8
        .value_kind:     by_value
      - .address_space:  global
        .offset:         88
        .size:           8
        .value_kind:     global_buffer
      - .offset:         96
        .size:           4
        .value_kind:     by_value
      - .offset:         100
        .size:           1
        .value_kind:     by_value
    .group_segment_fixed_size: 1444
    .kernarg_segment_align: 8
    .kernarg_segment_size: 104
    .language:       OpenCL C
    .language_version:
      - 2
      - 0
    .max_flat_workgroup_size: 361
    .name:           _ZN9rocsparseL20bsrxmvn_17_32_kernelILj19Efll18rocsparse_bfloat16S1_fEEvT2_20rocsparse_direction_NS_24const_host_device_scalarIT0_EES2_PKS2_PKT1_SB_S8_PKT3_PKT4_S6_PT5_21rocsparse_index_base_b
    .private_segment_fixed_size: 0
    .sgpr_count:     26
    .sgpr_spill_count: 0
    .symbol:         _ZN9rocsparseL20bsrxmvn_17_32_kernelILj19Efll18rocsparse_bfloat16S1_fEEvT2_20rocsparse_direction_NS_24const_host_device_scalarIT0_EES2_PKS2_PKT1_SB_S8_PKT3_PKT4_S6_PT5_21rocsparse_index_base_b.kd
    .uniform_work_group_size: 1
    .uses_dynamic_stack: false
    .vgpr_count:     15
    .vgpr_spill_count: 0
    .wavefront_size: 32
    .workgroup_processor_mode: 1
  - .args:
      - .offset:         0
        .size:           8
        .value_kind:     by_value
      - .offset:         8
        .size:           4
        .value_kind:     by_value
      - .offset:         16
        .size:           8
        .value_kind:     by_value
      - .offset:         24
        .size:           8
        .value_kind:     by_value
      - .actual_access:  read_only
        .address_space:  global
        .offset:         32
        .size:           8
        .value_kind:     global_buffer
      - .actual_access:  read_only
        .address_space:  global
        .offset:         40
        .size:           8
        .value_kind:     global_buffer
      - .actual_access:  read_only
        .address_space:  global
        .offset:         48
        .size:           8
        .value_kind:     global_buffer
      - .actual_access:  read_only
        .address_space:  global
        .offset:         56
        .size:           8
        .value_kind:     global_buffer
      - .actual_access:  read_only
        .address_space:  global
        .offset:         64
        .size:           8
        .value_kind:     global_buffer
      - .actual_access:  read_only
        .address_space:  global
        .offset:         72
        .size:           8
        .value_kind:     global_buffer
      - .offset:         80
        .size:           8
        .value_kind:     by_value
      - .address_space:  global
        .offset:         88
        .size:           8
        .value_kind:     global_buffer
      - .offset:         96
        .size:           4
        .value_kind:     by_value
      - .offset:         100
        .size:           1
        .value_kind:     by_value
    .group_segment_fixed_size: 1600
    .kernarg_segment_align: 8
    .kernarg_segment_size: 104
    .language:       OpenCL C
    .language_version:
      - 2
      - 0
    .max_flat_workgroup_size: 400
    .name:           _ZN9rocsparseL20bsrxmvn_17_32_kernelILj20Efll18rocsparse_bfloat16S1_fEEvT2_20rocsparse_direction_NS_24const_host_device_scalarIT0_EES2_PKS2_PKT1_SB_S8_PKT3_PKT4_S6_PT5_21rocsparse_index_base_b
    .private_segment_fixed_size: 0
    .sgpr_count:     26
    .sgpr_spill_count: 0
    .symbol:         _ZN9rocsparseL20bsrxmvn_17_32_kernelILj20Efll18rocsparse_bfloat16S1_fEEvT2_20rocsparse_direction_NS_24const_host_device_scalarIT0_EES2_PKS2_PKT1_SB_S8_PKT3_PKT4_S6_PT5_21rocsparse_index_base_b.kd
    .uniform_work_group_size: 1
    .uses_dynamic_stack: false
    .vgpr_count:     15
    .vgpr_spill_count: 0
    .wavefront_size: 32
    .workgroup_processor_mode: 1
  - .args:
      - .offset:         0
        .size:           8
        .value_kind:     by_value
      - .offset:         8
        .size:           4
        .value_kind:     by_value
      - .offset:         16
        .size:           8
        .value_kind:     by_value
      - .offset:         24
        .size:           8
        .value_kind:     by_value
      - .actual_access:  read_only
        .address_space:  global
        .offset:         32
        .size:           8
        .value_kind:     global_buffer
      - .actual_access:  read_only
        .address_space:  global
        .offset:         40
        .size:           8
        .value_kind:     global_buffer
      - .actual_access:  read_only
        .address_space:  global
        .offset:         48
        .size:           8
        .value_kind:     global_buffer
      - .actual_access:  read_only
        .address_space:  global
        .offset:         56
        .size:           8
        .value_kind:     global_buffer
      - .actual_access:  read_only
        .address_space:  global
        .offset:         64
        .size:           8
        .value_kind:     global_buffer
      - .actual_access:  read_only
        .address_space:  global
        .offset:         72
        .size:           8
        .value_kind:     global_buffer
      - .offset:         80
        .size:           8
        .value_kind:     by_value
      - .address_space:  global
        .offset:         88
        .size:           8
        .value_kind:     global_buffer
      - .offset:         96
        .size:           4
        .value_kind:     by_value
      - .offset:         100
        .size:           1
        .value_kind:     by_value
    .group_segment_fixed_size: 1764
    .kernarg_segment_align: 8
    .kernarg_segment_size: 104
    .language:       OpenCL C
    .language_version:
      - 2
      - 0
    .max_flat_workgroup_size: 441
    .name:           _ZN9rocsparseL20bsrxmvn_17_32_kernelILj21Efll18rocsparse_bfloat16S1_fEEvT2_20rocsparse_direction_NS_24const_host_device_scalarIT0_EES2_PKS2_PKT1_SB_S8_PKT3_PKT4_S6_PT5_21rocsparse_index_base_b
    .private_segment_fixed_size: 0
    .sgpr_count:     26
    .sgpr_spill_count: 0
    .symbol:         _ZN9rocsparseL20bsrxmvn_17_32_kernelILj21Efll18rocsparse_bfloat16S1_fEEvT2_20rocsparse_direction_NS_24const_host_device_scalarIT0_EES2_PKS2_PKT1_SB_S8_PKT3_PKT4_S6_PT5_21rocsparse_index_base_b.kd
    .uniform_work_group_size: 1
    .uses_dynamic_stack: false
    .vgpr_count:     15
    .vgpr_spill_count: 0
    .wavefront_size: 32
    .workgroup_processor_mode: 1
  - .args:
      - .offset:         0
        .size:           8
        .value_kind:     by_value
      - .offset:         8
        .size:           4
        .value_kind:     by_value
      - .offset:         16
        .size:           8
        .value_kind:     by_value
      - .offset:         24
        .size:           8
        .value_kind:     by_value
      - .actual_access:  read_only
        .address_space:  global
        .offset:         32
        .size:           8
        .value_kind:     global_buffer
      - .actual_access:  read_only
        .address_space:  global
        .offset:         40
        .size:           8
        .value_kind:     global_buffer
      - .actual_access:  read_only
        .address_space:  global
        .offset:         48
        .size:           8
        .value_kind:     global_buffer
      - .actual_access:  read_only
        .address_space:  global
        .offset:         56
        .size:           8
        .value_kind:     global_buffer
      - .actual_access:  read_only
        .address_space:  global
        .offset:         64
        .size:           8
        .value_kind:     global_buffer
      - .actual_access:  read_only
        .address_space:  global
        .offset:         72
        .size:           8
        .value_kind:     global_buffer
      - .offset:         80
        .size:           8
        .value_kind:     by_value
      - .address_space:  global
        .offset:         88
        .size:           8
        .value_kind:     global_buffer
      - .offset:         96
        .size:           4
        .value_kind:     by_value
      - .offset:         100
        .size:           1
        .value_kind:     by_value
    .group_segment_fixed_size: 1936
    .kernarg_segment_align: 8
    .kernarg_segment_size: 104
    .language:       OpenCL C
    .language_version:
      - 2
      - 0
    .max_flat_workgroup_size: 484
    .name:           _ZN9rocsparseL20bsrxmvn_17_32_kernelILj22Efll18rocsparse_bfloat16S1_fEEvT2_20rocsparse_direction_NS_24const_host_device_scalarIT0_EES2_PKS2_PKT1_SB_S8_PKT3_PKT4_S6_PT5_21rocsparse_index_base_b
    .private_segment_fixed_size: 0
    .sgpr_count:     26
    .sgpr_spill_count: 0
    .symbol:         _ZN9rocsparseL20bsrxmvn_17_32_kernelILj22Efll18rocsparse_bfloat16S1_fEEvT2_20rocsparse_direction_NS_24const_host_device_scalarIT0_EES2_PKS2_PKT1_SB_S8_PKT3_PKT4_S6_PT5_21rocsparse_index_base_b.kd
    .uniform_work_group_size: 1
    .uses_dynamic_stack: false
    .vgpr_count:     15
    .vgpr_spill_count: 0
    .wavefront_size: 32
    .workgroup_processor_mode: 1
  - .args:
      - .offset:         0
        .size:           8
        .value_kind:     by_value
      - .offset:         8
        .size:           4
        .value_kind:     by_value
      - .offset:         16
        .size:           8
        .value_kind:     by_value
      - .offset:         24
        .size:           8
        .value_kind:     by_value
      - .actual_access:  read_only
        .address_space:  global
        .offset:         32
        .size:           8
        .value_kind:     global_buffer
      - .actual_access:  read_only
        .address_space:  global
        .offset:         40
        .size:           8
        .value_kind:     global_buffer
      - .actual_access:  read_only
        .address_space:  global
        .offset:         48
        .size:           8
        .value_kind:     global_buffer
      - .actual_access:  read_only
        .address_space:  global
        .offset:         56
        .size:           8
        .value_kind:     global_buffer
      - .actual_access:  read_only
        .address_space:  global
        .offset:         64
        .size:           8
        .value_kind:     global_buffer
      - .actual_access:  read_only
        .address_space:  global
        .offset:         72
        .size:           8
        .value_kind:     global_buffer
      - .offset:         80
        .size:           8
        .value_kind:     by_value
      - .address_space:  global
        .offset:         88
        .size:           8
        .value_kind:     global_buffer
      - .offset:         96
        .size:           4
        .value_kind:     by_value
      - .offset:         100
        .size:           1
        .value_kind:     by_value
    .group_segment_fixed_size: 2116
    .kernarg_segment_align: 8
    .kernarg_segment_size: 104
    .language:       OpenCL C
    .language_version:
      - 2
      - 0
    .max_flat_workgroup_size: 529
    .name:           _ZN9rocsparseL20bsrxmvn_17_32_kernelILj23Efll18rocsparse_bfloat16S1_fEEvT2_20rocsparse_direction_NS_24const_host_device_scalarIT0_EES2_PKS2_PKT1_SB_S8_PKT3_PKT4_S6_PT5_21rocsparse_index_base_b
    .private_segment_fixed_size: 0
    .sgpr_count:     26
    .sgpr_spill_count: 0
    .symbol:         _ZN9rocsparseL20bsrxmvn_17_32_kernelILj23Efll18rocsparse_bfloat16S1_fEEvT2_20rocsparse_direction_NS_24const_host_device_scalarIT0_EES2_PKS2_PKT1_SB_S8_PKT3_PKT4_S6_PT5_21rocsparse_index_base_b.kd
    .uniform_work_group_size: 1
    .uses_dynamic_stack: false
    .vgpr_count:     15
    .vgpr_spill_count: 0
    .wavefront_size: 32
    .workgroup_processor_mode: 1
  - .args:
      - .offset:         0
        .size:           8
        .value_kind:     by_value
      - .offset:         8
        .size:           4
        .value_kind:     by_value
      - .offset:         16
        .size:           8
        .value_kind:     by_value
      - .offset:         24
        .size:           8
        .value_kind:     by_value
      - .actual_access:  read_only
        .address_space:  global
        .offset:         32
        .size:           8
        .value_kind:     global_buffer
      - .actual_access:  read_only
        .address_space:  global
        .offset:         40
        .size:           8
        .value_kind:     global_buffer
      - .actual_access:  read_only
        .address_space:  global
        .offset:         48
        .size:           8
        .value_kind:     global_buffer
      - .actual_access:  read_only
        .address_space:  global
        .offset:         56
        .size:           8
        .value_kind:     global_buffer
      - .actual_access:  read_only
        .address_space:  global
        .offset:         64
        .size:           8
        .value_kind:     global_buffer
      - .actual_access:  read_only
        .address_space:  global
        .offset:         72
        .size:           8
        .value_kind:     global_buffer
      - .offset:         80
        .size:           8
        .value_kind:     by_value
      - .address_space:  global
        .offset:         88
        .size:           8
        .value_kind:     global_buffer
      - .offset:         96
        .size:           4
        .value_kind:     by_value
      - .offset:         100
        .size:           1
        .value_kind:     by_value
    .group_segment_fixed_size: 2304
    .kernarg_segment_align: 8
    .kernarg_segment_size: 104
    .language:       OpenCL C
    .language_version:
      - 2
      - 0
    .max_flat_workgroup_size: 576
    .name:           _ZN9rocsparseL20bsrxmvn_17_32_kernelILj24Efll18rocsparse_bfloat16S1_fEEvT2_20rocsparse_direction_NS_24const_host_device_scalarIT0_EES2_PKS2_PKT1_SB_S8_PKT3_PKT4_S6_PT5_21rocsparse_index_base_b
    .private_segment_fixed_size: 0
    .sgpr_count:     26
    .sgpr_spill_count: 0
    .symbol:         _ZN9rocsparseL20bsrxmvn_17_32_kernelILj24Efll18rocsparse_bfloat16S1_fEEvT2_20rocsparse_direction_NS_24const_host_device_scalarIT0_EES2_PKS2_PKT1_SB_S8_PKT3_PKT4_S6_PT5_21rocsparse_index_base_b.kd
    .uniform_work_group_size: 1
    .uses_dynamic_stack: false
    .vgpr_count:     15
    .vgpr_spill_count: 0
    .wavefront_size: 32
    .workgroup_processor_mode: 1
  - .args:
      - .offset:         0
        .size:           8
        .value_kind:     by_value
      - .offset:         8
        .size:           4
        .value_kind:     by_value
      - .offset:         16
        .size:           8
        .value_kind:     by_value
      - .offset:         24
        .size:           8
        .value_kind:     by_value
      - .actual_access:  read_only
        .address_space:  global
        .offset:         32
        .size:           8
        .value_kind:     global_buffer
      - .actual_access:  read_only
        .address_space:  global
        .offset:         40
        .size:           8
        .value_kind:     global_buffer
      - .actual_access:  read_only
        .address_space:  global
        .offset:         48
        .size:           8
        .value_kind:     global_buffer
      - .actual_access:  read_only
        .address_space:  global
        .offset:         56
        .size:           8
        .value_kind:     global_buffer
      - .actual_access:  read_only
        .address_space:  global
        .offset:         64
        .size:           8
        .value_kind:     global_buffer
      - .actual_access:  read_only
        .address_space:  global
        .offset:         72
        .size:           8
        .value_kind:     global_buffer
      - .offset:         80
        .size:           8
        .value_kind:     by_value
      - .address_space:  global
        .offset:         88
        .size:           8
        .value_kind:     global_buffer
      - .offset:         96
        .size:           4
        .value_kind:     by_value
      - .offset:         100
        .size:           1
        .value_kind:     by_value
    .group_segment_fixed_size: 2500
    .kernarg_segment_align: 8
    .kernarg_segment_size: 104
    .language:       OpenCL C
    .language_version:
      - 2
      - 0
    .max_flat_workgroup_size: 625
    .name:           _ZN9rocsparseL20bsrxmvn_17_32_kernelILj25Efll18rocsparse_bfloat16S1_fEEvT2_20rocsparse_direction_NS_24const_host_device_scalarIT0_EES2_PKS2_PKT1_SB_S8_PKT3_PKT4_S6_PT5_21rocsparse_index_base_b
    .private_segment_fixed_size: 0
    .sgpr_count:     26
    .sgpr_spill_count: 0
    .symbol:         _ZN9rocsparseL20bsrxmvn_17_32_kernelILj25Efll18rocsparse_bfloat16S1_fEEvT2_20rocsparse_direction_NS_24const_host_device_scalarIT0_EES2_PKS2_PKT1_SB_S8_PKT3_PKT4_S6_PT5_21rocsparse_index_base_b.kd
    .uniform_work_group_size: 1
    .uses_dynamic_stack: false
    .vgpr_count:     15
    .vgpr_spill_count: 0
    .wavefront_size: 32
    .workgroup_processor_mode: 1
  - .args:
      - .offset:         0
        .size:           8
        .value_kind:     by_value
      - .offset:         8
        .size:           4
        .value_kind:     by_value
      - .offset:         16
        .size:           8
        .value_kind:     by_value
      - .offset:         24
        .size:           8
        .value_kind:     by_value
      - .actual_access:  read_only
        .address_space:  global
        .offset:         32
        .size:           8
        .value_kind:     global_buffer
      - .actual_access:  read_only
        .address_space:  global
        .offset:         40
        .size:           8
        .value_kind:     global_buffer
      - .actual_access:  read_only
        .address_space:  global
        .offset:         48
        .size:           8
        .value_kind:     global_buffer
      - .actual_access:  read_only
        .address_space:  global
        .offset:         56
        .size:           8
        .value_kind:     global_buffer
      - .actual_access:  read_only
        .address_space:  global
        .offset:         64
        .size:           8
        .value_kind:     global_buffer
      - .actual_access:  read_only
        .address_space:  global
        .offset:         72
        .size:           8
        .value_kind:     global_buffer
      - .offset:         80
        .size:           8
        .value_kind:     by_value
      - .address_space:  global
        .offset:         88
        .size:           8
        .value_kind:     global_buffer
      - .offset:         96
        .size:           4
        .value_kind:     by_value
      - .offset:         100
        .size:           1
        .value_kind:     by_value
    .group_segment_fixed_size: 2704
    .kernarg_segment_align: 8
    .kernarg_segment_size: 104
    .language:       OpenCL C
    .language_version:
      - 2
      - 0
    .max_flat_workgroup_size: 676
    .name:           _ZN9rocsparseL20bsrxmvn_17_32_kernelILj26Efll18rocsparse_bfloat16S1_fEEvT2_20rocsparse_direction_NS_24const_host_device_scalarIT0_EES2_PKS2_PKT1_SB_S8_PKT3_PKT4_S6_PT5_21rocsparse_index_base_b
    .private_segment_fixed_size: 0
    .sgpr_count:     26
    .sgpr_spill_count: 0
    .symbol:         _ZN9rocsparseL20bsrxmvn_17_32_kernelILj26Efll18rocsparse_bfloat16S1_fEEvT2_20rocsparse_direction_NS_24const_host_device_scalarIT0_EES2_PKS2_PKT1_SB_S8_PKT3_PKT4_S6_PT5_21rocsparse_index_base_b.kd
    .uniform_work_group_size: 1
    .uses_dynamic_stack: false
    .vgpr_count:     15
    .vgpr_spill_count: 0
    .wavefront_size: 32
    .workgroup_processor_mode: 1
  - .args:
      - .offset:         0
        .size:           8
        .value_kind:     by_value
      - .offset:         8
        .size:           4
        .value_kind:     by_value
      - .offset:         16
        .size:           8
        .value_kind:     by_value
      - .offset:         24
        .size:           8
        .value_kind:     by_value
      - .actual_access:  read_only
        .address_space:  global
        .offset:         32
        .size:           8
        .value_kind:     global_buffer
      - .actual_access:  read_only
        .address_space:  global
        .offset:         40
        .size:           8
        .value_kind:     global_buffer
      - .actual_access:  read_only
        .address_space:  global
        .offset:         48
        .size:           8
        .value_kind:     global_buffer
      - .actual_access:  read_only
        .address_space:  global
        .offset:         56
        .size:           8
        .value_kind:     global_buffer
      - .actual_access:  read_only
        .address_space:  global
        .offset:         64
        .size:           8
        .value_kind:     global_buffer
      - .actual_access:  read_only
        .address_space:  global
        .offset:         72
        .size:           8
        .value_kind:     global_buffer
      - .offset:         80
        .size:           8
        .value_kind:     by_value
      - .address_space:  global
        .offset:         88
        .size:           8
        .value_kind:     global_buffer
      - .offset:         96
        .size:           4
        .value_kind:     by_value
      - .offset:         100
        .size:           1
        .value_kind:     by_value
    .group_segment_fixed_size: 2916
    .kernarg_segment_align: 8
    .kernarg_segment_size: 104
    .language:       OpenCL C
    .language_version:
      - 2
      - 0
    .max_flat_workgroup_size: 729
    .name:           _ZN9rocsparseL20bsrxmvn_17_32_kernelILj27Efll18rocsparse_bfloat16S1_fEEvT2_20rocsparse_direction_NS_24const_host_device_scalarIT0_EES2_PKS2_PKT1_SB_S8_PKT3_PKT4_S6_PT5_21rocsparse_index_base_b
    .private_segment_fixed_size: 0
    .sgpr_count:     26
    .sgpr_spill_count: 0
    .symbol:         _ZN9rocsparseL20bsrxmvn_17_32_kernelILj27Efll18rocsparse_bfloat16S1_fEEvT2_20rocsparse_direction_NS_24const_host_device_scalarIT0_EES2_PKS2_PKT1_SB_S8_PKT3_PKT4_S6_PT5_21rocsparse_index_base_b.kd
    .uniform_work_group_size: 1
    .uses_dynamic_stack: false
    .vgpr_count:     15
    .vgpr_spill_count: 0
    .wavefront_size: 32
    .workgroup_processor_mode: 1
  - .args:
      - .offset:         0
        .size:           8
        .value_kind:     by_value
      - .offset:         8
        .size:           4
        .value_kind:     by_value
      - .offset:         16
        .size:           8
        .value_kind:     by_value
      - .offset:         24
        .size:           8
        .value_kind:     by_value
      - .actual_access:  read_only
        .address_space:  global
        .offset:         32
        .size:           8
        .value_kind:     global_buffer
      - .actual_access:  read_only
        .address_space:  global
        .offset:         40
        .size:           8
        .value_kind:     global_buffer
      - .actual_access:  read_only
        .address_space:  global
        .offset:         48
        .size:           8
        .value_kind:     global_buffer
      - .actual_access:  read_only
        .address_space:  global
        .offset:         56
        .size:           8
        .value_kind:     global_buffer
      - .actual_access:  read_only
        .address_space:  global
        .offset:         64
        .size:           8
        .value_kind:     global_buffer
      - .actual_access:  read_only
        .address_space:  global
        .offset:         72
        .size:           8
        .value_kind:     global_buffer
      - .offset:         80
        .size:           8
        .value_kind:     by_value
      - .address_space:  global
        .offset:         88
        .size:           8
        .value_kind:     global_buffer
      - .offset:         96
        .size:           4
        .value_kind:     by_value
      - .offset:         100
        .size:           1
        .value_kind:     by_value
    .group_segment_fixed_size: 3136
    .kernarg_segment_align: 8
    .kernarg_segment_size: 104
    .language:       OpenCL C
    .language_version:
      - 2
      - 0
    .max_flat_workgroup_size: 784
    .name:           _ZN9rocsparseL20bsrxmvn_17_32_kernelILj28Efll18rocsparse_bfloat16S1_fEEvT2_20rocsparse_direction_NS_24const_host_device_scalarIT0_EES2_PKS2_PKT1_SB_S8_PKT3_PKT4_S6_PT5_21rocsparse_index_base_b
    .private_segment_fixed_size: 0
    .sgpr_count:     26
    .sgpr_spill_count: 0
    .symbol:         _ZN9rocsparseL20bsrxmvn_17_32_kernelILj28Efll18rocsparse_bfloat16S1_fEEvT2_20rocsparse_direction_NS_24const_host_device_scalarIT0_EES2_PKS2_PKT1_SB_S8_PKT3_PKT4_S6_PT5_21rocsparse_index_base_b.kd
    .uniform_work_group_size: 1
    .uses_dynamic_stack: false
    .vgpr_count:     15
    .vgpr_spill_count: 0
    .wavefront_size: 32
    .workgroup_processor_mode: 1
  - .args:
      - .offset:         0
        .size:           8
        .value_kind:     by_value
      - .offset:         8
        .size:           4
        .value_kind:     by_value
      - .offset:         16
        .size:           8
        .value_kind:     by_value
      - .offset:         24
        .size:           8
        .value_kind:     by_value
      - .actual_access:  read_only
        .address_space:  global
        .offset:         32
        .size:           8
        .value_kind:     global_buffer
      - .actual_access:  read_only
        .address_space:  global
        .offset:         40
        .size:           8
        .value_kind:     global_buffer
      - .actual_access:  read_only
        .address_space:  global
        .offset:         48
        .size:           8
        .value_kind:     global_buffer
      - .actual_access:  read_only
        .address_space:  global
        .offset:         56
        .size:           8
        .value_kind:     global_buffer
      - .actual_access:  read_only
        .address_space:  global
        .offset:         64
        .size:           8
        .value_kind:     global_buffer
      - .actual_access:  read_only
        .address_space:  global
        .offset:         72
        .size:           8
        .value_kind:     global_buffer
      - .offset:         80
        .size:           8
        .value_kind:     by_value
      - .address_space:  global
        .offset:         88
        .size:           8
        .value_kind:     global_buffer
      - .offset:         96
        .size:           4
        .value_kind:     by_value
      - .offset:         100
        .size:           1
        .value_kind:     by_value
    .group_segment_fixed_size: 3364
    .kernarg_segment_align: 8
    .kernarg_segment_size: 104
    .language:       OpenCL C
    .language_version:
      - 2
      - 0
    .max_flat_workgroup_size: 841
    .name:           _ZN9rocsparseL20bsrxmvn_17_32_kernelILj29Efll18rocsparse_bfloat16S1_fEEvT2_20rocsparse_direction_NS_24const_host_device_scalarIT0_EES2_PKS2_PKT1_SB_S8_PKT3_PKT4_S6_PT5_21rocsparse_index_base_b
    .private_segment_fixed_size: 0
    .sgpr_count:     26
    .sgpr_spill_count: 0
    .symbol:         _ZN9rocsparseL20bsrxmvn_17_32_kernelILj29Efll18rocsparse_bfloat16S1_fEEvT2_20rocsparse_direction_NS_24const_host_device_scalarIT0_EES2_PKS2_PKT1_SB_S8_PKT3_PKT4_S6_PT5_21rocsparse_index_base_b.kd
    .uniform_work_group_size: 1
    .uses_dynamic_stack: false
    .vgpr_count:     15
    .vgpr_spill_count: 0
    .wavefront_size: 32
    .workgroup_processor_mode: 1
  - .args:
      - .offset:         0
        .size:           8
        .value_kind:     by_value
      - .offset:         8
        .size:           4
        .value_kind:     by_value
      - .offset:         16
        .size:           8
        .value_kind:     by_value
      - .offset:         24
        .size:           8
        .value_kind:     by_value
      - .actual_access:  read_only
        .address_space:  global
        .offset:         32
        .size:           8
        .value_kind:     global_buffer
      - .actual_access:  read_only
        .address_space:  global
        .offset:         40
        .size:           8
        .value_kind:     global_buffer
      - .actual_access:  read_only
        .address_space:  global
        .offset:         48
        .size:           8
        .value_kind:     global_buffer
      - .actual_access:  read_only
        .address_space:  global
        .offset:         56
        .size:           8
        .value_kind:     global_buffer
      - .actual_access:  read_only
        .address_space:  global
        .offset:         64
        .size:           8
        .value_kind:     global_buffer
      - .actual_access:  read_only
        .address_space:  global
        .offset:         72
        .size:           8
        .value_kind:     global_buffer
      - .offset:         80
        .size:           8
        .value_kind:     by_value
      - .address_space:  global
        .offset:         88
        .size:           8
        .value_kind:     global_buffer
      - .offset:         96
        .size:           4
        .value_kind:     by_value
      - .offset:         100
        .size:           1
        .value_kind:     by_value
    .group_segment_fixed_size: 3600
    .kernarg_segment_align: 8
    .kernarg_segment_size: 104
    .language:       OpenCL C
    .language_version:
      - 2
      - 0
    .max_flat_workgroup_size: 900
    .name:           _ZN9rocsparseL20bsrxmvn_17_32_kernelILj30Efll18rocsparse_bfloat16S1_fEEvT2_20rocsparse_direction_NS_24const_host_device_scalarIT0_EES2_PKS2_PKT1_SB_S8_PKT3_PKT4_S6_PT5_21rocsparse_index_base_b
    .private_segment_fixed_size: 0
    .sgpr_count:     26
    .sgpr_spill_count: 0
    .symbol:         _ZN9rocsparseL20bsrxmvn_17_32_kernelILj30Efll18rocsparse_bfloat16S1_fEEvT2_20rocsparse_direction_NS_24const_host_device_scalarIT0_EES2_PKS2_PKT1_SB_S8_PKT3_PKT4_S6_PT5_21rocsparse_index_base_b.kd
    .uniform_work_group_size: 1
    .uses_dynamic_stack: false
    .vgpr_count:     15
    .vgpr_spill_count: 0
    .wavefront_size: 32
    .workgroup_processor_mode: 1
  - .args:
      - .offset:         0
        .size:           8
        .value_kind:     by_value
      - .offset:         8
        .size:           4
        .value_kind:     by_value
      - .offset:         16
        .size:           8
        .value_kind:     by_value
      - .offset:         24
        .size:           8
        .value_kind:     by_value
      - .actual_access:  read_only
        .address_space:  global
        .offset:         32
        .size:           8
        .value_kind:     global_buffer
      - .actual_access:  read_only
        .address_space:  global
        .offset:         40
        .size:           8
        .value_kind:     global_buffer
      - .actual_access:  read_only
        .address_space:  global
        .offset:         48
        .size:           8
        .value_kind:     global_buffer
      - .actual_access:  read_only
        .address_space:  global
        .offset:         56
        .size:           8
        .value_kind:     global_buffer
      - .actual_access:  read_only
        .address_space:  global
        .offset:         64
        .size:           8
        .value_kind:     global_buffer
      - .actual_access:  read_only
        .address_space:  global
        .offset:         72
        .size:           8
        .value_kind:     global_buffer
      - .offset:         80
        .size:           8
        .value_kind:     by_value
      - .address_space:  global
        .offset:         88
        .size:           8
        .value_kind:     global_buffer
      - .offset:         96
        .size:           4
        .value_kind:     by_value
      - .offset:         100
        .size:           1
        .value_kind:     by_value
    .group_segment_fixed_size: 3844
    .kernarg_segment_align: 8
    .kernarg_segment_size: 104
    .language:       OpenCL C
    .language_version:
      - 2
      - 0
    .max_flat_workgroup_size: 961
    .name:           _ZN9rocsparseL20bsrxmvn_17_32_kernelILj31Efll18rocsparse_bfloat16S1_fEEvT2_20rocsparse_direction_NS_24const_host_device_scalarIT0_EES2_PKS2_PKT1_SB_S8_PKT3_PKT4_S6_PT5_21rocsparse_index_base_b
    .private_segment_fixed_size: 0
    .sgpr_count:     26
    .sgpr_spill_count: 0
    .symbol:         _ZN9rocsparseL20bsrxmvn_17_32_kernelILj31Efll18rocsparse_bfloat16S1_fEEvT2_20rocsparse_direction_NS_24const_host_device_scalarIT0_EES2_PKS2_PKT1_SB_S8_PKT3_PKT4_S6_PT5_21rocsparse_index_base_b.kd
    .uniform_work_group_size: 1
    .uses_dynamic_stack: false
    .vgpr_count:     15
    .vgpr_spill_count: 0
    .wavefront_size: 32
    .workgroup_processor_mode: 1
  - .args:
      - .offset:         0
        .size:           8
        .value_kind:     by_value
      - .offset:         8
        .size:           4
        .value_kind:     by_value
      - .offset:         16
        .size:           8
        .value_kind:     by_value
      - .offset:         24
        .size:           8
        .value_kind:     by_value
      - .actual_access:  read_only
        .address_space:  global
        .offset:         32
        .size:           8
        .value_kind:     global_buffer
      - .actual_access:  read_only
        .address_space:  global
        .offset:         40
        .size:           8
        .value_kind:     global_buffer
      - .actual_access:  read_only
        .address_space:  global
        .offset:         48
        .size:           8
        .value_kind:     global_buffer
      - .actual_access:  read_only
        .address_space:  global
        .offset:         56
        .size:           8
        .value_kind:     global_buffer
      - .actual_access:  read_only
        .address_space:  global
        .offset:         64
        .size:           8
        .value_kind:     global_buffer
      - .actual_access:  read_only
        .address_space:  global
        .offset:         72
        .size:           8
        .value_kind:     global_buffer
      - .offset:         80
        .size:           8
        .value_kind:     by_value
      - .address_space:  global
        .offset:         88
        .size:           8
        .value_kind:     global_buffer
      - .offset:         96
        .size:           4
        .value_kind:     by_value
      - .offset:         100
        .size:           1
        .value_kind:     by_value
    .group_segment_fixed_size: 4096
    .kernarg_segment_align: 8
    .kernarg_segment_size: 104
    .language:       OpenCL C
    .language_version:
      - 2
      - 0
    .max_flat_workgroup_size: 1024
    .name:           _ZN9rocsparseL20bsrxmvn_17_32_kernelILj32Efll18rocsparse_bfloat16S1_fEEvT2_20rocsparse_direction_NS_24const_host_device_scalarIT0_EES2_PKS2_PKT1_SB_S8_PKT3_PKT4_S6_PT5_21rocsparse_index_base_b
    .private_segment_fixed_size: 0
    .sgpr_count:     28
    .sgpr_spill_count: 0
    .symbol:         _ZN9rocsparseL20bsrxmvn_17_32_kernelILj32Efll18rocsparse_bfloat16S1_fEEvT2_20rocsparse_direction_NS_24const_host_device_scalarIT0_EES2_PKS2_PKT1_SB_S8_PKT3_PKT4_S6_PT5_21rocsparse_index_base_b.kd
    .uniform_work_group_size: 1
    .uses_dynamic_stack: false
    .vgpr_count:     10
    .vgpr_spill_count: 0
    .wavefront_size: 32
    .workgroup_processor_mode: 1
  - .args:
      - .offset:         0
        .size:           4
        .value_kind:     by_value
      - .offset:         4
        .size:           4
        .value_kind:     by_value
      - .offset:         8
        .size:           8
        .value_kind:     by_value
      - .offset:         16
        .size:           4
        .value_kind:     by_value
      - .actual_access:  read_only
        .address_space:  global
        .offset:         24
        .size:           8
        .value_kind:     global_buffer
      - .actual_access:  read_only
        .address_space:  global
        .offset:         32
        .size:           8
        .value_kind:     global_buffer
      - .actual_access:  read_only
        .address_space:  global
        .offset:         40
        .size:           8
        .value_kind:     global_buffer
      - .actual_access:  read_only
        .address_space:  global
        .offset:         48
        .size:           8
        .value_kind:     global_buffer
      - .actual_access:  read_only
        .address_space:  global
        .offset:         56
        .size:           8
        .value_kind:     global_buffer
      - .actual_access:  read_only
        .address_space:  global
        .offset:         64
        .size:           8
        .value_kind:     global_buffer
      - .offset:         72
        .size:           8
        .value_kind:     by_value
      - .address_space:  global
        .offset:         80
        .size:           8
        .value_kind:     global_buffer
      - .offset:         88
        .size:           4
        .value_kind:     by_value
      - .offset:         92
        .size:           1
        .value_kind:     by_value
    .group_segment_fixed_size: 2312
    .kernarg_segment_align: 8
    .kernarg_segment_size: 96
    .language:       OpenCL C
    .language_version:
      - 2
      - 0
    .max_flat_workgroup_size: 289
    .name:           _ZN9rocsparseL20bsrxmvn_17_32_kernelILj17E21rocsparse_complex_numIfEiifS2_S2_EEvT2_20rocsparse_direction_NS_24const_host_device_scalarIT0_EES3_PKS3_PKT1_SC_S9_PKT3_PKT4_S7_PT5_21rocsparse_index_base_b
    .private_segment_fixed_size: 0
    .sgpr_count:     18
    .sgpr_spill_count: 0
    .symbol:         _ZN9rocsparseL20bsrxmvn_17_32_kernelILj17E21rocsparse_complex_numIfEiifS2_S2_EEvT2_20rocsparse_direction_NS_24const_host_device_scalarIT0_EES3_PKS3_PKT1_SC_S9_PKT3_PKT4_S7_PT5_21rocsparse_index_base_b.kd
    .uniform_work_group_size: 1
    .uses_dynamic_stack: false
    .vgpr_count:     15
    .vgpr_spill_count: 0
    .wavefront_size: 32
    .workgroup_processor_mode: 1
  - .args:
      - .offset:         0
        .size:           4
        .value_kind:     by_value
      - .offset:         4
        .size:           4
        .value_kind:     by_value
      - .offset:         8
        .size:           8
        .value_kind:     by_value
      - .offset:         16
        .size:           4
        .value_kind:     by_value
      - .actual_access:  read_only
        .address_space:  global
        .offset:         24
        .size:           8
        .value_kind:     global_buffer
      - .actual_access:  read_only
        .address_space:  global
        .offset:         32
        .size:           8
        .value_kind:     global_buffer
      - .actual_access:  read_only
        .address_space:  global
        .offset:         40
        .size:           8
        .value_kind:     global_buffer
      - .actual_access:  read_only
        .address_space:  global
        .offset:         48
        .size:           8
        .value_kind:     global_buffer
      - .actual_access:  read_only
        .address_space:  global
        .offset:         56
        .size:           8
        .value_kind:     global_buffer
      - .actual_access:  read_only
        .address_space:  global
        .offset:         64
        .size:           8
        .value_kind:     global_buffer
      - .offset:         72
        .size:           8
        .value_kind:     by_value
      - .address_space:  global
        .offset:         80
        .size:           8
        .value_kind:     global_buffer
      - .offset:         88
        .size:           4
        .value_kind:     by_value
      - .offset:         92
        .size:           1
        .value_kind:     by_value
    .group_segment_fixed_size: 2592
    .kernarg_segment_align: 8
    .kernarg_segment_size: 96
    .language:       OpenCL C
    .language_version:
      - 2
      - 0
    .max_flat_workgroup_size: 324
    .name:           _ZN9rocsparseL20bsrxmvn_17_32_kernelILj18E21rocsparse_complex_numIfEiifS2_S2_EEvT2_20rocsparse_direction_NS_24const_host_device_scalarIT0_EES3_PKS3_PKT1_SC_S9_PKT3_PKT4_S7_PT5_21rocsparse_index_base_b
    .private_segment_fixed_size: 0
    .sgpr_count:     18
    .sgpr_spill_count: 0
    .symbol:         _ZN9rocsparseL20bsrxmvn_17_32_kernelILj18E21rocsparse_complex_numIfEiifS2_S2_EEvT2_20rocsparse_direction_NS_24const_host_device_scalarIT0_EES3_PKS3_PKT1_SC_S9_PKT3_PKT4_S7_PT5_21rocsparse_index_base_b.kd
    .uniform_work_group_size: 1
    .uses_dynamic_stack: false
    .vgpr_count:     15
    .vgpr_spill_count: 0
    .wavefront_size: 32
    .workgroup_processor_mode: 1
  - .args:
      - .offset:         0
        .size:           4
        .value_kind:     by_value
      - .offset:         4
        .size:           4
        .value_kind:     by_value
      - .offset:         8
        .size:           8
        .value_kind:     by_value
      - .offset:         16
        .size:           4
        .value_kind:     by_value
      - .actual_access:  read_only
        .address_space:  global
        .offset:         24
        .size:           8
        .value_kind:     global_buffer
      - .actual_access:  read_only
        .address_space:  global
        .offset:         32
        .size:           8
        .value_kind:     global_buffer
      - .actual_access:  read_only
        .address_space:  global
        .offset:         40
        .size:           8
        .value_kind:     global_buffer
      - .actual_access:  read_only
        .address_space:  global
        .offset:         48
        .size:           8
        .value_kind:     global_buffer
      - .actual_access:  read_only
        .address_space:  global
        .offset:         56
        .size:           8
        .value_kind:     global_buffer
      - .actual_access:  read_only
        .address_space:  global
        .offset:         64
        .size:           8
        .value_kind:     global_buffer
      - .offset:         72
        .size:           8
        .value_kind:     by_value
      - .address_space:  global
        .offset:         80
        .size:           8
        .value_kind:     global_buffer
      - .offset:         88
        .size:           4
        .value_kind:     by_value
      - .offset:         92
        .size:           1
        .value_kind:     by_value
    .group_segment_fixed_size: 2888
    .kernarg_segment_align: 8
    .kernarg_segment_size: 96
    .language:       OpenCL C
    .language_version:
      - 2
      - 0
    .max_flat_workgroup_size: 361
    .name:           _ZN9rocsparseL20bsrxmvn_17_32_kernelILj19E21rocsparse_complex_numIfEiifS2_S2_EEvT2_20rocsparse_direction_NS_24const_host_device_scalarIT0_EES3_PKS3_PKT1_SC_S9_PKT3_PKT4_S7_PT5_21rocsparse_index_base_b
    .private_segment_fixed_size: 0
    .sgpr_count:     18
    .sgpr_spill_count: 0
    .symbol:         _ZN9rocsparseL20bsrxmvn_17_32_kernelILj19E21rocsparse_complex_numIfEiifS2_S2_EEvT2_20rocsparse_direction_NS_24const_host_device_scalarIT0_EES3_PKS3_PKT1_SC_S9_PKT3_PKT4_S7_PT5_21rocsparse_index_base_b.kd
    .uniform_work_group_size: 1
    .uses_dynamic_stack: false
    .vgpr_count:     15
    .vgpr_spill_count: 0
    .wavefront_size: 32
    .workgroup_processor_mode: 1
  - .args:
      - .offset:         0
        .size:           4
        .value_kind:     by_value
      - .offset:         4
        .size:           4
        .value_kind:     by_value
      - .offset:         8
        .size:           8
        .value_kind:     by_value
      - .offset:         16
        .size:           4
        .value_kind:     by_value
      - .actual_access:  read_only
        .address_space:  global
        .offset:         24
        .size:           8
        .value_kind:     global_buffer
      - .actual_access:  read_only
        .address_space:  global
        .offset:         32
        .size:           8
        .value_kind:     global_buffer
      - .actual_access:  read_only
        .address_space:  global
        .offset:         40
        .size:           8
        .value_kind:     global_buffer
      - .actual_access:  read_only
        .address_space:  global
        .offset:         48
        .size:           8
        .value_kind:     global_buffer
      - .actual_access:  read_only
        .address_space:  global
        .offset:         56
        .size:           8
        .value_kind:     global_buffer
      - .actual_access:  read_only
        .address_space:  global
        .offset:         64
        .size:           8
        .value_kind:     global_buffer
      - .offset:         72
        .size:           8
        .value_kind:     by_value
      - .address_space:  global
        .offset:         80
        .size:           8
        .value_kind:     global_buffer
      - .offset:         88
        .size:           4
        .value_kind:     by_value
      - .offset:         92
        .size:           1
        .value_kind:     by_value
    .group_segment_fixed_size: 3200
    .kernarg_segment_align: 8
    .kernarg_segment_size: 96
    .language:       OpenCL C
    .language_version:
      - 2
      - 0
    .max_flat_workgroup_size: 400
    .name:           _ZN9rocsparseL20bsrxmvn_17_32_kernelILj20E21rocsparse_complex_numIfEiifS2_S2_EEvT2_20rocsparse_direction_NS_24const_host_device_scalarIT0_EES3_PKS3_PKT1_SC_S9_PKT3_PKT4_S7_PT5_21rocsparse_index_base_b
    .private_segment_fixed_size: 0
    .sgpr_count:     18
    .sgpr_spill_count: 0
    .symbol:         _ZN9rocsparseL20bsrxmvn_17_32_kernelILj20E21rocsparse_complex_numIfEiifS2_S2_EEvT2_20rocsparse_direction_NS_24const_host_device_scalarIT0_EES3_PKS3_PKT1_SC_S9_PKT3_PKT4_S7_PT5_21rocsparse_index_base_b.kd
    .uniform_work_group_size: 1
    .uses_dynamic_stack: false
    .vgpr_count:     15
    .vgpr_spill_count: 0
    .wavefront_size: 32
    .workgroup_processor_mode: 1
  - .args:
      - .offset:         0
        .size:           4
        .value_kind:     by_value
      - .offset:         4
        .size:           4
        .value_kind:     by_value
      - .offset:         8
        .size:           8
        .value_kind:     by_value
      - .offset:         16
        .size:           4
        .value_kind:     by_value
      - .actual_access:  read_only
        .address_space:  global
        .offset:         24
        .size:           8
        .value_kind:     global_buffer
      - .actual_access:  read_only
        .address_space:  global
        .offset:         32
        .size:           8
        .value_kind:     global_buffer
      - .actual_access:  read_only
        .address_space:  global
        .offset:         40
        .size:           8
        .value_kind:     global_buffer
      - .actual_access:  read_only
        .address_space:  global
        .offset:         48
        .size:           8
        .value_kind:     global_buffer
      - .actual_access:  read_only
        .address_space:  global
        .offset:         56
        .size:           8
        .value_kind:     global_buffer
      - .actual_access:  read_only
        .address_space:  global
        .offset:         64
        .size:           8
        .value_kind:     global_buffer
      - .offset:         72
        .size:           8
        .value_kind:     by_value
      - .address_space:  global
        .offset:         80
        .size:           8
        .value_kind:     global_buffer
      - .offset:         88
        .size:           4
        .value_kind:     by_value
      - .offset:         92
        .size:           1
        .value_kind:     by_value
    .group_segment_fixed_size: 3528
    .kernarg_segment_align: 8
    .kernarg_segment_size: 96
    .language:       OpenCL C
    .language_version:
      - 2
      - 0
    .max_flat_workgroup_size: 441
    .name:           _ZN9rocsparseL20bsrxmvn_17_32_kernelILj21E21rocsparse_complex_numIfEiifS2_S2_EEvT2_20rocsparse_direction_NS_24const_host_device_scalarIT0_EES3_PKS3_PKT1_SC_S9_PKT3_PKT4_S7_PT5_21rocsparse_index_base_b
    .private_segment_fixed_size: 0
    .sgpr_count:     18
    .sgpr_spill_count: 0
    .symbol:         _ZN9rocsparseL20bsrxmvn_17_32_kernelILj21E21rocsparse_complex_numIfEiifS2_S2_EEvT2_20rocsparse_direction_NS_24const_host_device_scalarIT0_EES3_PKS3_PKT1_SC_S9_PKT3_PKT4_S7_PT5_21rocsparse_index_base_b.kd
    .uniform_work_group_size: 1
    .uses_dynamic_stack: false
    .vgpr_count:     15
    .vgpr_spill_count: 0
    .wavefront_size: 32
    .workgroup_processor_mode: 1
  - .args:
      - .offset:         0
        .size:           4
        .value_kind:     by_value
      - .offset:         4
        .size:           4
        .value_kind:     by_value
      - .offset:         8
        .size:           8
        .value_kind:     by_value
      - .offset:         16
        .size:           4
        .value_kind:     by_value
      - .actual_access:  read_only
        .address_space:  global
        .offset:         24
        .size:           8
        .value_kind:     global_buffer
      - .actual_access:  read_only
        .address_space:  global
        .offset:         32
        .size:           8
        .value_kind:     global_buffer
      - .actual_access:  read_only
        .address_space:  global
        .offset:         40
        .size:           8
        .value_kind:     global_buffer
      - .actual_access:  read_only
        .address_space:  global
        .offset:         48
        .size:           8
        .value_kind:     global_buffer
      - .actual_access:  read_only
        .address_space:  global
        .offset:         56
        .size:           8
        .value_kind:     global_buffer
      - .actual_access:  read_only
        .address_space:  global
        .offset:         64
        .size:           8
        .value_kind:     global_buffer
      - .offset:         72
        .size:           8
        .value_kind:     by_value
      - .address_space:  global
        .offset:         80
        .size:           8
        .value_kind:     global_buffer
      - .offset:         88
        .size:           4
        .value_kind:     by_value
      - .offset:         92
        .size:           1
        .value_kind:     by_value
    .group_segment_fixed_size: 3872
    .kernarg_segment_align: 8
    .kernarg_segment_size: 96
    .language:       OpenCL C
    .language_version:
      - 2
      - 0
    .max_flat_workgroup_size: 484
    .name:           _ZN9rocsparseL20bsrxmvn_17_32_kernelILj22E21rocsparse_complex_numIfEiifS2_S2_EEvT2_20rocsparse_direction_NS_24const_host_device_scalarIT0_EES3_PKS3_PKT1_SC_S9_PKT3_PKT4_S7_PT5_21rocsparse_index_base_b
    .private_segment_fixed_size: 0
    .sgpr_count:     18
    .sgpr_spill_count: 0
    .symbol:         _ZN9rocsparseL20bsrxmvn_17_32_kernelILj22E21rocsparse_complex_numIfEiifS2_S2_EEvT2_20rocsparse_direction_NS_24const_host_device_scalarIT0_EES3_PKS3_PKT1_SC_S9_PKT3_PKT4_S7_PT5_21rocsparse_index_base_b.kd
    .uniform_work_group_size: 1
    .uses_dynamic_stack: false
    .vgpr_count:     15
    .vgpr_spill_count: 0
    .wavefront_size: 32
    .workgroup_processor_mode: 1
  - .args:
      - .offset:         0
        .size:           4
        .value_kind:     by_value
      - .offset:         4
        .size:           4
        .value_kind:     by_value
      - .offset:         8
        .size:           8
        .value_kind:     by_value
      - .offset:         16
        .size:           4
        .value_kind:     by_value
      - .actual_access:  read_only
        .address_space:  global
        .offset:         24
        .size:           8
        .value_kind:     global_buffer
      - .actual_access:  read_only
        .address_space:  global
        .offset:         32
        .size:           8
        .value_kind:     global_buffer
      - .actual_access:  read_only
        .address_space:  global
        .offset:         40
        .size:           8
        .value_kind:     global_buffer
      - .actual_access:  read_only
        .address_space:  global
        .offset:         48
        .size:           8
        .value_kind:     global_buffer
      - .actual_access:  read_only
        .address_space:  global
        .offset:         56
        .size:           8
        .value_kind:     global_buffer
      - .actual_access:  read_only
        .address_space:  global
        .offset:         64
        .size:           8
        .value_kind:     global_buffer
      - .offset:         72
        .size:           8
        .value_kind:     by_value
      - .address_space:  global
        .offset:         80
        .size:           8
        .value_kind:     global_buffer
      - .offset:         88
        .size:           4
        .value_kind:     by_value
      - .offset:         92
        .size:           1
        .value_kind:     by_value
    .group_segment_fixed_size: 4232
    .kernarg_segment_align: 8
    .kernarg_segment_size: 96
    .language:       OpenCL C
    .language_version:
      - 2
      - 0
    .max_flat_workgroup_size: 529
    .name:           _ZN9rocsparseL20bsrxmvn_17_32_kernelILj23E21rocsparse_complex_numIfEiifS2_S2_EEvT2_20rocsparse_direction_NS_24const_host_device_scalarIT0_EES3_PKS3_PKT1_SC_S9_PKT3_PKT4_S7_PT5_21rocsparse_index_base_b
    .private_segment_fixed_size: 0
    .sgpr_count:     18
    .sgpr_spill_count: 0
    .symbol:         _ZN9rocsparseL20bsrxmvn_17_32_kernelILj23E21rocsparse_complex_numIfEiifS2_S2_EEvT2_20rocsparse_direction_NS_24const_host_device_scalarIT0_EES3_PKS3_PKT1_SC_S9_PKT3_PKT4_S7_PT5_21rocsparse_index_base_b.kd
    .uniform_work_group_size: 1
    .uses_dynamic_stack: false
    .vgpr_count:     15
    .vgpr_spill_count: 0
    .wavefront_size: 32
    .workgroup_processor_mode: 1
  - .args:
      - .offset:         0
        .size:           4
        .value_kind:     by_value
      - .offset:         4
        .size:           4
        .value_kind:     by_value
      - .offset:         8
        .size:           8
        .value_kind:     by_value
      - .offset:         16
        .size:           4
        .value_kind:     by_value
      - .actual_access:  read_only
        .address_space:  global
        .offset:         24
        .size:           8
        .value_kind:     global_buffer
      - .actual_access:  read_only
        .address_space:  global
        .offset:         32
        .size:           8
        .value_kind:     global_buffer
      - .actual_access:  read_only
        .address_space:  global
        .offset:         40
        .size:           8
        .value_kind:     global_buffer
      - .actual_access:  read_only
        .address_space:  global
        .offset:         48
        .size:           8
        .value_kind:     global_buffer
      - .actual_access:  read_only
        .address_space:  global
        .offset:         56
        .size:           8
        .value_kind:     global_buffer
      - .actual_access:  read_only
        .address_space:  global
        .offset:         64
        .size:           8
        .value_kind:     global_buffer
      - .offset:         72
        .size:           8
        .value_kind:     by_value
      - .address_space:  global
        .offset:         80
        .size:           8
        .value_kind:     global_buffer
      - .offset:         88
        .size:           4
        .value_kind:     by_value
      - .offset:         92
        .size:           1
        .value_kind:     by_value
    .group_segment_fixed_size: 4608
    .kernarg_segment_align: 8
    .kernarg_segment_size: 96
    .language:       OpenCL C
    .language_version:
      - 2
      - 0
    .max_flat_workgroup_size: 576
    .name:           _ZN9rocsparseL20bsrxmvn_17_32_kernelILj24E21rocsparse_complex_numIfEiifS2_S2_EEvT2_20rocsparse_direction_NS_24const_host_device_scalarIT0_EES3_PKS3_PKT1_SC_S9_PKT3_PKT4_S7_PT5_21rocsparse_index_base_b
    .private_segment_fixed_size: 0
    .sgpr_count:     18
    .sgpr_spill_count: 0
    .symbol:         _ZN9rocsparseL20bsrxmvn_17_32_kernelILj24E21rocsparse_complex_numIfEiifS2_S2_EEvT2_20rocsparse_direction_NS_24const_host_device_scalarIT0_EES3_PKS3_PKT1_SC_S9_PKT3_PKT4_S7_PT5_21rocsparse_index_base_b.kd
    .uniform_work_group_size: 1
    .uses_dynamic_stack: false
    .vgpr_count:     15
    .vgpr_spill_count: 0
    .wavefront_size: 32
    .workgroup_processor_mode: 1
  - .args:
      - .offset:         0
        .size:           4
        .value_kind:     by_value
      - .offset:         4
        .size:           4
        .value_kind:     by_value
      - .offset:         8
        .size:           8
        .value_kind:     by_value
      - .offset:         16
        .size:           4
        .value_kind:     by_value
      - .actual_access:  read_only
        .address_space:  global
        .offset:         24
        .size:           8
        .value_kind:     global_buffer
      - .actual_access:  read_only
        .address_space:  global
        .offset:         32
        .size:           8
        .value_kind:     global_buffer
      - .actual_access:  read_only
        .address_space:  global
        .offset:         40
        .size:           8
        .value_kind:     global_buffer
      - .actual_access:  read_only
        .address_space:  global
        .offset:         48
        .size:           8
        .value_kind:     global_buffer
      - .actual_access:  read_only
        .address_space:  global
        .offset:         56
        .size:           8
        .value_kind:     global_buffer
      - .actual_access:  read_only
        .address_space:  global
        .offset:         64
        .size:           8
        .value_kind:     global_buffer
      - .offset:         72
        .size:           8
        .value_kind:     by_value
      - .address_space:  global
        .offset:         80
        .size:           8
        .value_kind:     global_buffer
      - .offset:         88
        .size:           4
        .value_kind:     by_value
      - .offset:         92
        .size:           1
        .value_kind:     by_value
    .group_segment_fixed_size: 5000
    .kernarg_segment_align: 8
    .kernarg_segment_size: 96
    .language:       OpenCL C
    .language_version:
      - 2
      - 0
    .max_flat_workgroup_size: 625
    .name:           _ZN9rocsparseL20bsrxmvn_17_32_kernelILj25E21rocsparse_complex_numIfEiifS2_S2_EEvT2_20rocsparse_direction_NS_24const_host_device_scalarIT0_EES3_PKS3_PKT1_SC_S9_PKT3_PKT4_S7_PT5_21rocsparse_index_base_b
    .private_segment_fixed_size: 0
    .sgpr_count:     18
    .sgpr_spill_count: 0
    .symbol:         _ZN9rocsparseL20bsrxmvn_17_32_kernelILj25E21rocsparse_complex_numIfEiifS2_S2_EEvT2_20rocsparse_direction_NS_24const_host_device_scalarIT0_EES3_PKS3_PKT1_SC_S9_PKT3_PKT4_S7_PT5_21rocsparse_index_base_b.kd
    .uniform_work_group_size: 1
    .uses_dynamic_stack: false
    .vgpr_count:     15
    .vgpr_spill_count: 0
    .wavefront_size: 32
    .workgroup_processor_mode: 1
  - .args:
      - .offset:         0
        .size:           4
        .value_kind:     by_value
      - .offset:         4
        .size:           4
        .value_kind:     by_value
      - .offset:         8
        .size:           8
        .value_kind:     by_value
      - .offset:         16
        .size:           4
        .value_kind:     by_value
      - .actual_access:  read_only
        .address_space:  global
        .offset:         24
        .size:           8
        .value_kind:     global_buffer
      - .actual_access:  read_only
        .address_space:  global
        .offset:         32
        .size:           8
        .value_kind:     global_buffer
      - .actual_access:  read_only
        .address_space:  global
        .offset:         40
        .size:           8
        .value_kind:     global_buffer
      - .actual_access:  read_only
        .address_space:  global
        .offset:         48
        .size:           8
        .value_kind:     global_buffer
      - .actual_access:  read_only
        .address_space:  global
        .offset:         56
        .size:           8
        .value_kind:     global_buffer
      - .actual_access:  read_only
        .address_space:  global
        .offset:         64
        .size:           8
        .value_kind:     global_buffer
      - .offset:         72
        .size:           8
        .value_kind:     by_value
      - .address_space:  global
        .offset:         80
        .size:           8
        .value_kind:     global_buffer
      - .offset:         88
        .size:           4
        .value_kind:     by_value
      - .offset:         92
        .size:           1
        .value_kind:     by_value
    .group_segment_fixed_size: 5408
    .kernarg_segment_align: 8
    .kernarg_segment_size: 96
    .language:       OpenCL C
    .language_version:
      - 2
      - 0
    .max_flat_workgroup_size: 676
    .name:           _ZN9rocsparseL20bsrxmvn_17_32_kernelILj26E21rocsparse_complex_numIfEiifS2_S2_EEvT2_20rocsparse_direction_NS_24const_host_device_scalarIT0_EES3_PKS3_PKT1_SC_S9_PKT3_PKT4_S7_PT5_21rocsparse_index_base_b
    .private_segment_fixed_size: 0
    .sgpr_count:     18
    .sgpr_spill_count: 0
    .symbol:         _ZN9rocsparseL20bsrxmvn_17_32_kernelILj26E21rocsparse_complex_numIfEiifS2_S2_EEvT2_20rocsparse_direction_NS_24const_host_device_scalarIT0_EES3_PKS3_PKT1_SC_S9_PKT3_PKT4_S7_PT5_21rocsparse_index_base_b.kd
    .uniform_work_group_size: 1
    .uses_dynamic_stack: false
    .vgpr_count:     15
    .vgpr_spill_count: 0
    .wavefront_size: 32
    .workgroup_processor_mode: 1
  - .args:
      - .offset:         0
        .size:           4
        .value_kind:     by_value
      - .offset:         4
        .size:           4
        .value_kind:     by_value
      - .offset:         8
        .size:           8
        .value_kind:     by_value
      - .offset:         16
        .size:           4
        .value_kind:     by_value
      - .actual_access:  read_only
        .address_space:  global
        .offset:         24
        .size:           8
        .value_kind:     global_buffer
      - .actual_access:  read_only
        .address_space:  global
        .offset:         32
        .size:           8
        .value_kind:     global_buffer
      - .actual_access:  read_only
        .address_space:  global
        .offset:         40
        .size:           8
        .value_kind:     global_buffer
      - .actual_access:  read_only
        .address_space:  global
        .offset:         48
        .size:           8
        .value_kind:     global_buffer
      - .actual_access:  read_only
        .address_space:  global
        .offset:         56
        .size:           8
        .value_kind:     global_buffer
      - .actual_access:  read_only
        .address_space:  global
        .offset:         64
        .size:           8
        .value_kind:     global_buffer
      - .offset:         72
        .size:           8
        .value_kind:     by_value
      - .address_space:  global
        .offset:         80
        .size:           8
        .value_kind:     global_buffer
      - .offset:         88
        .size:           4
        .value_kind:     by_value
      - .offset:         92
        .size:           1
        .value_kind:     by_value
    .group_segment_fixed_size: 5832
    .kernarg_segment_align: 8
    .kernarg_segment_size: 96
    .language:       OpenCL C
    .language_version:
      - 2
      - 0
    .max_flat_workgroup_size: 729
    .name:           _ZN9rocsparseL20bsrxmvn_17_32_kernelILj27E21rocsparse_complex_numIfEiifS2_S2_EEvT2_20rocsparse_direction_NS_24const_host_device_scalarIT0_EES3_PKS3_PKT1_SC_S9_PKT3_PKT4_S7_PT5_21rocsparse_index_base_b
    .private_segment_fixed_size: 0
    .sgpr_count:     18
    .sgpr_spill_count: 0
    .symbol:         _ZN9rocsparseL20bsrxmvn_17_32_kernelILj27E21rocsparse_complex_numIfEiifS2_S2_EEvT2_20rocsparse_direction_NS_24const_host_device_scalarIT0_EES3_PKS3_PKT1_SC_S9_PKT3_PKT4_S7_PT5_21rocsparse_index_base_b.kd
    .uniform_work_group_size: 1
    .uses_dynamic_stack: false
    .vgpr_count:     15
    .vgpr_spill_count: 0
    .wavefront_size: 32
    .workgroup_processor_mode: 1
  - .args:
      - .offset:         0
        .size:           4
        .value_kind:     by_value
      - .offset:         4
        .size:           4
        .value_kind:     by_value
      - .offset:         8
        .size:           8
        .value_kind:     by_value
      - .offset:         16
        .size:           4
        .value_kind:     by_value
      - .actual_access:  read_only
        .address_space:  global
        .offset:         24
        .size:           8
        .value_kind:     global_buffer
      - .actual_access:  read_only
        .address_space:  global
        .offset:         32
        .size:           8
        .value_kind:     global_buffer
      - .actual_access:  read_only
        .address_space:  global
        .offset:         40
        .size:           8
        .value_kind:     global_buffer
      - .actual_access:  read_only
        .address_space:  global
        .offset:         48
        .size:           8
        .value_kind:     global_buffer
      - .actual_access:  read_only
        .address_space:  global
        .offset:         56
        .size:           8
        .value_kind:     global_buffer
      - .actual_access:  read_only
        .address_space:  global
        .offset:         64
        .size:           8
        .value_kind:     global_buffer
      - .offset:         72
        .size:           8
        .value_kind:     by_value
      - .address_space:  global
        .offset:         80
        .size:           8
        .value_kind:     global_buffer
      - .offset:         88
        .size:           4
        .value_kind:     by_value
      - .offset:         92
        .size:           1
        .value_kind:     by_value
    .group_segment_fixed_size: 6272
    .kernarg_segment_align: 8
    .kernarg_segment_size: 96
    .language:       OpenCL C
    .language_version:
      - 2
      - 0
    .max_flat_workgroup_size: 784
    .name:           _ZN9rocsparseL20bsrxmvn_17_32_kernelILj28E21rocsparse_complex_numIfEiifS2_S2_EEvT2_20rocsparse_direction_NS_24const_host_device_scalarIT0_EES3_PKS3_PKT1_SC_S9_PKT3_PKT4_S7_PT5_21rocsparse_index_base_b
    .private_segment_fixed_size: 0
    .sgpr_count:     18
    .sgpr_spill_count: 0
    .symbol:         _ZN9rocsparseL20bsrxmvn_17_32_kernelILj28E21rocsparse_complex_numIfEiifS2_S2_EEvT2_20rocsparse_direction_NS_24const_host_device_scalarIT0_EES3_PKS3_PKT1_SC_S9_PKT3_PKT4_S7_PT5_21rocsparse_index_base_b.kd
    .uniform_work_group_size: 1
    .uses_dynamic_stack: false
    .vgpr_count:     15
    .vgpr_spill_count: 0
    .wavefront_size: 32
    .workgroup_processor_mode: 1
  - .args:
      - .offset:         0
        .size:           4
        .value_kind:     by_value
      - .offset:         4
        .size:           4
        .value_kind:     by_value
      - .offset:         8
        .size:           8
        .value_kind:     by_value
      - .offset:         16
        .size:           4
        .value_kind:     by_value
      - .actual_access:  read_only
        .address_space:  global
        .offset:         24
        .size:           8
        .value_kind:     global_buffer
      - .actual_access:  read_only
        .address_space:  global
        .offset:         32
        .size:           8
        .value_kind:     global_buffer
      - .actual_access:  read_only
        .address_space:  global
        .offset:         40
        .size:           8
        .value_kind:     global_buffer
      - .actual_access:  read_only
        .address_space:  global
        .offset:         48
        .size:           8
        .value_kind:     global_buffer
      - .actual_access:  read_only
        .address_space:  global
        .offset:         56
        .size:           8
        .value_kind:     global_buffer
      - .actual_access:  read_only
        .address_space:  global
        .offset:         64
        .size:           8
        .value_kind:     global_buffer
      - .offset:         72
        .size:           8
        .value_kind:     by_value
      - .address_space:  global
        .offset:         80
        .size:           8
        .value_kind:     global_buffer
      - .offset:         88
        .size:           4
        .value_kind:     by_value
      - .offset:         92
        .size:           1
        .value_kind:     by_value
    .group_segment_fixed_size: 6728
    .kernarg_segment_align: 8
    .kernarg_segment_size: 96
    .language:       OpenCL C
    .language_version:
      - 2
      - 0
    .max_flat_workgroup_size: 841
    .name:           _ZN9rocsparseL20bsrxmvn_17_32_kernelILj29E21rocsparse_complex_numIfEiifS2_S2_EEvT2_20rocsparse_direction_NS_24const_host_device_scalarIT0_EES3_PKS3_PKT1_SC_S9_PKT3_PKT4_S7_PT5_21rocsparse_index_base_b
    .private_segment_fixed_size: 0
    .sgpr_count:     18
    .sgpr_spill_count: 0
    .symbol:         _ZN9rocsparseL20bsrxmvn_17_32_kernelILj29E21rocsparse_complex_numIfEiifS2_S2_EEvT2_20rocsparse_direction_NS_24const_host_device_scalarIT0_EES3_PKS3_PKT1_SC_S9_PKT3_PKT4_S7_PT5_21rocsparse_index_base_b.kd
    .uniform_work_group_size: 1
    .uses_dynamic_stack: false
    .vgpr_count:     15
    .vgpr_spill_count: 0
    .wavefront_size: 32
    .workgroup_processor_mode: 1
  - .args:
      - .offset:         0
        .size:           4
        .value_kind:     by_value
      - .offset:         4
        .size:           4
        .value_kind:     by_value
      - .offset:         8
        .size:           8
        .value_kind:     by_value
      - .offset:         16
        .size:           4
        .value_kind:     by_value
      - .actual_access:  read_only
        .address_space:  global
        .offset:         24
        .size:           8
        .value_kind:     global_buffer
      - .actual_access:  read_only
        .address_space:  global
        .offset:         32
        .size:           8
        .value_kind:     global_buffer
      - .actual_access:  read_only
        .address_space:  global
        .offset:         40
        .size:           8
        .value_kind:     global_buffer
      - .actual_access:  read_only
        .address_space:  global
        .offset:         48
        .size:           8
        .value_kind:     global_buffer
      - .actual_access:  read_only
        .address_space:  global
        .offset:         56
        .size:           8
        .value_kind:     global_buffer
      - .actual_access:  read_only
        .address_space:  global
        .offset:         64
        .size:           8
        .value_kind:     global_buffer
      - .offset:         72
        .size:           8
        .value_kind:     by_value
      - .address_space:  global
        .offset:         80
        .size:           8
        .value_kind:     global_buffer
      - .offset:         88
        .size:           4
        .value_kind:     by_value
      - .offset:         92
        .size:           1
        .value_kind:     by_value
    .group_segment_fixed_size: 7200
    .kernarg_segment_align: 8
    .kernarg_segment_size: 96
    .language:       OpenCL C
    .language_version:
      - 2
      - 0
    .max_flat_workgroup_size: 900
    .name:           _ZN9rocsparseL20bsrxmvn_17_32_kernelILj30E21rocsparse_complex_numIfEiifS2_S2_EEvT2_20rocsparse_direction_NS_24const_host_device_scalarIT0_EES3_PKS3_PKT1_SC_S9_PKT3_PKT4_S7_PT5_21rocsparse_index_base_b
    .private_segment_fixed_size: 0
    .sgpr_count:     18
    .sgpr_spill_count: 0
    .symbol:         _ZN9rocsparseL20bsrxmvn_17_32_kernelILj30E21rocsparse_complex_numIfEiifS2_S2_EEvT2_20rocsparse_direction_NS_24const_host_device_scalarIT0_EES3_PKS3_PKT1_SC_S9_PKT3_PKT4_S7_PT5_21rocsparse_index_base_b.kd
    .uniform_work_group_size: 1
    .uses_dynamic_stack: false
    .vgpr_count:     15
    .vgpr_spill_count: 0
    .wavefront_size: 32
    .workgroup_processor_mode: 1
  - .args:
      - .offset:         0
        .size:           4
        .value_kind:     by_value
      - .offset:         4
        .size:           4
        .value_kind:     by_value
      - .offset:         8
        .size:           8
        .value_kind:     by_value
      - .offset:         16
        .size:           4
        .value_kind:     by_value
      - .actual_access:  read_only
        .address_space:  global
        .offset:         24
        .size:           8
        .value_kind:     global_buffer
      - .actual_access:  read_only
        .address_space:  global
        .offset:         32
        .size:           8
        .value_kind:     global_buffer
      - .actual_access:  read_only
        .address_space:  global
        .offset:         40
        .size:           8
        .value_kind:     global_buffer
      - .actual_access:  read_only
        .address_space:  global
        .offset:         48
        .size:           8
        .value_kind:     global_buffer
      - .actual_access:  read_only
        .address_space:  global
        .offset:         56
        .size:           8
        .value_kind:     global_buffer
      - .actual_access:  read_only
        .address_space:  global
        .offset:         64
        .size:           8
        .value_kind:     global_buffer
      - .offset:         72
        .size:           8
        .value_kind:     by_value
      - .address_space:  global
        .offset:         80
        .size:           8
        .value_kind:     global_buffer
      - .offset:         88
        .size:           4
        .value_kind:     by_value
      - .offset:         92
        .size:           1
        .value_kind:     by_value
    .group_segment_fixed_size: 7688
    .kernarg_segment_align: 8
    .kernarg_segment_size: 96
    .language:       OpenCL C
    .language_version:
      - 2
      - 0
    .max_flat_workgroup_size: 961
    .name:           _ZN9rocsparseL20bsrxmvn_17_32_kernelILj31E21rocsparse_complex_numIfEiifS2_S2_EEvT2_20rocsparse_direction_NS_24const_host_device_scalarIT0_EES3_PKS3_PKT1_SC_S9_PKT3_PKT4_S7_PT5_21rocsparse_index_base_b
    .private_segment_fixed_size: 0
    .sgpr_count:     18
    .sgpr_spill_count: 0
    .symbol:         _ZN9rocsparseL20bsrxmvn_17_32_kernelILj31E21rocsparse_complex_numIfEiifS2_S2_EEvT2_20rocsparse_direction_NS_24const_host_device_scalarIT0_EES3_PKS3_PKT1_SC_S9_PKT3_PKT4_S7_PT5_21rocsparse_index_base_b.kd
    .uniform_work_group_size: 1
    .uses_dynamic_stack: false
    .vgpr_count:     15
    .vgpr_spill_count: 0
    .wavefront_size: 32
    .workgroup_processor_mode: 1
  - .args:
      - .offset:         0
        .size:           4
        .value_kind:     by_value
      - .offset:         4
        .size:           4
        .value_kind:     by_value
      - .offset:         8
        .size:           8
        .value_kind:     by_value
      - .offset:         16
        .size:           4
        .value_kind:     by_value
      - .actual_access:  read_only
        .address_space:  global
        .offset:         24
        .size:           8
        .value_kind:     global_buffer
      - .actual_access:  read_only
        .address_space:  global
        .offset:         32
        .size:           8
        .value_kind:     global_buffer
      - .actual_access:  read_only
        .address_space:  global
        .offset:         40
        .size:           8
        .value_kind:     global_buffer
      - .actual_access:  read_only
        .address_space:  global
        .offset:         48
        .size:           8
        .value_kind:     global_buffer
      - .actual_access:  read_only
        .address_space:  global
        .offset:         56
        .size:           8
        .value_kind:     global_buffer
      - .actual_access:  read_only
        .address_space:  global
        .offset:         64
        .size:           8
        .value_kind:     global_buffer
      - .offset:         72
        .size:           8
        .value_kind:     by_value
      - .address_space:  global
        .offset:         80
        .size:           8
        .value_kind:     global_buffer
      - .offset:         88
        .size:           4
        .value_kind:     by_value
      - .offset:         92
        .size:           1
        .value_kind:     by_value
    .group_segment_fixed_size: 8192
    .kernarg_segment_align: 8
    .kernarg_segment_size: 96
    .language:       OpenCL C
    .language_version:
      - 2
      - 0
    .max_flat_workgroup_size: 1024
    .name:           _ZN9rocsparseL20bsrxmvn_17_32_kernelILj32E21rocsparse_complex_numIfEiifS2_S2_EEvT2_20rocsparse_direction_NS_24const_host_device_scalarIT0_EES3_PKS3_PKT1_SC_S9_PKT3_PKT4_S7_PT5_21rocsparse_index_base_b
    .private_segment_fixed_size: 0
    .sgpr_count:     22
    .sgpr_spill_count: 0
    .symbol:         _ZN9rocsparseL20bsrxmvn_17_32_kernelILj32E21rocsparse_complex_numIfEiifS2_S2_EEvT2_20rocsparse_direction_NS_24const_host_device_scalarIT0_EES3_PKS3_PKT1_SC_S9_PKT3_PKT4_S7_PT5_21rocsparse_index_base_b.kd
    .uniform_work_group_size: 1
    .uses_dynamic_stack: false
    .vgpr_count:     14
    .vgpr_spill_count: 0
    .wavefront_size: 32
    .workgroup_processor_mode: 1
  - .args:
      - .offset:         0
        .size:           4
        .value_kind:     by_value
      - .offset:         4
        .size:           4
        .value_kind:     by_value
      - .offset:         8
        .size:           8
        .value_kind:     by_value
      - .offset:         16
        .size:           4
        .value_kind:     by_value
      - .actual_access:  read_only
        .address_space:  global
        .offset:         24
        .size:           8
        .value_kind:     global_buffer
      - .actual_access:  read_only
        .address_space:  global
        .offset:         32
        .size:           8
        .value_kind:     global_buffer
      - .actual_access:  read_only
        .address_space:  global
        .offset:         40
        .size:           8
        .value_kind:     global_buffer
      - .actual_access:  read_only
        .address_space:  global
        .offset:         48
        .size:           8
        .value_kind:     global_buffer
      - .actual_access:  read_only
        .address_space:  global
        .offset:         56
        .size:           8
        .value_kind:     global_buffer
      - .actual_access:  read_only
        .address_space:  global
        .offset:         64
        .size:           8
        .value_kind:     global_buffer
      - .offset:         72
        .size:           8
        .value_kind:     by_value
      - .address_space:  global
        .offset:         80
        .size:           8
        .value_kind:     global_buffer
      - .offset:         88
        .size:           4
        .value_kind:     by_value
      - .offset:         92
        .size:           1
        .value_kind:     by_value
    .group_segment_fixed_size: 2312
    .kernarg_segment_align: 8
    .kernarg_segment_size: 96
    .language:       OpenCL C
    .language_version:
      - 2
      - 0
    .max_flat_workgroup_size: 289
    .name:           _ZN9rocsparseL20bsrxmvn_17_32_kernelILj17E21rocsparse_complex_numIfElifS2_S2_EEvT2_20rocsparse_direction_NS_24const_host_device_scalarIT0_EES3_PKS3_PKT1_SC_S9_PKT3_PKT4_S7_PT5_21rocsparse_index_base_b
    .private_segment_fixed_size: 0
    .sgpr_count:     23
    .sgpr_spill_count: 0
    .symbol:         _ZN9rocsparseL20bsrxmvn_17_32_kernelILj17E21rocsparse_complex_numIfElifS2_S2_EEvT2_20rocsparse_direction_NS_24const_host_device_scalarIT0_EES3_PKS3_PKT1_SC_S9_PKT3_PKT4_S7_PT5_21rocsparse_index_base_b.kd
    .uniform_work_group_size: 1
    .uses_dynamic_stack: false
    .vgpr_count:     17
    .vgpr_spill_count: 0
    .wavefront_size: 32
    .workgroup_processor_mode: 1
  - .args:
      - .offset:         0
        .size:           4
        .value_kind:     by_value
      - .offset:         4
        .size:           4
        .value_kind:     by_value
      - .offset:         8
        .size:           8
        .value_kind:     by_value
      - .offset:         16
        .size:           4
        .value_kind:     by_value
      - .actual_access:  read_only
        .address_space:  global
        .offset:         24
        .size:           8
        .value_kind:     global_buffer
      - .actual_access:  read_only
        .address_space:  global
        .offset:         32
        .size:           8
        .value_kind:     global_buffer
      - .actual_access:  read_only
        .address_space:  global
        .offset:         40
        .size:           8
        .value_kind:     global_buffer
      - .actual_access:  read_only
        .address_space:  global
        .offset:         48
        .size:           8
        .value_kind:     global_buffer
      - .actual_access:  read_only
        .address_space:  global
        .offset:         56
        .size:           8
        .value_kind:     global_buffer
      - .actual_access:  read_only
        .address_space:  global
        .offset:         64
        .size:           8
        .value_kind:     global_buffer
      - .offset:         72
        .size:           8
        .value_kind:     by_value
      - .address_space:  global
        .offset:         80
        .size:           8
        .value_kind:     global_buffer
      - .offset:         88
        .size:           4
        .value_kind:     by_value
      - .offset:         92
        .size:           1
        .value_kind:     by_value
    .group_segment_fixed_size: 2592
    .kernarg_segment_align: 8
    .kernarg_segment_size: 96
    .language:       OpenCL C
    .language_version:
      - 2
      - 0
    .max_flat_workgroup_size: 324
    .name:           _ZN9rocsparseL20bsrxmvn_17_32_kernelILj18E21rocsparse_complex_numIfElifS2_S2_EEvT2_20rocsparse_direction_NS_24const_host_device_scalarIT0_EES3_PKS3_PKT1_SC_S9_PKT3_PKT4_S7_PT5_21rocsparse_index_base_b
    .private_segment_fixed_size: 0
    .sgpr_count:     23
    .sgpr_spill_count: 0
    .symbol:         _ZN9rocsparseL20bsrxmvn_17_32_kernelILj18E21rocsparse_complex_numIfElifS2_S2_EEvT2_20rocsparse_direction_NS_24const_host_device_scalarIT0_EES3_PKS3_PKT1_SC_S9_PKT3_PKT4_S7_PT5_21rocsparse_index_base_b.kd
    .uniform_work_group_size: 1
    .uses_dynamic_stack: false
    .vgpr_count:     17
    .vgpr_spill_count: 0
    .wavefront_size: 32
    .workgroup_processor_mode: 1
  - .args:
      - .offset:         0
        .size:           4
        .value_kind:     by_value
      - .offset:         4
        .size:           4
        .value_kind:     by_value
      - .offset:         8
        .size:           8
        .value_kind:     by_value
      - .offset:         16
        .size:           4
        .value_kind:     by_value
      - .actual_access:  read_only
        .address_space:  global
        .offset:         24
        .size:           8
        .value_kind:     global_buffer
      - .actual_access:  read_only
        .address_space:  global
        .offset:         32
        .size:           8
        .value_kind:     global_buffer
      - .actual_access:  read_only
        .address_space:  global
        .offset:         40
        .size:           8
        .value_kind:     global_buffer
      - .actual_access:  read_only
        .address_space:  global
        .offset:         48
        .size:           8
        .value_kind:     global_buffer
      - .actual_access:  read_only
        .address_space:  global
        .offset:         56
        .size:           8
        .value_kind:     global_buffer
      - .actual_access:  read_only
        .address_space:  global
        .offset:         64
        .size:           8
        .value_kind:     global_buffer
      - .offset:         72
        .size:           8
        .value_kind:     by_value
      - .address_space:  global
        .offset:         80
        .size:           8
        .value_kind:     global_buffer
      - .offset:         88
        .size:           4
        .value_kind:     by_value
      - .offset:         92
        .size:           1
        .value_kind:     by_value
    .group_segment_fixed_size: 2888
    .kernarg_segment_align: 8
    .kernarg_segment_size: 96
    .language:       OpenCL C
    .language_version:
      - 2
      - 0
    .max_flat_workgroup_size: 361
    .name:           _ZN9rocsparseL20bsrxmvn_17_32_kernelILj19E21rocsparse_complex_numIfElifS2_S2_EEvT2_20rocsparse_direction_NS_24const_host_device_scalarIT0_EES3_PKS3_PKT1_SC_S9_PKT3_PKT4_S7_PT5_21rocsparse_index_base_b
    .private_segment_fixed_size: 0
    .sgpr_count:     23
    .sgpr_spill_count: 0
    .symbol:         _ZN9rocsparseL20bsrxmvn_17_32_kernelILj19E21rocsparse_complex_numIfElifS2_S2_EEvT2_20rocsparse_direction_NS_24const_host_device_scalarIT0_EES3_PKS3_PKT1_SC_S9_PKT3_PKT4_S7_PT5_21rocsparse_index_base_b.kd
    .uniform_work_group_size: 1
    .uses_dynamic_stack: false
    .vgpr_count:     17
    .vgpr_spill_count: 0
    .wavefront_size: 32
    .workgroup_processor_mode: 1
  - .args:
      - .offset:         0
        .size:           4
        .value_kind:     by_value
      - .offset:         4
        .size:           4
        .value_kind:     by_value
      - .offset:         8
        .size:           8
        .value_kind:     by_value
      - .offset:         16
        .size:           4
        .value_kind:     by_value
      - .actual_access:  read_only
        .address_space:  global
        .offset:         24
        .size:           8
        .value_kind:     global_buffer
      - .actual_access:  read_only
        .address_space:  global
        .offset:         32
        .size:           8
        .value_kind:     global_buffer
      - .actual_access:  read_only
        .address_space:  global
        .offset:         40
        .size:           8
        .value_kind:     global_buffer
      - .actual_access:  read_only
        .address_space:  global
        .offset:         48
        .size:           8
        .value_kind:     global_buffer
      - .actual_access:  read_only
        .address_space:  global
        .offset:         56
        .size:           8
        .value_kind:     global_buffer
      - .actual_access:  read_only
        .address_space:  global
        .offset:         64
        .size:           8
        .value_kind:     global_buffer
      - .offset:         72
        .size:           8
        .value_kind:     by_value
      - .address_space:  global
        .offset:         80
        .size:           8
        .value_kind:     global_buffer
      - .offset:         88
        .size:           4
        .value_kind:     by_value
      - .offset:         92
        .size:           1
        .value_kind:     by_value
    .group_segment_fixed_size: 3200
    .kernarg_segment_align: 8
    .kernarg_segment_size: 96
    .language:       OpenCL C
    .language_version:
      - 2
      - 0
    .max_flat_workgroup_size: 400
    .name:           _ZN9rocsparseL20bsrxmvn_17_32_kernelILj20E21rocsparse_complex_numIfElifS2_S2_EEvT2_20rocsparse_direction_NS_24const_host_device_scalarIT0_EES3_PKS3_PKT1_SC_S9_PKT3_PKT4_S7_PT5_21rocsparse_index_base_b
    .private_segment_fixed_size: 0
    .sgpr_count:     23
    .sgpr_spill_count: 0
    .symbol:         _ZN9rocsparseL20bsrxmvn_17_32_kernelILj20E21rocsparse_complex_numIfElifS2_S2_EEvT2_20rocsparse_direction_NS_24const_host_device_scalarIT0_EES3_PKS3_PKT1_SC_S9_PKT3_PKT4_S7_PT5_21rocsparse_index_base_b.kd
    .uniform_work_group_size: 1
    .uses_dynamic_stack: false
    .vgpr_count:     17
    .vgpr_spill_count: 0
    .wavefront_size: 32
    .workgroup_processor_mode: 1
  - .args:
      - .offset:         0
        .size:           4
        .value_kind:     by_value
      - .offset:         4
        .size:           4
        .value_kind:     by_value
      - .offset:         8
        .size:           8
        .value_kind:     by_value
      - .offset:         16
        .size:           4
        .value_kind:     by_value
      - .actual_access:  read_only
        .address_space:  global
        .offset:         24
        .size:           8
        .value_kind:     global_buffer
      - .actual_access:  read_only
        .address_space:  global
        .offset:         32
        .size:           8
        .value_kind:     global_buffer
      - .actual_access:  read_only
        .address_space:  global
        .offset:         40
        .size:           8
        .value_kind:     global_buffer
      - .actual_access:  read_only
        .address_space:  global
        .offset:         48
        .size:           8
        .value_kind:     global_buffer
      - .actual_access:  read_only
        .address_space:  global
        .offset:         56
        .size:           8
        .value_kind:     global_buffer
      - .actual_access:  read_only
        .address_space:  global
        .offset:         64
        .size:           8
        .value_kind:     global_buffer
      - .offset:         72
        .size:           8
        .value_kind:     by_value
      - .address_space:  global
        .offset:         80
        .size:           8
        .value_kind:     global_buffer
      - .offset:         88
        .size:           4
        .value_kind:     by_value
      - .offset:         92
        .size:           1
        .value_kind:     by_value
    .group_segment_fixed_size: 3528
    .kernarg_segment_align: 8
    .kernarg_segment_size: 96
    .language:       OpenCL C
    .language_version:
      - 2
      - 0
    .max_flat_workgroup_size: 441
    .name:           _ZN9rocsparseL20bsrxmvn_17_32_kernelILj21E21rocsparse_complex_numIfElifS2_S2_EEvT2_20rocsparse_direction_NS_24const_host_device_scalarIT0_EES3_PKS3_PKT1_SC_S9_PKT3_PKT4_S7_PT5_21rocsparse_index_base_b
    .private_segment_fixed_size: 0
    .sgpr_count:     23
    .sgpr_spill_count: 0
    .symbol:         _ZN9rocsparseL20bsrxmvn_17_32_kernelILj21E21rocsparse_complex_numIfElifS2_S2_EEvT2_20rocsparse_direction_NS_24const_host_device_scalarIT0_EES3_PKS3_PKT1_SC_S9_PKT3_PKT4_S7_PT5_21rocsparse_index_base_b.kd
    .uniform_work_group_size: 1
    .uses_dynamic_stack: false
    .vgpr_count:     17
    .vgpr_spill_count: 0
    .wavefront_size: 32
    .workgroup_processor_mode: 1
  - .args:
      - .offset:         0
        .size:           4
        .value_kind:     by_value
      - .offset:         4
        .size:           4
        .value_kind:     by_value
      - .offset:         8
        .size:           8
        .value_kind:     by_value
      - .offset:         16
        .size:           4
        .value_kind:     by_value
      - .actual_access:  read_only
        .address_space:  global
        .offset:         24
        .size:           8
        .value_kind:     global_buffer
      - .actual_access:  read_only
        .address_space:  global
        .offset:         32
        .size:           8
        .value_kind:     global_buffer
      - .actual_access:  read_only
        .address_space:  global
        .offset:         40
        .size:           8
        .value_kind:     global_buffer
      - .actual_access:  read_only
        .address_space:  global
        .offset:         48
        .size:           8
        .value_kind:     global_buffer
      - .actual_access:  read_only
        .address_space:  global
        .offset:         56
        .size:           8
        .value_kind:     global_buffer
      - .actual_access:  read_only
        .address_space:  global
        .offset:         64
        .size:           8
        .value_kind:     global_buffer
      - .offset:         72
        .size:           8
        .value_kind:     by_value
      - .address_space:  global
        .offset:         80
        .size:           8
        .value_kind:     global_buffer
      - .offset:         88
        .size:           4
        .value_kind:     by_value
      - .offset:         92
        .size:           1
        .value_kind:     by_value
    .group_segment_fixed_size: 3872
    .kernarg_segment_align: 8
    .kernarg_segment_size: 96
    .language:       OpenCL C
    .language_version:
      - 2
      - 0
    .max_flat_workgroup_size: 484
    .name:           _ZN9rocsparseL20bsrxmvn_17_32_kernelILj22E21rocsparse_complex_numIfElifS2_S2_EEvT2_20rocsparse_direction_NS_24const_host_device_scalarIT0_EES3_PKS3_PKT1_SC_S9_PKT3_PKT4_S7_PT5_21rocsparse_index_base_b
    .private_segment_fixed_size: 0
    .sgpr_count:     23
    .sgpr_spill_count: 0
    .symbol:         _ZN9rocsparseL20bsrxmvn_17_32_kernelILj22E21rocsparse_complex_numIfElifS2_S2_EEvT2_20rocsparse_direction_NS_24const_host_device_scalarIT0_EES3_PKS3_PKT1_SC_S9_PKT3_PKT4_S7_PT5_21rocsparse_index_base_b.kd
    .uniform_work_group_size: 1
    .uses_dynamic_stack: false
    .vgpr_count:     17
    .vgpr_spill_count: 0
    .wavefront_size: 32
    .workgroup_processor_mode: 1
  - .args:
      - .offset:         0
        .size:           4
        .value_kind:     by_value
      - .offset:         4
        .size:           4
        .value_kind:     by_value
      - .offset:         8
        .size:           8
        .value_kind:     by_value
      - .offset:         16
        .size:           4
        .value_kind:     by_value
      - .actual_access:  read_only
        .address_space:  global
        .offset:         24
        .size:           8
        .value_kind:     global_buffer
      - .actual_access:  read_only
        .address_space:  global
        .offset:         32
        .size:           8
        .value_kind:     global_buffer
      - .actual_access:  read_only
        .address_space:  global
        .offset:         40
        .size:           8
        .value_kind:     global_buffer
      - .actual_access:  read_only
        .address_space:  global
        .offset:         48
        .size:           8
        .value_kind:     global_buffer
      - .actual_access:  read_only
        .address_space:  global
        .offset:         56
        .size:           8
        .value_kind:     global_buffer
      - .actual_access:  read_only
        .address_space:  global
        .offset:         64
        .size:           8
        .value_kind:     global_buffer
      - .offset:         72
        .size:           8
        .value_kind:     by_value
      - .address_space:  global
        .offset:         80
        .size:           8
        .value_kind:     global_buffer
      - .offset:         88
        .size:           4
        .value_kind:     by_value
      - .offset:         92
        .size:           1
        .value_kind:     by_value
    .group_segment_fixed_size: 4232
    .kernarg_segment_align: 8
    .kernarg_segment_size: 96
    .language:       OpenCL C
    .language_version:
      - 2
      - 0
    .max_flat_workgroup_size: 529
    .name:           _ZN9rocsparseL20bsrxmvn_17_32_kernelILj23E21rocsparse_complex_numIfElifS2_S2_EEvT2_20rocsparse_direction_NS_24const_host_device_scalarIT0_EES3_PKS3_PKT1_SC_S9_PKT3_PKT4_S7_PT5_21rocsparse_index_base_b
    .private_segment_fixed_size: 0
    .sgpr_count:     22
    .sgpr_spill_count: 0
    .symbol:         _ZN9rocsparseL20bsrxmvn_17_32_kernelILj23E21rocsparse_complex_numIfElifS2_S2_EEvT2_20rocsparse_direction_NS_24const_host_device_scalarIT0_EES3_PKS3_PKT1_SC_S9_PKT3_PKT4_S7_PT5_21rocsparse_index_base_b.kd
    .uniform_work_group_size: 1
    .uses_dynamic_stack: false
    .vgpr_count:     17
    .vgpr_spill_count: 0
    .wavefront_size: 32
    .workgroup_processor_mode: 1
  - .args:
      - .offset:         0
        .size:           4
        .value_kind:     by_value
      - .offset:         4
        .size:           4
        .value_kind:     by_value
      - .offset:         8
        .size:           8
        .value_kind:     by_value
      - .offset:         16
        .size:           4
        .value_kind:     by_value
      - .actual_access:  read_only
        .address_space:  global
        .offset:         24
        .size:           8
        .value_kind:     global_buffer
      - .actual_access:  read_only
        .address_space:  global
        .offset:         32
        .size:           8
        .value_kind:     global_buffer
      - .actual_access:  read_only
        .address_space:  global
        .offset:         40
        .size:           8
        .value_kind:     global_buffer
      - .actual_access:  read_only
        .address_space:  global
        .offset:         48
        .size:           8
        .value_kind:     global_buffer
      - .actual_access:  read_only
        .address_space:  global
        .offset:         56
        .size:           8
        .value_kind:     global_buffer
      - .actual_access:  read_only
        .address_space:  global
        .offset:         64
        .size:           8
        .value_kind:     global_buffer
      - .offset:         72
        .size:           8
        .value_kind:     by_value
      - .address_space:  global
        .offset:         80
        .size:           8
        .value_kind:     global_buffer
      - .offset:         88
        .size:           4
        .value_kind:     by_value
      - .offset:         92
        .size:           1
        .value_kind:     by_value
    .group_segment_fixed_size: 4608
    .kernarg_segment_align: 8
    .kernarg_segment_size: 96
    .language:       OpenCL C
    .language_version:
      - 2
      - 0
    .max_flat_workgroup_size: 576
    .name:           _ZN9rocsparseL20bsrxmvn_17_32_kernelILj24E21rocsparse_complex_numIfElifS2_S2_EEvT2_20rocsparse_direction_NS_24const_host_device_scalarIT0_EES3_PKS3_PKT1_SC_S9_PKT3_PKT4_S7_PT5_21rocsparse_index_base_b
    .private_segment_fixed_size: 0
    .sgpr_count:     22
    .sgpr_spill_count: 0
    .symbol:         _ZN9rocsparseL20bsrxmvn_17_32_kernelILj24E21rocsparse_complex_numIfElifS2_S2_EEvT2_20rocsparse_direction_NS_24const_host_device_scalarIT0_EES3_PKS3_PKT1_SC_S9_PKT3_PKT4_S7_PT5_21rocsparse_index_base_b.kd
    .uniform_work_group_size: 1
    .uses_dynamic_stack: false
    .vgpr_count:     17
    .vgpr_spill_count: 0
    .wavefront_size: 32
    .workgroup_processor_mode: 1
  - .args:
      - .offset:         0
        .size:           4
        .value_kind:     by_value
      - .offset:         4
        .size:           4
        .value_kind:     by_value
      - .offset:         8
        .size:           8
        .value_kind:     by_value
      - .offset:         16
        .size:           4
        .value_kind:     by_value
      - .actual_access:  read_only
        .address_space:  global
        .offset:         24
        .size:           8
        .value_kind:     global_buffer
      - .actual_access:  read_only
        .address_space:  global
        .offset:         32
        .size:           8
        .value_kind:     global_buffer
      - .actual_access:  read_only
        .address_space:  global
        .offset:         40
        .size:           8
        .value_kind:     global_buffer
      - .actual_access:  read_only
        .address_space:  global
        .offset:         48
        .size:           8
        .value_kind:     global_buffer
      - .actual_access:  read_only
        .address_space:  global
        .offset:         56
        .size:           8
        .value_kind:     global_buffer
      - .actual_access:  read_only
        .address_space:  global
        .offset:         64
        .size:           8
        .value_kind:     global_buffer
      - .offset:         72
        .size:           8
        .value_kind:     by_value
      - .address_space:  global
        .offset:         80
        .size:           8
        .value_kind:     global_buffer
      - .offset:         88
        .size:           4
        .value_kind:     by_value
      - .offset:         92
        .size:           1
        .value_kind:     by_value
    .group_segment_fixed_size: 5000
    .kernarg_segment_align: 8
    .kernarg_segment_size: 96
    .language:       OpenCL C
    .language_version:
      - 2
      - 0
    .max_flat_workgroup_size: 625
    .name:           _ZN9rocsparseL20bsrxmvn_17_32_kernelILj25E21rocsparse_complex_numIfElifS2_S2_EEvT2_20rocsparse_direction_NS_24const_host_device_scalarIT0_EES3_PKS3_PKT1_SC_S9_PKT3_PKT4_S7_PT5_21rocsparse_index_base_b
    .private_segment_fixed_size: 0
    .sgpr_count:     22
    .sgpr_spill_count: 0
    .symbol:         _ZN9rocsparseL20bsrxmvn_17_32_kernelILj25E21rocsparse_complex_numIfElifS2_S2_EEvT2_20rocsparse_direction_NS_24const_host_device_scalarIT0_EES3_PKS3_PKT1_SC_S9_PKT3_PKT4_S7_PT5_21rocsparse_index_base_b.kd
    .uniform_work_group_size: 1
    .uses_dynamic_stack: false
    .vgpr_count:     17
    .vgpr_spill_count: 0
    .wavefront_size: 32
    .workgroup_processor_mode: 1
  - .args:
      - .offset:         0
        .size:           4
        .value_kind:     by_value
      - .offset:         4
        .size:           4
        .value_kind:     by_value
      - .offset:         8
        .size:           8
        .value_kind:     by_value
      - .offset:         16
        .size:           4
        .value_kind:     by_value
      - .actual_access:  read_only
        .address_space:  global
        .offset:         24
        .size:           8
        .value_kind:     global_buffer
      - .actual_access:  read_only
        .address_space:  global
        .offset:         32
        .size:           8
        .value_kind:     global_buffer
      - .actual_access:  read_only
        .address_space:  global
        .offset:         40
        .size:           8
        .value_kind:     global_buffer
      - .actual_access:  read_only
        .address_space:  global
        .offset:         48
        .size:           8
        .value_kind:     global_buffer
      - .actual_access:  read_only
        .address_space:  global
        .offset:         56
        .size:           8
        .value_kind:     global_buffer
      - .actual_access:  read_only
        .address_space:  global
        .offset:         64
        .size:           8
        .value_kind:     global_buffer
      - .offset:         72
        .size:           8
        .value_kind:     by_value
      - .address_space:  global
        .offset:         80
        .size:           8
        .value_kind:     global_buffer
      - .offset:         88
        .size:           4
        .value_kind:     by_value
      - .offset:         92
        .size:           1
        .value_kind:     by_value
    .group_segment_fixed_size: 5408
    .kernarg_segment_align: 8
    .kernarg_segment_size: 96
    .language:       OpenCL C
    .language_version:
      - 2
      - 0
    .max_flat_workgroup_size: 676
    .name:           _ZN9rocsparseL20bsrxmvn_17_32_kernelILj26E21rocsparse_complex_numIfElifS2_S2_EEvT2_20rocsparse_direction_NS_24const_host_device_scalarIT0_EES3_PKS3_PKT1_SC_S9_PKT3_PKT4_S7_PT5_21rocsparse_index_base_b
    .private_segment_fixed_size: 0
    .sgpr_count:     22
    .sgpr_spill_count: 0
    .symbol:         _ZN9rocsparseL20bsrxmvn_17_32_kernelILj26E21rocsparse_complex_numIfElifS2_S2_EEvT2_20rocsparse_direction_NS_24const_host_device_scalarIT0_EES3_PKS3_PKT1_SC_S9_PKT3_PKT4_S7_PT5_21rocsparse_index_base_b.kd
    .uniform_work_group_size: 1
    .uses_dynamic_stack: false
    .vgpr_count:     17
    .vgpr_spill_count: 0
    .wavefront_size: 32
    .workgroup_processor_mode: 1
  - .args:
      - .offset:         0
        .size:           4
        .value_kind:     by_value
      - .offset:         4
        .size:           4
        .value_kind:     by_value
      - .offset:         8
        .size:           8
        .value_kind:     by_value
      - .offset:         16
        .size:           4
        .value_kind:     by_value
      - .actual_access:  read_only
        .address_space:  global
        .offset:         24
        .size:           8
        .value_kind:     global_buffer
      - .actual_access:  read_only
        .address_space:  global
        .offset:         32
        .size:           8
        .value_kind:     global_buffer
      - .actual_access:  read_only
        .address_space:  global
        .offset:         40
        .size:           8
        .value_kind:     global_buffer
      - .actual_access:  read_only
        .address_space:  global
        .offset:         48
        .size:           8
        .value_kind:     global_buffer
      - .actual_access:  read_only
        .address_space:  global
        .offset:         56
        .size:           8
        .value_kind:     global_buffer
      - .actual_access:  read_only
        .address_space:  global
        .offset:         64
        .size:           8
        .value_kind:     global_buffer
      - .offset:         72
        .size:           8
        .value_kind:     by_value
      - .address_space:  global
        .offset:         80
        .size:           8
        .value_kind:     global_buffer
      - .offset:         88
        .size:           4
        .value_kind:     by_value
      - .offset:         92
        .size:           1
        .value_kind:     by_value
    .group_segment_fixed_size: 5832
    .kernarg_segment_align: 8
    .kernarg_segment_size: 96
    .language:       OpenCL C
    .language_version:
      - 2
      - 0
    .max_flat_workgroup_size: 729
    .name:           _ZN9rocsparseL20bsrxmvn_17_32_kernelILj27E21rocsparse_complex_numIfElifS2_S2_EEvT2_20rocsparse_direction_NS_24const_host_device_scalarIT0_EES3_PKS3_PKT1_SC_S9_PKT3_PKT4_S7_PT5_21rocsparse_index_base_b
    .private_segment_fixed_size: 0
    .sgpr_count:     22
    .sgpr_spill_count: 0
    .symbol:         _ZN9rocsparseL20bsrxmvn_17_32_kernelILj27E21rocsparse_complex_numIfElifS2_S2_EEvT2_20rocsparse_direction_NS_24const_host_device_scalarIT0_EES3_PKS3_PKT1_SC_S9_PKT3_PKT4_S7_PT5_21rocsparse_index_base_b.kd
    .uniform_work_group_size: 1
    .uses_dynamic_stack: false
    .vgpr_count:     17
    .vgpr_spill_count: 0
    .wavefront_size: 32
    .workgroup_processor_mode: 1
  - .args:
      - .offset:         0
        .size:           4
        .value_kind:     by_value
      - .offset:         4
        .size:           4
        .value_kind:     by_value
      - .offset:         8
        .size:           8
        .value_kind:     by_value
      - .offset:         16
        .size:           4
        .value_kind:     by_value
      - .actual_access:  read_only
        .address_space:  global
        .offset:         24
        .size:           8
        .value_kind:     global_buffer
      - .actual_access:  read_only
        .address_space:  global
        .offset:         32
        .size:           8
        .value_kind:     global_buffer
      - .actual_access:  read_only
        .address_space:  global
        .offset:         40
        .size:           8
        .value_kind:     global_buffer
      - .actual_access:  read_only
        .address_space:  global
        .offset:         48
        .size:           8
        .value_kind:     global_buffer
      - .actual_access:  read_only
        .address_space:  global
        .offset:         56
        .size:           8
        .value_kind:     global_buffer
      - .actual_access:  read_only
        .address_space:  global
        .offset:         64
        .size:           8
        .value_kind:     global_buffer
      - .offset:         72
        .size:           8
        .value_kind:     by_value
      - .address_space:  global
        .offset:         80
        .size:           8
        .value_kind:     global_buffer
      - .offset:         88
        .size:           4
        .value_kind:     by_value
      - .offset:         92
        .size:           1
        .value_kind:     by_value
    .group_segment_fixed_size: 6272
    .kernarg_segment_align: 8
    .kernarg_segment_size: 96
    .language:       OpenCL C
    .language_version:
      - 2
      - 0
    .max_flat_workgroup_size: 784
    .name:           _ZN9rocsparseL20bsrxmvn_17_32_kernelILj28E21rocsparse_complex_numIfElifS2_S2_EEvT2_20rocsparse_direction_NS_24const_host_device_scalarIT0_EES3_PKS3_PKT1_SC_S9_PKT3_PKT4_S7_PT5_21rocsparse_index_base_b
    .private_segment_fixed_size: 0
    .sgpr_count:     22
    .sgpr_spill_count: 0
    .symbol:         _ZN9rocsparseL20bsrxmvn_17_32_kernelILj28E21rocsparse_complex_numIfElifS2_S2_EEvT2_20rocsparse_direction_NS_24const_host_device_scalarIT0_EES3_PKS3_PKT1_SC_S9_PKT3_PKT4_S7_PT5_21rocsparse_index_base_b.kd
    .uniform_work_group_size: 1
    .uses_dynamic_stack: false
    .vgpr_count:     17
    .vgpr_spill_count: 0
    .wavefront_size: 32
    .workgroup_processor_mode: 1
  - .args:
      - .offset:         0
        .size:           4
        .value_kind:     by_value
      - .offset:         4
        .size:           4
        .value_kind:     by_value
      - .offset:         8
        .size:           8
        .value_kind:     by_value
      - .offset:         16
        .size:           4
        .value_kind:     by_value
      - .actual_access:  read_only
        .address_space:  global
        .offset:         24
        .size:           8
        .value_kind:     global_buffer
      - .actual_access:  read_only
        .address_space:  global
        .offset:         32
        .size:           8
        .value_kind:     global_buffer
      - .actual_access:  read_only
        .address_space:  global
        .offset:         40
        .size:           8
        .value_kind:     global_buffer
      - .actual_access:  read_only
        .address_space:  global
        .offset:         48
        .size:           8
        .value_kind:     global_buffer
      - .actual_access:  read_only
        .address_space:  global
        .offset:         56
        .size:           8
        .value_kind:     global_buffer
      - .actual_access:  read_only
        .address_space:  global
        .offset:         64
        .size:           8
        .value_kind:     global_buffer
      - .offset:         72
        .size:           8
        .value_kind:     by_value
      - .address_space:  global
        .offset:         80
        .size:           8
        .value_kind:     global_buffer
      - .offset:         88
        .size:           4
        .value_kind:     by_value
      - .offset:         92
        .size:           1
        .value_kind:     by_value
    .group_segment_fixed_size: 6728
    .kernarg_segment_align: 8
    .kernarg_segment_size: 96
    .language:       OpenCL C
    .language_version:
      - 2
      - 0
    .max_flat_workgroup_size: 841
    .name:           _ZN9rocsparseL20bsrxmvn_17_32_kernelILj29E21rocsparse_complex_numIfElifS2_S2_EEvT2_20rocsparse_direction_NS_24const_host_device_scalarIT0_EES3_PKS3_PKT1_SC_S9_PKT3_PKT4_S7_PT5_21rocsparse_index_base_b
    .private_segment_fixed_size: 0
    .sgpr_count:     22
    .sgpr_spill_count: 0
    .symbol:         _ZN9rocsparseL20bsrxmvn_17_32_kernelILj29E21rocsparse_complex_numIfElifS2_S2_EEvT2_20rocsparse_direction_NS_24const_host_device_scalarIT0_EES3_PKS3_PKT1_SC_S9_PKT3_PKT4_S7_PT5_21rocsparse_index_base_b.kd
    .uniform_work_group_size: 1
    .uses_dynamic_stack: false
    .vgpr_count:     17
    .vgpr_spill_count: 0
    .wavefront_size: 32
    .workgroup_processor_mode: 1
  - .args:
      - .offset:         0
        .size:           4
        .value_kind:     by_value
      - .offset:         4
        .size:           4
        .value_kind:     by_value
      - .offset:         8
        .size:           8
        .value_kind:     by_value
      - .offset:         16
        .size:           4
        .value_kind:     by_value
      - .actual_access:  read_only
        .address_space:  global
        .offset:         24
        .size:           8
        .value_kind:     global_buffer
      - .actual_access:  read_only
        .address_space:  global
        .offset:         32
        .size:           8
        .value_kind:     global_buffer
      - .actual_access:  read_only
        .address_space:  global
        .offset:         40
        .size:           8
        .value_kind:     global_buffer
      - .actual_access:  read_only
        .address_space:  global
        .offset:         48
        .size:           8
        .value_kind:     global_buffer
      - .actual_access:  read_only
        .address_space:  global
        .offset:         56
        .size:           8
        .value_kind:     global_buffer
      - .actual_access:  read_only
        .address_space:  global
        .offset:         64
        .size:           8
        .value_kind:     global_buffer
      - .offset:         72
        .size:           8
        .value_kind:     by_value
      - .address_space:  global
        .offset:         80
        .size:           8
        .value_kind:     global_buffer
      - .offset:         88
        .size:           4
        .value_kind:     by_value
      - .offset:         92
        .size:           1
        .value_kind:     by_value
    .group_segment_fixed_size: 7200
    .kernarg_segment_align: 8
    .kernarg_segment_size: 96
    .language:       OpenCL C
    .language_version:
      - 2
      - 0
    .max_flat_workgroup_size: 900
    .name:           _ZN9rocsparseL20bsrxmvn_17_32_kernelILj30E21rocsparse_complex_numIfElifS2_S2_EEvT2_20rocsparse_direction_NS_24const_host_device_scalarIT0_EES3_PKS3_PKT1_SC_S9_PKT3_PKT4_S7_PT5_21rocsparse_index_base_b
    .private_segment_fixed_size: 0
    .sgpr_count:     22
    .sgpr_spill_count: 0
    .symbol:         _ZN9rocsparseL20bsrxmvn_17_32_kernelILj30E21rocsparse_complex_numIfElifS2_S2_EEvT2_20rocsparse_direction_NS_24const_host_device_scalarIT0_EES3_PKS3_PKT1_SC_S9_PKT3_PKT4_S7_PT5_21rocsparse_index_base_b.kd
    .uniform_work_group_size: 1
    .uses_dynamic_stack: false
    .vgpr_count:     17
    .vgpr_spill_count: 0
    .wavefront_size: 32
    .workgroup_processor_mode: 1
  - .args:
      - .offset:         0
        .size:           4
        .value_kind:     by_value
      - .offset:         4
        .size:           4
        .value_kind:     by_value
      - .offset:         8
        .size:           8
        .value_kind:     by_value
      - .offset:         16
        .size:           4
        .value_kind:     by_value
      - .actual_access:  read_only
        .address_space:  global
        .offset:         24
        .size:           8
        .value_kind:     global_buffer
      - .actual_access:  read_only
        .address_space:  global
        .offset:         32
        .size:           8
        .value_kind:     global_buffer
      - .actual_access:  read_only
        .address_space:  global
        .offset:         40
        .size:           8
        .value_kind:     global_buffer
      - .actual_access:  read_only
        .address_space:  global
        .offset:         48
        .size:           8
        .value_kind:     global_buffer
      - .actual_access:  read_only
        .address_space:  global
        .offset:         56
        .size:           8
        .value_kind:     global_buffer
      - .actual_access:  read_only
        .address_space:  global
        .offset:         64
        .size:           8
        .value_kind:     global_buffer
      - .offset:         72
        .size:           8
        .value_kind:     by_value
      - .address_space:  global
        .offset:         80
        .size:           8
        .value_kind:     global_buffer
      - .offset:         88
        .size:           4
        .value_kind:     by_value
      - .offset:         92
        .size:           1
        .value_kind:     by_value
    .group_segment_fixed_size: 7688
    .kernarg_segment_align: 8
    .kernarg_segment_size: 96
    .language:       OpenCL C
    .language_version:
      - 2
      - 0
    .max_flat_workgroup_size: 961
    .name:           _ZN9rocsparseL20bsrxmvn_17_32_kernelILj31E21rocsparse_complex_numIfElifS2_S2_EEvT2_20rocsparse_direction_NS_24const_host_device_scalarIT0_EES3_PKS3_PKT1_SC_S9_PKT3_PKT4_S7_PT5_21rocsparse_index_base_b
    .private_segment_fixed_size: 0
    .sgpr_count:     22
    .sgpr_spill_count: 0
    .symbol:         _ZN9rocsparseL20bsrxmvn_17_32_kernelILj31E21rocsparse_complex_numIfElifS2_S2_EEvT2_20rocsparse_direction_NS_24const_host_device_scalarIT0_EES3_PKS3_PKT1_SC_S9_PKT3_PKT4_S7_PT5_21rocsparse_index_base_b.kd
    .uniform_work_group_size: 1
    .uses_dynamic_stack: false
    .vgpr_count:     17
    .vgpr_spill_count: 0
    .wavefront_size: 32
    .workgroup_processor_mode: 1
  - .args:
      - .offset:         0
        .size:           4
        .value_kind:     by_value
      - .offset:         4
        .size:           4
        .value_kind:     by_value
      - .offset:         8
        .size:           8
        .value_kind:     by_value
      - .offset:         16
        .size:           4
        .value_kind:     by_value
      - .actual_access:  read_only
        .address_space:  global
        .offset:         24
        .size:           8
        .value_kind:     global_buffer
      - .actual_access:  read_only
        .address_space:  global
        .offset:         32
        .size:           8
        .value_kind:     global_buffer
      - .actual_access:  read_only
        .address_space:  global
        .offset:         40
        .size:           8
        .value_kind:     global_buffer
      - .actual_access:  read_only
        .address_space:  global
        .offset:         48
        .size:           8
        .value_kind:     global_buffer
      - .actual_access:  read_only
        .address_space:  global
        .offset:         56
        .size:           8
        .value_kind:     global_buffer
      - .actual_access:  read_only
        .address_space:  global
        .offset:         64
        .size:           8
        .value_kind:     global_buffer
      - .offset:         72
        .size:           8
        .value_kind:     by_value
      - .address_space:  global
        .offset:         80
        .size:           8
        .value_kind:     global_buffer
      - .offset:         88
        .size:           4
        .value_kind:     by_value
      - .offset:         92
        .size:           1
        .value_kind:     by_value
    .group_segment_fixed_size: 8192
    .kernarg_segment_align: 8
    .kernarg_segment_size: 96
    .language:       OpenCL C
    .language_version:
      - 2
      - 0
    .max_flat_workgroup_size: 1024
    .name:           _ZN9rocsparseL20bsrxmvn_17_32_kernelILj32E21rocsparse_complex_numIfElifS2_S2_EEvT2_20rocsparse_direction_NS_24const_host_device_scalarIT0_EES3_PKS3_PKT1_SC_S9_PKT3_PKT4_S7_PT5_21rocsparse_index_base_b
    .private_segment_fixed_size: 0
    .sgpr_count:     28
    .sgpr_spill_count: 0
    .symbol:         _ZN9rocsparseL20bsrxmvn_17_32_kernelILj32E21rocsparse_complex_numIfElifS2_S2_EEvT2_20rocsparse_direction_NS_24const_host_device_scalarIT0_EES3_PKS3_PKT1_SC_S9_PKT3_PKT4_S7_PT5_21rocsparse_index_base_b.kd
    .uniform_work_group_size: 1
    .uses_dynamic_stack: false
    .vgpr_count:     14
    .vgpr_spill_count: 0
    .wavefront_size: 32
    .workgroup_processor_mode: 1
  - .args:
      - .offset:         0
        .size:           8
        .value_kind:     by_value
      - .offset:         8
        .size:           4
        .value_kind:     by_value
      - .offset:         16
        .size:           8
        .value_kind:     by_value
      - .offset:         24
        .size:           8
        .value_kind:     by_value
      - .actual_access:  read_only
        .address_space:  global
        .offset:         32
        .size:           8
        .value_kind:     global_buffer
      - .actual_access:  read_only
        .address_space:  global
        .offset:         40
        .size:           8
        .value_kind:     global_buffer
      - .actual_access:  read_only
        .address_space:  global
        .offset:         48
        .size:           8
        .value_kind:     global_buffer
      - .actual_access:  read_only
        .address_space:  global
        .offset:         56
        .size:           8
        .value_kind:     global_buffer
      - .actual_access:  read_only
        .address_space:  global
        .offset:         64
        .size:           8
        .value_kind:     global_buffer
      - .actual_access:  read_only
        .address_space:  global
        .offset:         72
        .size:           8
        .value_kind:     global_buffer
      - .offset:         80
        .size:           8
        .value_kind:     by_value
      - .address_space:  global
        .offset:         88
        .size:           8
        .value_kind:     global_buffer
      - .offset:         96
        .size:           4
        .value_kind:     by_value
      - .offset:         100
        .size:           1
        .value_kind:     by_value
    .group_segment_fixed_size: 2312
    .kernarg_segment_align: 8
    .kernarg_segment_size: 104
    .language:       OpenCL C
    .language_version:
      - 2
      - 0
    .max_flat_workgroup_size: 289
    .name:           _ZN9rocsparseL20bsrxmvn_17_32_kernelILj17E21rocsparse_complex_numIfEllfS2_S2_EEvT2_20rocsparse_direction_NS_24const_host_device_scalarIT0_EES3_PKS3_PKT1_SC_S9_PKT3_PKT4_S7_PT5_21rocsparse_index_base_b
    .private_segment_fixed_size: 0
    .sgpr_count:     24
    .sgpr_spill_count: 0
    .symbol:         _ZN9rocsparseL20bsrxmvn_17_32_kernelILj17E21rocsparse_complex_numIfEllfS2_S2_EEvT2_20rocsparse_direction_NS_24const_host_device_scalarIT0_EES3_PKS3_PKT1_SC_S9_PKT3_PKT4_S7_PT5_21rocsparse_index_base_b.kd
    .uniform_work_group_size: 1
    .uses_dynamic_stack: false
    .vgpr_count:     20
    .vgpr_spill_count: 0
    .wavefront_size: 32
    .workgroup_processor_mode: 1
  - .args:
      - .offset:         0
        .size:           8
        .value_kind:     by_value
      - .offset:         8
        .size:           4
        .value_kind:     by_value
      - .offset:         16
        .size:           8
        .value_kind:     by_value
      - .offset:         24
        .size:           8
        .value_kind:     by_value
      - .actual_access:  read_only
        .address_space:  global
        .offset:         32
        .size:           8
        .value_kind:     global_buffer
      - .actual_access:  read_only
        .address_space:  global
        .offset:         40
        .size:           8
        .value_kind:     global_buffer
      - .actual_access:  read_only
        .address_space:  global
        .offset:         48
        .size:           8
        .value_kind:     global_buffer
      - .actual_access:  read_only
        .address_space:  global
        .offset:         56
        .size:           8
        .value_kind:     global_buffer
      - .actual_access:  read_only
        .address_space:  global
        .offset:         64
        .size:           8
        .value_kind:     global_buffer
      - .actual_access:  read_only
        .address_space:  global
        .offset:         72
        .size:           8
        .value_kind:     global_buffer
      - .offset:         80
        .size:           8
        .value_kind:     by_value
      - .address_space:  global
        .offset:         88
        .size:           8
        .value_kind:     global_buffer
      - .offset:         96
        .size:           4
        .value_kind:     by_value
      - .offset:         100
        .size:           1
        .value_kind:     by_value
    .group_segment_fixed_size: 2592
    .kernarg_segment_align: 8
    .kernarg_segment_size: 104
    .language:       OpenCL C
    .language_version:
      - 2
      - 0
    .max_flat_workgroup_size: 324
    .name:           _ZN9rocsparseL20bsrxmvn_17_32_kernelILj18E21rocsparse_complex_numIfEllfS2_S2_EEvT2_20rocsparse_direction_NS_24const_host_device_scalarIT0_EES3_PKS3_PKT1_SC_S9_PKT3_PKT4_S7_PT5_21rocsparse_index_base_b
    .private_segment_fixed_size: 0
    .sgpr_count:     24
    .sgpr_spill_count: 0
    .symbol:         _ZN9rocsparseL20bsrxmvn_17_32_kernelILj18E21rocsparse_complex_numIfEllfS2_S2_EEvT2_20rocsparse_direction_NS_24const_host_device_scalarIT0_EES3_PKS3_PKT1_SC_S9_PKT3_PKT4_S7_PT5_21rocsparse_index_base_b.kd
    .uniform_work_group_size: 1
    .uses_dynamic_stack: false
    .vgpr_count:     20
    .vgpr_spill_count: 0
    .wavefront_size: 32
    .workgroup_processor_mode: 1
  - .args:
      - .offset:         0
        .size:           8
        .value_kind:     by_value
      - .offset:         8
        .size:           4
        .value_kind:     by_value
      - .offset:         16
        .size:           8
        .value_kind:     by_value
      - .offset:         24
        .size:           8
        .value_kind:     by_value
      - .actual_access:  read_only
        .address_space:  global
        .offset:         32
        .size:           8
        .value_kind:     global_buffer
      - .actual_access:  read_only
        .address_space:  global
        .offset:         40
        .size:           8
        .value_kind:     global_buffer
      - .actual_access:  read_only
        .address_space:  global
        .offset:         48
        .size:           8
        .value_kind:     global_buffer
      - .actual_access:  read_only
        .address_space:  global
        .offset:         56
        .size:           8
        .value_kind:     global_buffer
      - .actual_access:  read_only
        .address_space:  global
        .offset:         64
        .size:           8
        .value_kind:     global_buffer
      - .actual_access:  read_only
        .address_space:  global
        .offset:         72
        .size:           8
        .value_kind:     global_buffer
      - .offset:         80
        .size:           8
        .value_kind:     by_value
      - .address_space:  global
        .offset:         88
        .size:           8
        .value_kind:     global_buffer
      - .offset:         96
        .size:           4
        .value_kind:     by_value
      - .offset:         100
        .size:           1
        .value_kind:     by_value
    .group_segment_fixed_size: 2888
    .kernarg_segment_align: 8
    .kernarg_segment_size: 104
    .language:       OpenCL C
    .language_version:
      - 2
      - 0
    .max_flat_workgroup_size: 361
    .name:           _ZN9rocsparseL20bsrxmvn_17_32_kernelILj19E21rocsparse_complex_numIfEllfS2_S2_EEvT2_20rocsparse_direction_NS_24const_host_device_scalarIT0_EES3_PKS3_PKT1_SC_S9_PKT3_PKT4_S7_PT5_21rocsparse_index_base_b
    .private_segment_fixed_size: 0
    .sgpr_count:     24
    .sgpr_spill_count: 0
    .symbol:         _ZN9rocsparseL20bsrxmvn_17_32_kernelILj19E21rocsparse_complex_numIfEllfS2_S2_EEvT2_20rocsparse_direction_NS_24const_host_device_scalarIT0_EES3_PKS3_PKT1_SC_S9_PKT3_PKT4_S7_PT5_21rocsparse_index_base_b.kd
    .uniform_work_group_size: 1
    .uses_dynamic_stack: false
    .vgpr_count:     20
    .vgpr_spill_count: 0
    .wavefront_size: 32
    .workgroup_processor_mode: 1
  - .args:
      - .offset:         0
        .size:           8
        .value_kind:     by_value
      - .offset:         8
        .size:           4
        .value_kind:     by_value
      - .offset:         16
        .size:           8
        .value_kind:     by_value
      - .offset:         24
        .size:           8
        .value_kind:     by_value
      - .actual_access:  read_only
        .address_space:  global
        .offset:         32
        .size:           8
        .value_kind:     global_buffer
      - .actual_access:  read_only
        .address_space:  global
        .offset:         40
        .size:           8
        .value_kind:     global_buffer
      - .actual_access:  read_only
        .address_space:  global
        .offset:         48
        .size:           8
        .value_kind:     global_buffer
      - .actual_access:  read_only
        .address_space:  global
        .offset:         56
        .size:           8
        .value_kind:     global_buffer
      - .actual_access:  read_only
        .address_space:  global
        .offset:         64
        .size:           8
        .value_kind:     global_buffer
      - .actual_access:  read_only
        .address_space:  global
        .offset:         72
        .size:           8
        .value_kind:     global_buffer
      - .offset:         80
        .size:           8
        .value_kind:     by_value
      - .address_space:  global
        .offset:         88
        .size:           8
        .value_kind:     global_buffer
      - .offset:         96
        .size:           4
        .value_kind:     by_value
      - .offset:         100
        .size:           1
        .value_kind:     by_value
    .group_segment_fixed_size: 3200
    .kernarg_segment_align: 8
    .kernarg_segment_size: 104
    .language:       OpenCL C
    .language_version:
      - 2
      - 0
    .max_flat_workgroup_size: 400
    .name:           _ZN9rocsparseL20bsrxmvn_17_32_kernelILj20E21rocsparse_complex_numIfEllfS2_S2_EEvT2_20rocsparse_direction_NS_24const_host_device_scalarIT0_EES3_PKS3_PKT1_SC_S9_PKT3_PKT4_S7_PT5_21rocsparse_index_base_b
    .private_segment_fixed_size: 0
    .sgpr_count:     24
    .sgpr_spill_count: 0
    .symbol:         _ZN9rocsparseL20bsrxmvn_17_32_kernelILj20E21rocsparse_complex_numIfEllfS2_S2_EEvT2_20rocsparse_direction_NS_24const_host_device_scalarIT0_EES3_PKS3_PKT1_SC_S9_PKT3_PKT4_S7_PT5_21rocsparse_index_base_b.kd
    .uniform_work_group_size: 1
    .uses_dynamic_stack: false
    .vgpr_count:     20
    .vgpr_spill_count: 0
    .wavefront_size: 32
    .workgroup_processor_mode: 1
  - .args:
      - .offset:         0
        .size:           8
        .value_kind:     by_value
      - .offset:         8
        .size:           4
        .value_kind:     by_value
      - .offset:         16
        .size:           8
        .value_kind:     by_value
      - .offset:         24
        .size:           8
        .value_kind:     by_value
      - .actual_access:  read_only
        .address_space:  global
        .offset:         32
        .size:           8
        .value_kind:     global_buffer
      - .actual_access:  read_only
        .address_space:  global
        .offset:         40
        .size:           8
        .value_kind:     global_buffer
      - .actual_access:  read_only
        .address_space:  global
        .offset:         48
        .size:           8
        .value_kind:     global_buffer
      - .actual_access:  read_only
        .address_space:  global
        .offset:         56
        .size:           8
        .value_kind:     global_buffer
      - .actual_access:  read_only
        .address_space:  global
        .offset:         64
        .size:           8
        .value_kind:     global_buffer
      - .actual_access:  read_only
        .address_space:  global
        .offset:         72
        .size:           8
        .value_kind:     global_buffer
      - .offset:         80
        .size:           8
        .value_kind:     by_value
      - .address_space:  global
        .offset:         88
        .size:           8
        .value_kind:     global_buffer
      - .offset:         96
        .size:           4
        .value_kind:     by_value
      - .offset:         100
        .size:           1
        .value_kind:     by_value
    .group_segment_fixed_size: 3528
    .kernarg_segment_align: 8
    .kernarg_segment_size: 104
    .language:       OpenCL C
    .language_version:
      - 2
      - 0
    .max_flat_workgroup_size: 441
    .name:           _ZN9rocsparseL20bsrxmvn_17_32_kernelILj21E21rocsparse_complex_numIfEllfS2_S2_EEvT2_20rocsparse_direction_NS_24const_host_device_scalarIT0_EES3_PKS3_PKT1_SC_S9_PKT3_PKT4_S7_PT5_21rocsparse_index_base_b
    .private_segment_fixed_size: 0
    .sgpr_count:     24
    .sgpr_spill_count: 0
    .symbol:         _ZN9rocsparseL20bsrxmvn_17_32_kernelILj21E21rocsparse_complex_numIfEllfS2_S2_EEvT2_20rocsparse_direction_NS_24const_host_device_scalarIT0_EES3_PKS3_PKT1_SC_S9_PKT3_PKT4_S7_PT5_21rocsparse_index_base_b.kd
    .uniform_work_group_size: 1
    .uses_dynamic_stack: false
    .vgpr_count:     20
    .vgpr_spill_count: 0
    .wavefront_size: 32
    .workgroup_processor_mode: 1
  - .args:
      - .offset:         0
        .size:           8
        .value_kind:     by_value
      - .offset:         8
        .size:           4
        .value_kind:     by_value
      - .offset:         16
        .size:           8
        .value_kind:     by_value
      - .offset:         24
        .size:           8
        .value_kind:     by_value
      - .actual_access:  read_only
        .address_space:  global
        .offset:         32
        .size:           8
        .value_kind:     global_buffer
      - .actual_access:  read_only
        .address_space:  global
        .offset:         40
        .size:           8
        .value_kind:     global_buffer
      - .actual_access:  read_only
        .address_space:  global
        .offset:         48
        .size:           8
        .value_kind:     global_buffer
      - .actual_access:  read_only
        .address_space:  global
        .offset:         56
        .size:           8
        .value_kind:     global_buffer
      - .actual_access:  read_only
        .address_space:  global
        .offset:         64
        .size:           8
        .value_kind:     global_buffer
      - .actual_access:  read_only
        .address_space:  global
        .offset:         72
        .size:           8
        .value_kind:     global_buffer
      - .offset:         80
        .size:           8
        .value_kind:     by_value
      - .address_space:  global
        .offset:         88
        .size:           8
        .value_kind:     global_buffer
      - .offset:         96
        .size:           4
        .value_kind:     by_value
      - .offset:         100
        .size:           1
        .value_kind:     by_value
    .group_segment_fixed_size: 3872
    .kernarg_segment_align: 8
    .kernarg_segment_size: 104
    .language:       OpenCL C
    .language_version:
      - 2
      - 0
    .max_flat_workgroup_size: 484
    .name:           _ZN9rocsparseL20bsrxmvn_17_32_kernelILj22E21rocsparse_complex_numIfEllfS2_S2_EEvT2_20rocsparse_direction_NS_24const_host_device_scalarIT0_EES3_PKS3_PKT1_SC_S9_PKT3_PKT4_S7_PT5_21rocsparse_index_base_b
    .private_segment_fixed_size: 0
    .sgpr_count:     24
    .sgpr_spill_count: 0
    .symbol:         _ZN9rocsparseL20bsrxmvn_17_32_kernelILj22E21rocsparse_complex_numIfEllfS2_S2_EEvT2_20rocsparse_direction_NS_24const_host_device_scalarIT0_EES3_PKS3_PKT1_SC_S9_PKT3_PKT4_S7_PT5_21rocsparse_index_base_b.kd
    .uniform_work_group_size: 1
    .uses_dynamic_stack: false
    .vgpr_count:     20
    .vgpr_spill_count: 0
    .wavefront_size: 32
    .workgroup_processor_mode: 1
  - .args:
      - .offset:         0
        .size:           8
        .value_kind:     by_value
      - .offset:         8
        .size:           4
        .value_kind:     by_value
      - .offset:         16
        .size:           8
        .value_kind:     by_value
      - .offset:         24
        .size:           8
        .value_kind:     by_value
      - .actual_access:  read_only
        .address_space:  global
        .offset:         32
        .size:           8
        .value_kind:     global_buffer
      - .actual_access:  read_only
        .address_space:  global
        .offset:         40
        .size:           8
        .value_kind:     global_buffer
      - .actual_access:  read_only
        .address_space:  global
        .offset:         48
        .size:           8
        .value_kind:     global_buffer
      - .actual_access:  read_only
        .address_space:  global
        .offset:         56
        .size:           8
        .value_kind:     global_buffer
      - .actual_access:  read_only
        .address_space:  global
        .offset:         64
        .size:           8
        .value_kind:     global_buffer
      - .actual_access:  read_only
        .address_space:  global
        .offset:         72
        .size:           8
        .value_kind:     global_buffer
      - .offset:         80
        .size:           8
        .value_kind:     by_value
      - .address_space:  global
        .offset:         88
        .size:           8
        .value_kind:     global_buffer
      - .offset:         96
        .size:           4
        .value_kind:     by_value
      - .offset:         100
        .size:           1
        .value_kind:     by_value
    .group_segment_fixed_size: 4232
    .kernarg_segment_align: 8
    .kernarg_segment_size: 104
    .language:       OpenCL C
    .language_version:
      - 2
      - 0
    .max_flat_workgroup_size: 529
    .name:           _ZN9rocsparseL20bsrxmvn_17_32_kernelILj23E21rocsparse_complex_numIfEllfS2_S2_EEvT2_20rocsparse_direction_NS_24const_host_device_scalarIT0_EES3_PKS3_PKT1_SC_S9_PKT3_PKT4_S7_PT5_21rocsparse_index_base_b
    .private_segment_fixed_size: 0
    .sgpr_count:     22
    .sgpr_spill_count: 0
    .symbol:         _ZN9rocsparseL20bsrxmvn_17_32_kernelILj23E21rocsparse_complex_numIfEllfS2_S2_EEvT2_20rocsparse_direction_NS_24const_host_device_scalarIT0_EES3_PKS3_PKT1_SC_S9_PKT3_PKT4_S7_PT5_21rocsparse_index_base_b.kd
    .uniform_work_group_size: 1
    .uses_dynamic_stack: false
    .vgpr_count:     20
    .vgpr_spill_count: 0
    .wavefront_size: 32
    .workgroup_processor_mode: 1
  - .args:
      - .offset:         0
        .size:           8
        .value_kind:     by_value
      - .offset:         8
        .size:           4
        .value_kind:     by_value
      - .offset:         16
        .size:           8
        .value_kind:     by_value
      - .offset:         24
        .size:           8
        .value_kind:     by_value
      - .actual_access:  read_only
        .address_space:  global
        .offset:         32
        .size:           8
        .value_kind:     global_buffer
      - .actual_access:  read_only
        .address_space:  global
        .offset:         40
        .size:           8
        .value_kind:     global_buffer
      - .actual_access:  read_only
        .address_space:  global
        .offset:         48
        .size:           8
        .value_kind:     global_buffer
      - .actual_access:  read_only
        .address_space:  global
        .offset:         56
        .size:           8
        .value_kind:     global_buffer
      - .actual_access:  read_only
        .address_space:  global
        .offset:         64
        .size:           8
        .value_kind:     global_buffer
      - .actual_access:  read_only
        .address_space:  global
        .offset:         72
        .size:           8
        .value_kind:     global_buffer
      - .offset:         80
        .size:           8
        .value_kind:     by_value
      - .address_space:  global
        .offset:         88
        .size:           8
        .value_kind:     global_buffer
      - .offset:         96
        .size:           4
        .value_kind:     by_value
      - .offset:         100
        .size:           1
        .value_kind:     by_value
    .group_segment_fixed_size: 4608
    .kernarg_segment_align: 8
    .kernarg_segment_size: 104
    .language:       OpenCL C
    .language_version:
      - 2
      - 0
    .max_flat_workgroup_size: 576
    .name:           _ZN9rocsparseL20bsrxmvn_17_32_kernelILj24E21rocsparse_complex_numIfEllfS2_S2_EEvT2_20rocsparse_direction_NS_24const_host_device_scalarIT0_EES3_PKS3_PKT1_SC_S9_PKT3_PKT4_S7_PT5_21rocsparse_index_base_b
    .private_segment_fixed_size: 0
    .sgpr_count:     22
    .sgpr_spill_count: 0
    .symbol:         _ZN9rocsparseL20bsrxmvn_17_32_kernelILj24E21rocsparse_complex_numIfEllfS2_S2_EEvT2_20rocsparse_direction_NS_24const_host_device_scalarIT0_EES3_PKS3_PKT1_SC_S9_PKT3_PKT4_S7_PT5_21rocsparse_index_base_b.kd
    .uniform_work_group_size: 1
    .uses_dynamic_stack: false
    .vgpr_count:     20
    .vgpr_spill_count: 0
    .wavefront_size: 32
    .workgroup_processor_mode: 1
  - .args:
      - .offset:         0
        .size:           8
        .value_kind:     by_value
      - .offset:         8
        .size:           4
        .value_kind:     by_value
      - .offset:         16
        .size:           8
        .value_kind:     by_value
      - .offset:         24
        .size:           8
        .value_kind:     by_value
      - .actual_access:  read_only
        .address_space:  global
        .offset:         32
        .size:           8
        .value_kind:     global_buffer
      - .actual_access:  read_only
        .address_space:  global
        .offset:         40
        .size:           8
        .value_kind:     global_buffer
      - .actual_access:  read_only
        .address_space:  global
        .offset:         48
        .size:           8
        .value_kind:     global_buffer
      - .actual_access:  read_only
        .address_space:  global
        .offset:         56
        .size:           8
        .value_kind:     global_buffer
      - .actual_access:  read_only
        .address_space:  global
        .offset:         64
        .size:           8
        .value_kind:     global_buffer
      - .actual_access:  read_only
        .address_space:  global
        .offset:         72
        .size:           8
        .value_kind:     global_buffer
      - .offset:         80
        .size:           8
        .value_kind:     by_value
      - .address_space:  global
        .offset:         88
        .size:           8
        .value_kind:     global_buffer
      - .offset:         96
        .size:           4
        .value_kind:     by_value
      - .offset:         100
        .size:           1
        .value_kind:     by_value
    .group_segment_fixed_size: 5000
    .kernarg_segment_align: 8
    .kernarg_segment_size: 104
    .language:       OpenCL C
    .language_version:
      - 2
      - 0
    .max_flat_workgroup_size: 625
    .name:           _ZN9rocsparseL20bsrxmvn_17_32_kernelILj25E21rocsparse_complex_numIfEllfS2_S2_EEvT2_20rocsparse_direction_NS_24const_host_device_scalarIT0_EES3_PKS3_PKT1_SC_S9_PKT3_PKT4_S7_PT5_21rocsparse_index_base_b
    .private_segment_fixed_size: 0
    .sgpr_count:     22
    .sgpr_spill_count: 0
    .symbol:         _ZN9rocsparseL20bsrxmvn_17_32_kernelILj25E21rocsparse_complex_numIfEllfS2_S2_EEvT2_20rocsparse_direction_NS_24const_host_device_scalarIT0_EES3_PKS3_PKT1_SC_S9_PKT3_PKT4_S7_PT5_21rocsparse_index_base_b.kd
    .uniform_work_group_size: 1
    .uses_dynamic_stack: false
    .vgpr_count:     20
    .vgpr_spill_count: 0
    .wavefront_size: 32
    .workgroup_processor_mode: 1
  - .args:
      - .offset:         0
        .size:           8
        .value_kind:     by_value
      - .offset:         8
        .size:           4
        .value_kind:     by_value
      - .offset:         16
        .size:           8
        .value_kind:     by_value
      - .offset:         24
        .size:           8
        .value_kind:     by_value
      - .actual_access:  read_only
        .address_space:  global
        .offset:         32
        .size:           8
        .value_kind:     global_buffer
      - .actual_access:  read_only
        .address_space:  global
        .offset:         40
        .size:           8
        .value_kind:     global_buffer
      - .actual_access:  read_only
        .address_space:  global
        .offset:         48
        .size:           8
        .value_kind:     global_buffer
      - .actual_access:  read_only
        .address_space:  global
        .offset:         56
        .size:           8
        .value_kind:     global_buffer
      - .actual_access:  read_only
        .address_space:  global
        .offset:         64
        .size:           8
        .value_kind:     global_buffer
      - .actual_access:  read_only
        .address_space:  global
        .offset:         72
        .size:           8
        .value_kind:     global_buffer
      - .offset:         80
        .size:           8
        .value_kind:     by_value
      - .address_space:  global
        .offset:         88
        .size:           8
        .value_kind:     global_buffer
      - .offset:         96
        .size:           4
        .value_kind:     by_value
      - .offset:         100
        .size:           1
        .value_kind:     by_value
    .group_segment_fixed_size: 5408
    .kernarg_segment_align: 8
    .kernarg_segment_size: 104
    .language:       OpenCL C
    .language_version:
      - 2
      - 0
    .max_flat_workgroup_size: 676
    .name:           _ZN9rocsparseL20bsrxmvn_17_32_kernelILj26E21rocsparse_complex_numIfEllfS2_S2_EEvT2_20rocsparse_direction_NS_24const_host_device_scalarIT0_EES3_PKS3_PKT1_SC_S9_PKT3_PKT4_S7_PT5_21rocsparse_index_base_b
    .private_segment_fixed_size: 0
    .sgpr_count:     22
    .sgpr_spill_count: 0
    .symbol:         _ZN9rocsparseL20bsrxmvn_17_32_kernelILj26E21rocsparse_complex_numIfEllfS2_S2_EEvT2_20rocsparse_direction_NS_24const_host_device_scalarIT0_EES3_PKS3_PKT1_SC_S9_PKT3_PKT4_S7_PT5_21rocsparse_index_base_b.kd
    .uniform_work_group_size: 1
    .uses_dynamic_stack: false
    .vgpr_count:     20
    .vgpr_spill_count: 0
    .wavefront_size: 32
    .workgroup_processor_mode: 1
  - .args:
      - .offset:         0
        .size:           8
        .value_kind:     by_value
      - .offset:         8
        .size:           4
        .value_kind:     by_value
      - .offset:         16
        .size:           8
        .value_kind:     by_value
      - .offset:         24
        .size:           8
        .value_kind:     by_value
      - .actual_access:  read_only
        .address_space:  global
        .offset:         32
        .size:           8
        .value_kind:     global_buffer
      - .actual_access:  read_only
        .address_space:  global
        .offset:         40
        .size:           8
        .value_kind:     global_buffer
      - .actual_access:  read_only
        .address_space:  global
        .offset:         48
        .size:           8
        .value_kind:     global_buffer
      - .actual_access:  read_only
        .address_space:  global
        .offset:         56
        .size:           8
        .value_kind:     global_buffer
      - .actual_access:  read_only
        .address_space:  global
        .offset:         64
        .size:           8
        .value_kind:     global_buffer
      - .actual_access:  read_only
        .address_space:  global
        .offset:         72
        .size:           8
        .value_kind:     global_buffer
      - .offset:         80
        .size:           8
        .value_kind:     by_value
      - .address_space:  global
        .offset:         88
        .size:           8
        .value_kind:     global_buffer
      - .offset:         96
        .size:           4
        .value_kind:     by_value
      - .offset:         100
        .size:           1
        .value_kind:     by_value
    .group_segment_fixed_size: 5832
    .kernarg_segment_align: 8
    .kernarg_segment_size: 104
    .language:       OpenCL C
    .language_version:
      - 2
      - 0
    .max_flat_workgroup_size: 729
    .name:           _ZN9rocsparseL20bsrxmvn_17_32_kernelILj27E21rocsparse_complex_numIfEllfS2_S2_EEvT2_20rocsparse_direction_NS_24const_host_device_scalarIT0_EES3_PKS3_PKT1_SC_S9_PKT3_PKT4_S7_PT5_21rocsparse_index_base_b
    .private_segment_fixed_size: 0
    .sgpr_count:     22
    .sgpr_spill_count: 0
    .symbol:         _ZN9rocsparseL20bsrxmvn_17_32_kernelILj27E21rocsparse_complex_numIfEllfS2_S2_EEvT2_20rocsparse_direction_NS_24const_host_device_scalarIT0_EES3_PKS3_PKT1_SC_S9_PKT3_PKT4_S7_PT5_21rocsparse_index_base_b.kd
    .uniform_work_group_size: 1
    .uses_dynamic_stack: false
    .vgpr_count:     20
    .vgpr_spill_count: 0
    .wavefront_size: 32
    .workgroup_processor_mode: 1
  - .args:
      - .offset:         0
        .size:           8
        .value_kind:     by_value
      - .offset:         8
        .size:           4
        .value_kind:     by_value
      - .offset:         16
        .size:           8
        .value_kind:     by_value
      - .offset:         24
        .size:           8
        .value_kind:     by_value
      - .actual_access:  read_only
        .address_space:  global
        .offset:         32
        .size:           8
        .value_kind:     global_buffer
      - .actual_access:  read_only
        .address_space:  global
        .offset:         40
        .size:           8
        .value_kind:     global_buffer
      - .actual_access:  read_only
        .address_space:  global
        .offset:         48
        .size:           8
        .value_kind:     global_buffer
      - .actual_access:  read_only
        .address_space:  global
        .offset:         56
        .size:           8
        .value_kind:     global_buffer
      - .actual_access:  read_only
        .address_space:  global
        .offset:         64
        .size:           8
        .value_kind:     global_buffer
      - .actual_access:  read_only
        .address_space:  global
        .offset:         72
        .size:           8
        .value_kind:     global_buffer
      - .offset:         80
        .size:           8
        .value_kind:     by_value
      - .address_space:  global
        .offset:         88
        .size:           8
        .value_kind:     global_buffer
      - .offset:         96
        .size:           4
        .value_kind:     by_value
      - .offset:         100
        .size:           1
        .value_kind:     by_value
    .group_segment_fixed_size: 6272
    .kernarg_segment_align: 8
    .kernarg_segment_size: 104
    .language:       OpenCL C
    .language_version:
      - 2
      - 0
    .max_flat_workgroup_size: 784
    .name:           _ZN9rocsparseL20bsrxmvn_17_32_kernelILj28E21rocsparse_complex_numIfEllfS2_S2_EEvT2_20rocsparse_direction_NS_24const_host_device_scalarIT0_EES3_PKS3_PKT1_SC_S9_PKT3_PKT4_S7_PT5_21rocsparse_index_base_b
    .private_segment_fixed_size: 0
    .sgpr_count:     22
    .sgpr_spill_count: 0
    .symbol:         _ZN9rocsparseL20bsrxmvn_17_32_kernelILj28E21rocsparse_complex_numIfEllfS2_S2_EEvT2_20rocsparse_direction_NS_24const_host_device_scalarIT0_EES3_PKS3_PKT1_SC_S9_PKT3_PKT4_S7_PT5_21rocsparse_index_base_b.kd
    .uniform_work_group_size: 1
    .uses_dynamic_stack: false
    .vgpr_count:     20
    .vgpr_spill_count: 0
    .wavefront_size: 32
    .workgroup_processor_mode: 1
  - .args:
      - .offset:         0
        .size:           8
        .value_kind:     by_value
      - .offset:         8
        .size:           4
        .value_kind:     by_value
      - .offset:         16
        .size:           8
        .value_kind:     by_value
      - .offset:         24
        .size:           8
        .value_kind:     by_value
      - .actual_access:  read_only
        .address_space:  global
        .offset:         32
        .size:           8
        .value_kind:     global_buffer
      - .actual_access:  read_only
        .address_space:  global
        .offset:         40
        .size:           8
        .value_kind:     global_buffer
      - .actual_access:  read_only
        .address_space:  global
        .offset:         48
        .size:           8
        .value_kind:     global_buffer
      - .actual_access:  read_only
        .address_space:  global
        .offset:         56
        .size:           8
        .value_kind:     global_buffer
      - .actual_access:  read_only
        .address_space:  global
        .offset:         64
        .size:           8
        .value_kind:     global_buffer
      - .actual_access:  read_only
        .address_space:  global
        .offset:         72
        .size:           8
        .value_kind:     global_buffer
      - .offset:         80
        .size:           8
        .value_kind:     by_value
      - .address_space:  global
        .offset:         88
        .size:           8
        .value_kind:     global_buffer
      - .offset:         96
        .size:           4
        .value_kind:     by_value
      - .offset:         100
        .size:           1
        .value_kind:     by_value
    .group_segment_fixed_size: 6728
    .kernarg_segment_align: 8
    .kernarg_segment_size: 104
    .language:       OpenCL C
    .language_version:
      - 2
      - 0
    .max_flat_workgroup_size: 841
    .name:           _ZN9rocsparseL20bsrxmvn_17_32_kernelILj29E21rocsparse_complex_numIfEllfS2_S2_EEvT2_20rocsparse_direction_NS_24const_host_device_scalarIT0_EES3_PKS3_PKT1_SC_S9_PKT3_PKT4_S7_PT5_21rocsparse_index_base_b
    .private_segment_fixed_size: 0
    .sgpr_count:     22
    .sgpr_spill_count: 0
    .symbol:         _ZN9rocsparseL20bsrxmvn_17_32_kernelILj29E21rocsparse_complex_numIfEllfS2_S2_EEvT2_20rocsparse_direction_NS_24const_host_device_scalarIT0_EES3_PKS3_PKT1_SC_S9_PKT3_PKT4_S7_PT5_21rocsparse_index_base_b.kd
    .uniform_work_group_size: 1
    .uses_dynamic_stack: false
    .vgpr_count:     20
    .vgpr_spill_count: 0
    .wavefront_size: 32
    .workgroup_processor_mode: 1
  - .args:
      - .offset:         0
        .size:           8
        .value_kind:     by_value
      - .offset:         8
        .size:           4
        .value_kind:     by_value
      - .offset:         16
        .size:           8
        .value_kind:     by_value
      - .offset:         24
        .size:           8
        .value_kind:     by_value
      - .actual_access:  read_only
        .address_space:  global
        .offset:         32
        .size:           8
        .value_kind:     global_buffer
      - .actual_access:  read_only
        .address_space:  global
        .offset:         40
        .size:           8
        .value_kind:     global_buffer
      - .actual_access:  read_only
        .address_space:  global
        .offset:         48
        .size:           8
        .value_kind:     global_buffer
      - .actual_access:  read_only
        .address_space:  global
        .offset:         56
        .size:           8
        .value_kind:     global_buffer
      - .actual_access:  read_only
        .address_space:  global
        .offset:         64
        .size:           8
        .value_kind:     global_buffer
      - .actual_access:  read_only
        .address_space:  global
        .offset:         72
        .size:           8
        .value_kind:     global_buffer
      - .offset:         80
        .size:           8
        .value_kind:     by_value
      - .address_space:  global
        .offset:         88
        .size:           8
        .value_kind:     global_buffer
      - .offset:         96
        .size:           4
        .value_kind:     by_value
      - .offset:         100
        .size:           1
        .value_kind:     by_value
    .group_segment_fixed_size: 7200
    .kernarg_segment_align: 8
    .kernarg_segment_size: 104
    .language:       OpenCL C
    .language_version:
      - 2
      - 0
    .max_flat_workgroup_size: 900
    .name:           _ZN9rocsparseL20bsrxmvn_17_32_kernelILj30E21rocsparse_complex_numIfEllfS2_S2_EEvT2_20rocsparse_direction_NS_24const_host_device_scalarIT0_EES3_PKS3_PKT1_SC_S9_PKT3_PKT4_S7_PT5_21rocsparse_index_base_b
    .private_segment_fixed_size: 0
    .sgpr_count:     22
    .sgpr_spill_count: 0
    .symbol:         _ZN9rocsparseL20bsrxmvn_17_32_kernelILj30E21rocsparse_complex_numIfEllfS2_S2_EEvT2_20rocsparse_direction_NS_24const_host_device_scalarIT0_EES3_PKS3_PKT1_SC_S9_PKT3_PKT4_S7_PT5_21rocsparse_index_base_b.kd
    .uniform_work_group_size: 1
    .uses_dynamic_stack: false
    .vgpr_count:     20
    .vgpr_spill_count: 0
    .wavefront_size: 32
    .workgroup_processor_mode: 1
  - .args:
      - .offset:         0
        .size:           8
        .value_kind:     by_value
      - .offset:         8
        .size:           4
        .value_kind:     by_value
      - .offset:         16
        .size:           8
        .value_kind:     by_value
      - .offset:         24
        .size:           8
        .value_kind:     by_value
      - .actual_access:  read_only
        .address_space:  global
        .offset:         32
        .size:           8
        .value_kind:     global_buffer
      - .actual_access:  read_only
        .address_space:  global
        .offset:         40
        .size:           8
        .value_kind:     global_buffer
      - .actual_access:  read_only
        .address_space:  global
        .offset:         48
        .size:           8
        .value_kind:     global_buffer
      - .actual_access:  read_only
        .address_space:  global
        .offset:         56
        .size:           8
        .value_kind:     global_buffer
      - .actual_access:  read_only
        .address_space:  global
        .offset:         64
        .size:           8
        .value_kind:     global_buffer
      - .actual_access:  read_only
        .address_space:  global
        .offset:         72
        .size:           8
        .value_kind:     global_buffer
      - .offset:         80
        .size:           8
        .value_kind:     by_value
      - .address_space:  global
        .offset:         88
        .size:           8
        .value_kind:     global_buffer
      - .offset:         96
        .size:           4
        .value_kind:     by_value
      - .offset:         100
        .size:           1
        .value_kind:     by_value
    .group_segment_fixed_size: 7688
    .kernarg_segment_align: 8
    .kernarg_segment_size: 104
    .language:       OpenCL C
    .language_version:
      - 2
      - 0
    .max_flat_workgroup_size: 961
    .name:           _ZN9rocsparseL20bsrxmvn_17_32_kernelILj31E21rocsparse_complex_numIfEllfS2_S2_EEvT2_20rocsparse_direction_NS_24const_host_device_scalarIT0_EES3_PKS3_PKT1_SC_S9_PKT3_PKT4_S7_PT5_21rocsparse_index_base_b
    .private_segment_fixed_size: 0
    .sgpr_count:     22
    .sgpr_spill_count: 0
    .symbol:         _ZN9rocsparseL20bsrxmvn_17_32_kernelILj31E21rocsparse_complex_numIfEllfS2_S2_EEvT2_20rocsparse_direction_NS_24const_host_device_scalarIT0_EES3_PKS3_PKT1_SC_S9_PKT3_PKT4_S7_PT5_21rocsparse_index_base_b.kd
    .uniform_work_group_size: 1
    .uses_dynamic_stack: false
    .vgpr_count:     20
    .vgpr_spill_count: 0
    .wavefront_size: 32
    .workgroup_processor_mode: 1
  - .args:
      - .offset:         0
        .size:           8
        .value_kind:     by_value
      - .offset:         8
        .size:           4
        .value_kind:     by_value
      - .offset:         16
        .size:           8
        .value_kind:     by_value
      - .offset:         24
        .size:           8
        .value_kind:     by_value
      - .actual_access:  read_only
        .address_space:  global
        .offset:         32
        .size:           8
        .value_kind:     global_buffer
      - .actual_access:  read_only
        .address_space:  global
        .offset:         40
        .size:           8
        .value_kind:     global_buffer
      - .actual_access:  read_only
        .address_space:  global
        .offset:         48
        .size:           8
        .value_kind:     global_buffer
      - .actual_access:  read_only
        .address_space:  global
        .offset:         56
        .size:           8
        .value_kind:     global_buffer
      - .actual_access:  read_only
        .address_space:  global
        .offset:         64
        .size:           8
        .value_kind:     global_buffer
      - .actual_access:  read_only
        .address_space:  global
        .offset:         72
        .size:           8
        .value_kind:     global_buffer
      - .offset:         80
        .size:           8
        .value_kind:     by_value
      - .address_space:  global
        .offset:         88
        .size:           8
        .value_kind:     global_buffer
      - .offset:         96
        .size:           4
        .value_kind:     by_value
      - .offset:         100
        .size:           1
        .value_kind:     by_value
    .group_segment_fixed_size: 8192
    .kernarg_segment_align: 8
    .kernarg_segment_size: 104
    .language:       OpenCL C
    .language_version:
      - 2
      - 0
    .max_flat_workgroup_size: 1024
    .name:           _ZN9rocsparseL20bsrxmvn_17_32_kernelILj32E21rocsparse_complex_numIfEllfS2_S2_EEvT2_20rocsparse_direction_NS_24const_host_device_scalarIT0_EES3_PKS3_PKT1_SC_S9_PKT3_PKT4_S7_PT5_21rocsparse_index_base_b
    .private_segment_fixed_size: 0
    .sgpr_count:     26
    .sgpr_spill_count: 0
    .symbol:         _ZN9rocsparseL20bsrxmvn_17_32_kernelILj32E21rocsparse_complex_numIfEllfS2_S2_EEvT2_20rocsparse_direction_NS_24const_host_device_scalarIT0_EES3_PKS3_PKT1_SC_S9_PKT3_PKT4_S7_PT5_21rocsparse_index_base_b.kd
    .uniform_work_group_size: 1
    .uses_dynamic_stack: false
    .vgpr_count:     15
    .vgpr_spill_count: 0
    .wavefront_size: 32
    .workgroup_processor_mode: 1
  - .args:
      - .offset:         0
        .size:           4
        .value_kind:     by_value
      - .offset:         4
        .size:           4
        .value_kind:     by_value
      - .offset:         8
        .size:           16
        .value_kind:     by_value
      - .offset:         24
        .size:           4
        .value_kind:     by_value
      - .actual_access:  read_only
        .address_space:  global
        .offset:         32
        .size:           8
        .value_kind:     global_buffer
      - .actual_access:  read_only
        .address_space:  global
        .offset:         40
        .size:           8
        .value_kind:     global_buffer
      - .actual_access:  read_only
        .address_space:  global
        .offset:         48
        .size:           8
        .value_kind:     global_buffer
      - .actual_access:  read_only
        .address_space:  global
        .offset:         56
        .size:           8
        .value_kind:     global_buffer
      - .actual_access:  read_only
        .address_space:  global
        .offset:         64
        .size:           8
        .value_kind:     global_buffer
      - .actual_access:  read_only
        .address_space:  global
        .offset:         72
        .size:           8
        .value_kind:     global_buffer
      - .offset:         80
        .size:           16
        .value_kind:     by_value
      - .address_space:  global
        .offset:         96
        .size:           8
        .value_kind:     global_buffer
      - .offset:         104
        .size:           4
        .value_kind:     by_value
      - .offset:         108
        .size:           1
        .value_kind:     by_value
    .group_segment_fixed_size: 9248
    .kernarg_segment_align: 8
    .kernarg_segment_size: 112
    .language:       OpenCL C
    .language_version:
      - 2
      - 0
    .max_flat_workgroup_size: 289
    .name:           _ZN9rocsparseL20bsrxmvn_17_32_kernelILj17E21rocsparse_complex_numIdEiidS2_S2_EEvT2_20rocsparse_direction_NS_24const_host_device_scalarIT0_EES3_PKS3_PKT1_SC_S9_PKT3_PKT4_S7_PT5_21rocsparse_index_base_b
    .private_segment_fixed_size: 0
    .sgpr_count:     20
    .sgpr_spill_count: 0
    .symbol:         _ZN9rocsparseL20bsrxmvn_17_32_kernelILj17E21rocsparse_complex_numIdEiidS2_S2_EEvT2_20rocsparse_direction_NS_24const_host_device_scalarIT0_EES3_PKS3_PKT1_SC_S9_PKT3_PKT4_S7_PT5_21rocsparse_index_base_b.kd
    .uniform_work_group_size: 1
    .uses_dynamic_stack: false
    .vgpr_count:     26
    .vgpr_spill_count: 0
    .wavefront_size: 32
    .workgroup_processor_mode: 1
  - .args:
      - .offset:         0
        .size:           4
        .value_kind:     by_value
      - .offset:         4
        .size:           4
        .value_kind:     by_value
      - .offset:         8
        .size:           16
        .value_kind:     by_value
      - .offset:         24
        .size:           4
        .value_kind:     by_value
      - .actual_access:  read_only
        .address_space:  global
        .offset:         32
        .size:           8
        .value_kind:     global_buffer
      - .actual_access:  read_only
        .address_space:  global
        .offset:         40
        .size:           8
        .value_kind:     global_buffer
      - .actual_access:  read_only
        .address_space:  global
        .offset:         48
        .size:           8
        .value_kind:     global_buffer
      - .actual_access:  read_only
        .address_space:  global
        .offset:         56
        .size:           8
        .value_kind:     global_buffer
      - .actual_access:  read_only
        .address_space:  global
        .offset:         64
        .size:           8
        .value_kind:     global_buffer
      - .actual_access:  read_only
        .address_space:  global
        .offset:         72
        .size:           8
        .value_kind:     global_buffer
      - .offset:         80
        .size:           16
        .value_kind:     by_value
      - .address_space:  global
        .offset:         96
        .size:           8
        .value_kind:     global_buffer
      - .offset:         104
        .size:           4
        .value_kind:     by_value
      - .offset:         108
        .size:           1
        .value_kind:     by_value
    .group_segment_fixed_size: 10368
    .kernarg_segment_align: 8
    .kernarg_segment_size: 112
    .language:       OpenCL C
    .language_version:
      - 2
      - 0
    .max_flat_workgroup_size: 324
    .name:           _ZN9rocsparseL20bsrxmvn_17_32_kernelILj18E21rocsparse_complex_numIdEiidS2_S2_EEvT2_20rocsparse_direction_NS_24const_host_device_scalarIT0_EES3_PKS3_PKT1_SC_S9_PKT3_PKT4_S7_PT5_21rocsparse_index_base_b
    .private_segment_fixed_size: 0
    .sgpr_count:     20
    .sgpr_spill_count: 0
    .symbol:         _ZN9rocsparseL20bsrxmvn_17_32_kernelILj18E21rocsparse_complex_numIdEiidS2_S2_EEvT2_20rocsparse_direction_NS_24const_host_device_scalarIT0_EES3_PKS3_PKT1_SC_S9_PKT3_PKT4_S7_PT5_21rocsparse_index_base_b.kd
    .uniform_work_group_size: 1
    .uses_dynamic_stack: false
    .vgpr_count:     26
    .vgpr_spill_count: 0
    .wavefront_size: 32
    .workgroup_processor_mode: 1
  - .args:
      - .offset:         0
        .size:           4
        .value_kind:     by_value
      - .offset:         4
        .size:           4
        .value_kind:     by_value
      - .offset:         8
        .size:           16
        .value_kind:     by_value
      - .offset:         24
        .size:           4
        .value_kind:     by_value
      - .actual_access:  read_only
        .address_space:  global
        .offset:         32
        .size:           8
        .value_kind:     global_buffer
      - .actual_access:  read_only
        .address_space:  global
        .offset:         40
        .size:           8
        .value_kind:     global_buffer
      - .actual_access:  read_only
        .address_space:  global
        .offset:         48
        .size:           8
        .value_kind:     global_buffer
      - .actual_access:  read_only
        .address_space:  global
        .offset:         56
        .size:           8
        .value_kind:     global_buffer
      - .actual_access:  read_only
        .address_space:  global
        .offset:         64
        .size:           8
        .value_kind:     global_buffer
      - .actual_access:  read_only
        .address_space:  global
        .offset:         72
        .size:           8
        .value_kind:     global_buffer
      - .offset:         80
        .size:           16
        .value_kind:     by_value
      - .address_space:  global
        .offset:         96
        .size:           8
        .value_kind:     global_buffer
      - .offset:         104
        .size:           4
        .value_kind:     by_value
      - .offset:         108
        .size:           1
        .value_kind:     by_value
    .group_segment_fixed_size: 11552
    .kernarg_segment_align: 8
    .kernarg_segment_size: 112
    .language:       OpenCL C
    .language_version:
      - 2
      - 0
    .max_flat_workgroup_size: 361
    .name:           _ZN9rocsparseL20bsrxmvn_17_32_kernelILj19E21rocsparse_complex_numIdEiidS2_S2_EEvT2_20rocsparse_direction_NS_24const_host_device_scalarIT0_EES3_PKS3_PKT1_SC_S9_PKT3_PKT4_S7_PT5_21rocsparse_index_base_b
    .private_segment_fixed_size: 0
    .sgpr_count:     20
    .sgpr_spill_count: 0
    .symbol:         _ZN9rocsparseL20bsrxmvn_17_32_kernelILj19E21rocsparse_complex_numIdEiidS2_S2_EEvT2_20rocsparse_direction_NS_24const_host_device_scalarIT0_EES3_PKS3_PKT1_SC_S9_PKT3_PKT4_S7_PT5_21rocsparse_index_base_b.kd
    .uniform_work_group_size: 1
    .uses_dynamic_stack: false
    .vgpr_count:     26
    .vgpr_spill_count: 0
    .wavefront_size: 32
    .workgroup_processor_mode: 1
  - .args:
      - .offset:         0
        .size:           4
        .value_kind:     by_value
      - .offset:         4
        .size:           4
        .value_kind:     by_value
      - .offset:         8
        .size:           16
        .value_kind:     by_value
      - .offset:         24
        .size:           4
        .value_kind:     by_value
      - .actual_access:  read_only
        .address_space:  global
        .offset:         32
        .size:           8
        .value_kind:     global_buffer
      - .actual_access:  read_only
        .address_space:  global
        .offset:         40
        .size:           8
        .value_kind:     global_buffer
      - .actual_access:  read_only
        .address_space:  global
        .offset:         48
        .size:           8
        .value_kind:     global_buffer
      - .actual_access:  read_only
        .address_space:  global
        .offset:         56
        .size:           8
        .value_kind:     global_buffer
      - .actual_access:  read_only
        .address_space:  global
        .offset:         64
        .size:           8
        .value_kind:     global_buffer
      - .actual_access:  read_only
        .address_space:  global
        .offset:         72
        .size:           8
        .value_kind:     global_buffer
      - .offset:         80
        .size:           16
        .value_kind:     by_value
      - .address_space:  global
        .offset:         96
        .size:           8
        .value_kind:     global_buffer
      - .offset:         104
        .size:           4
        .value_kind:     by_value
      - .offset:         108
        .size:           1
        .value_kind:     by_value
    .group_segment_fixed_size: 12800
    .kernarg_segment_align: 8
    .kernarg_segment_size: 112
    .language:       OpenCL C
    .language_version:
      - 2
      - 0
    .max_flat_workgroup_size: 400
    .name:           _ZN9rocsparseL20bsrxmvn_17_32_kernelILj20E21rocsparse_complex_numIdEiidS2_S2_EEvT2_20rocsparse_direction_NS_24const_host_device_scalarIT0_EES3_PKS3_PKT1_SC_S9_PKT3_PKT4_S7_PT5_21rocsparse_index_base_b
    .private_segment_fixed_size: 0
    .sgpr_count:     20
    .sgpr_spill_count: 0
    .symbol:         _ZN9rocsparseL20bsrxmvn_17_32_kernelILj20E21rocsparse_complex_numIdEiidS2_S2_EEvT2_20rocsparse_direction_NS_24const_host_device_scalarIT0_EES3_PKS3_PKT1_SC_S9_PKT3_PKT4_S7_PT5_21rocsparse_index_base_b.kd
    .uniform_work_group_size: 1
    .uses_dynamic_stack: false
    .vgpr_count:     26
    .vgpr_spill_count: 0
    .wavefront_size: 32
    .workgroup_processor_mode: 1
  - .args:
      - .offset:         0
        .size:           4
        .value_kind:     by_value
      - .offset:         4
        .size:           4
        .value_kind:     by_value
      - .offset:         8
        .size:           16
        .value_kind:     by_value
      - .offset:         24
        .size:           4
        .value_kind:     by_value
      - .actual_access:  read_only
        .address_space:  global
        .offset:         32
        .size:           8
        .value_kind:     global_buffer
      - .actual_access:  read_only
        .address_space:  global
        .offset:         40
        .size:           8
        .value_kind:     global_buffer
      - .actual_access:  read_only
        .address_space:  global
        .offset:         48
        .size:           8
        .value_kind:     global_buffer
      - .actual_access:  read_only
        .address_space:  global
        .offset:         56
        .size:           8
        .value_kind:     global_buffer
      - .actual_access:  read_only
        .address_space:  global
        .offset:         64
        .size:           8
        .value_kind:     global_buffer
      - .actual_access:  read_only
        .address_space:  global
        .offset:         72
        .size:           8
        .value_kind:     global_buffer
      - .offset:         80
        .size:           16
        .value_kind:     by_value
      - .address_space:  global
        .offset:         96
        .size:           8
        .value_kind:     global_buffer
      - .offset:         104
        .size:           4
        .value_kind:     by_value
      - .offset:         108
        .size:           1
        .value_kind:     by_value
    .group_segment_fixed_size: 14112
    .kernarg_segment_align: 8
    .kernarg_segment_size: 112
    .language:       OpenCL C
    .language_version:
      - 2
      - 0
    .max_flat_workgroup_size: 441
    .name:           _ZN9rocsparseL20bsrxmvn_17_32_kernelILj21E21rocsparse_complex_numIdEiidS2_S2_EEvT2_20rocsparse_direction_NS_24const_host_device_scalarIT0_EES3_PKS3_PKT1_SC_S9_PKT3_PKT4_S7_PT5_21rocsparse_index_base_b
    .private_segment_fixed_size: 0
    .sgpr_count:     20
    .sgpr_spill_count: 0
    .symbol:         _ZN9rocsparseL20bsrxmvn_17_32_kernelILj21E21rocsparse_complex_numIdEiidS2_S2_EEvT2_20rocsparse_direction_NS_24const_host_device_scalarIT0_EES3_PKS3_PKT1_SC_S9_PKT3_PKT4_S7_PT5_21rocsparse_index_base_b.kd
    .uniform_work_group_size: 1
    .uses_dynamic_stack: false
    .vgpr_count:     26
    .vgpr_spill_count: 0
    .wavefront_size: 32
    .workgroup_processor_mode: 1
  - .args:
      - .offset:         0
        .size:           4
        .value_kind:     by_value
      - .offset:         4
        .size:           4
        .value_kind:     by_value
      - .offset:         8
        .size:           16
        .value_kind:     by_value
      - .offset:         24
        .size:           4
        .value_kind:     by_value
      - .actual_access:  read_only
        .address_space:  global
        .offset:         32
        .size:           8
        .value_kind:     global_buffer
      - .actual_access:  read_only
        .address_space:  global
        .offset:         40
        .size:           8
        .value_kind:     global_buffer
      - .actual_access:  read_only
        .address_space:  global
        .offset:         48
        .size:           8
        .value_kind:     global_buffer
      - .actual_access:  read_only
        .address_space:  global
        .offset:         56
        .size:           8
        .value_kind:     global_buffer
      - .actual_access:  read_only
        .address_space:  global
        .offset:         64
        .size:           8
        .value_kind:     global_buffer
      - .actual_access:  read_only
        .address_space:  global
        .offset:         72
        .size:           8
        .value_kind:     global_buffer
      - .offset:         80
        .size:           16
        .value_kind:     by_value
      - .address_space:  global
        .offset:         96
        .size:           8
        .value_kind:     global_buffer
      - .offset:         104
        .size:           4
        .value_kind:     by_value
      - .offset:         108
        .size:           1
        .value_kind:     by_value
    .group_segment_fixed_size: 15488
    .kernarg_segment_align: 8
    .kernarg_segment_size: 112
    .language:       OpenCL C
    .language_version:
      - 2
      - 0
    .max_flat_workgroup_size: 484
    .name:           _ZN9rocsparseL20bsrxmvn_17_32_kernelILj22E21rocsparse_complex_numIdEiidS2_S2_EEvT2_20rocsparse_direction_NS_24const_host_device_scalarIT0_EES3_PKS3_PKT1_SC_S9_PKT3_PKT4_S7_PT5_21rocsparse_index_base_b
    .private_segment_fixed_size: 0
    .sgpr_count:     20
    .sgpr_spill_count: 0
    .symbol:         _ZN9rocsparseL20bsrxmvn_17_32_kernelILj22E21rocsparse_complex_numIdEiidS2_S2_EEvT2_20rocsparse_direction_NS_24const_host_device_scalarIT0_EES3_PKS3_PKT1_SC_S9_PKT3_PKT4_S7_PT5_21rocsparse_index_base_b.kd
    .uniform_work_group_size: 1
    .uses_dynamic_stack: false
    .vgpr_count:     26
    .vgpr_spill_count: 0
    .wavefront_size: 32
    .workgroup_processor_mode: 1
  - .args:
      - .offset:         0
        .size:           4
        .value_kind:     by_value
      - .offset:         4
        .size:           4
        .value_kind:     by_value
      - .offset:         8
        .size:           16
        .value_kind:     by_value
      - .offset:         24
        .size:           4
        .value_kind:     by_value
      - .actual_access:  read_only
        .address_space:  global
        .offset:         32
        .size:           8
        .value_kind:     global_buffer
      - .actual_access:  read_only
        .address_space:  global
        .offset:         40
        .size:           8
        .value_kind:     global_buffer
      - .actual_access:  read_only
        .address_space:  global
        .offset:         48
        .size:           8
        .value_kind:     global_buffer
      - .actual_access:  read_only
        .address_space:  global
        .offset:         56
        .size:           8
        .value_kind:     global_buffer
      - .actual_access:  read_only
        .address_space:  global
        .offset:         64
        .size:           8
        .value_kind:     global_buffer
      - .actual_access:  read_only
        .address_space:  global
        .offset:         72
        .size:           8
        .value_kind:     global_buffer
      - .offset:         80
        .size:           16
        .value_kind:     by_value
      - .address_space:  global
        .offset:         96
        .size:           8
        .value_kind:     global_buffer
      - .offset:         104
        .size:           4
        .value_kind:     by_value
      - .offset:         108
        .size:           1
        .value_kind:     by_value
    .group_segment_fixed_size: 16928
    .kernarg_segment_align: 8
    .kernarg_segment_size: 112
    .language:       OpenCL C
    .language_version:
      - 2
      - 0
    .max_flat_workgroup_size: 529
    .name:           _ZN9rocsparseL20bsrxmvn_17_32_kernelILj23E21rocsparse_complex_numIdEiidS2_S2_EEvT2_20rocsparse_direction_NS_24const_host_device_scalarIT0_EES3_PKS3_PKT1_SC_S9_PKT3_PKT4_S7_PT5_21rocsparse_index_base_b
    .private_segment_fixed_size: 0
    .sgpr_count:     22
    .sgpr_spill_count: 0
    .symbol:         _ZN9rocsparseL20bsrxmvn_17_32_kernelILj23E21rocsparse_complex_numIdEiidS2_S2_EEvT2_20rocsparse_direction_NS_24const_host_device_scalarIT0_EES3_PKS3_PKT1_SC_S9_PKT3_PKT4_S7_PT5_21rocsparse_index_base_b.kd
    .uniform_work_group_size: 1
    .uses_dynamic_stack: false
    .vgpr_count:     26
    .vgpr_spill_count: 0
    .wavefront_size: 32
    .workgroup_processor_mode: 1
  - .args:
      - .offset:         0
        .size:           4
        .value_kind:     by_value
      - .offset:         4
        .size:           4
        .value_kind:     by_value
      - .offset:         8
        .size:           16
        .value_kind:     by_value
      - .offset:         24
        .size:           4
        .value_kind:     by_value
      - .actual_access:  read_only
        .address_space:  global
        .offset:         32
        .size:           8
        .value_kind:     global_buffer
      - .actual_access:  read_only
        .address_space:  global
        .offset:         40
        .size:           8
        .value_kind:     global_buffer
      - .actual_access:  read_only
        .address_space:  global
        .offset:         48
        .size:           8
        .value_kind:     global_buffer
      - .actual_access:  read_only
        .address_space:  global
        .offset:         56
        .size:           8
        .value_kind:     global_buffer
      - .actual_access:  read_only
        .address_space:  global
        .offset:         64
        .size:           8
        .value_kind:     global_buffer
      - .actual_access:  read_only
        .address_space:  global
        .offset:         72
        .size:           8
        .value_kind:     global_buffer
      - .offset:         80
        .size:           16
        .value_kind:     by_value
      - .address_space:  global
        .offset:         96
        .size:           8
        .value_kind:     global_buffer
      - .offset:         104
        .size:           4
        .value_kind:     by_value
      - .offset:         108
        .size:           1
        .value_kind:     by_value
    .group_segment_fixed_size: 18432
    .kernarg_segment_align: 8
    .kernarg_segment_size: 112
    .language:       OpenCL C
    .language_version:
      - 2
      - 0
    .max_flat_workgroup_size: 576
    .name:           _ZN9rocsparseL20bsrxmvn_17_32_kernelILj24E21rocsparse_complex_numIdEiidS2_S2_EEvT2_20rocsparse_direction_NS_24const_host_device_scalarIT0_EES3_PKS3_PKT1_SC_S9_PKT3_PKT4_S7_PT5_21rocsparse_index_base_b
    .private_segment_fixed_size: 0
    .sgpr_count:     22
    .sgpr_spill_count: 0
    .symbol:         _ZN9rocsparseL20bsrxmvn_17_32_kernelILj24E21rocsparse_complex_numIdEiidS2_S2_EEvT2_20rocsparse_direction_NS_24const_host_device_scalarIT0_EES3_PKS3_PKT1_SC_S9_PKT3_PKT4_S7_PT5_21rocsparse_index_base_b.kd
    .uniform_work_group_size: 1
    .uses_dynamic_stack: false
    .vgpr_count:     26
    .vgpr_spill_count: 0
    .wavefront_size: 32
    .workgroup_processor_mode: 1
  - .args:
      - .offset:         0
        .size:           4
        .value_kind:     by_value
      - .offset:         4
        .size:           4
        .value_kind:     by_value
      - .offset:         8
        .size:           16
        .value_kind:     by_value
      - .offset:         24
        .size:           4
        .value_kind:     by_value
      - .actual_access:  read_only
        .address_space:  global
        .offset:         32
        .size:           8
        .value_kind:     global_buffer
      - .actual_access:  read_only
        .address_space:  global
        .offset:         40
        .size:           8
        .value_kind:     global_buffer
      - .actual_access:  read_only
        .address_space:  global
        .offset:         48
        .size:           8
        .value_kind:     global_buffer
      - .actual_access:  read_only
        .address_space:  global
        .offset:         56
        .size:           8
        .value_kind:     global_buffer
      - .actual_access:  read_only
        .address_space:  global
        .offset:         64
        .size:           8
        .value_kind:     global_buffer
      - .actual_access:  read_only
        .address_space:  global
        .offset:         72
        .size:           8
        .value_kind:     global_buffer
      - .offset:         80
        .size:           16
        .value_kind:     by_value
      - .address_space:  global
        .offset:         96
        .size:           8
        .value_kind:     global_buffer
      - .offset:         104
        .size:           4
        .value_kind:     by_value
      - .offset:         108
        .size:           1
        .value_kind:     by_value
    .group_segment_fixed_size: 20000
    .kernarg_segment_align: 8
    .kernarg_segment_size: 112
    .language:       OpenCL C
    .language_version:
      - 2
      - 0
    .max_flat_workgroup_size: 625
    .name:           _ZN9rocsparseL20bsrxmvn_17_32_kernelILj25E21rocsparse_complex_numIdEiidS2_S2_EEvT2_20rocsparse_direction_NS_24const_host_device_scalarIT0_EES3_PKS3_PKT1_SC_S9_PKT3_PKT4_S7_PT5_21rocsparse_index_base_b
    .private_segment_fixed_size: 0
    .sgpr_count:     22
    .sgpr_spill_count: 0
    .symbol:         _ZN9rocsparseL20bsrxmvn_17_32_kernelILj25E21rocsparse_complex_numIdEiidS2_S2_EEvT2_20rocsparse_direction_NS_24const_host_device_scalarIT0_EES3_PKS3_PKT1_SC_S9_PKT3_PKT4_S7_PT5_21rocsparse_index_base_b.kd
    .uniform_work_group_size: 1
    .uses_dynamic_stack: false
    .vgpr_count:     26
    .vgpr_spill_count: 0
    .wavefront_size: 32
    .workgroup_processor_mode: 1
  - .args:
      - .offset:         0
        .size:           4
        .value_kind:     by_value
      - .offset:         4
        .size:           4
        .value_kind:     by_value
      - .offset:         8
        .size:           16
        .value_kind:     by_value
      - .offset:         24
        .size:           4
        .value_kind:     by_value
      - .actual_access:  read_only
        .address_space:  global
        .offset:         32
        .size:           8
        .value_kind:     global_buffer
      - .actual_access:  read_only
        .address_space:  global
        .offset:         40
        .size:           8
        .value_kind:     global_buffer
      - .actual_access:  read_only
        .address_space:  global
        .offset:         48
        .size:           8
        .value_kind:     global_buffer
      - .actual_access:  read_only
        .address_space:  global
        .offset:         56
        .size:           8
        .value_kind:     global_buffer
      - .actual_access:  read_only
        .address_space:  global
        .offset:         64
        .size:           8
        .value_kind:     global_buffer
      - .actual_access:  read_only
        .address_space:  global
        .offset:         72
        .size:           8
        .value_kind:     global_buffer
      - .offset:         80
        .size:           16
        .value_kind:     by_value
      - .address_space:  global
        .offset:         96
        .size:           8
        .value_kind:     global_buffer
      - .offset:         104
        .size:           4
        .value_kind:     by_value
      - .offset:         108
        .size:           1
        .value_kind:     by_value
    .group_segment_fixed_size: 21632
    .kernarg_segment_align: 8
    .kernarg_segment_size: 112
    .language:       OpenCL C
    .language_version:
      - 2
      - 0
    .max_flat_workgroup_size: 676
    .name:           _ZN9rocsparseL20bsrxmvn_17_32_kernelILj26E21rocsparse_complex_numIdEiidS2_S2_EEvT2_20rocsparse_direction_NS_24const_host_device_scalarIT0_EES3_PKS3_PKT1_SC_S9_PKT3_PKT4_S7_PT5_21rocsparse_index_base_b
    .private_segment_fixed_size: 0
    .sgpr_count:     22
    .sgpr_spill_count: 0
    .symbol:         _ZN9rocsparseL20bsrxmvn_17_32_kernelILj26E21rocsparse_complex_numIdEiidS2_S2_EEvT2_20rocsparse_direction_NS_24const_host_device_scalarIT0_EES3_PKS3_PKT1_SC_S9_PKT3_PKT4_S7_PT5_21rocsparse_index_base_b.kd
    .uniform_work_group_size: 1
    .uses_dynamic_stack: false
    .vgpr_count:     26
    .vgpr_spill_count: 0
    .wavefront_size: 32
    .workgroup_processor_mode: 1
  - .args:
      - .offset:         0
        .size:           4
        .value_kind:     by_value
      - .offset:         4
        .size:           4
        .value_kind:     by_value
      - .offset:         8
        .size:           16
        .value_kind:     by_value
      - .offset:         24
        .size:           4
        .value_kind:     by_value
      - .actual_access:  read_only
        .address_space:  global
        .offset:         32
        .size:           8
        .value_kind:     global_buffer
      - .actual_access:  read_only
        .address_space:  global
        .offset:         40
        .size:           8
        .value_kind:     global_buffer
      - .actual_access:  read_only
        .address_space:  global
        .offset:         48
        .size:           8
        .value_kind:     global_buffer
      - .actual_access:  read_only
        .address_space:  global
        .offset:         56
        .size:           8
        .value_kind:     global_buffer
      - .actual_access:  read_only
        .address_space:  global
        .offset:         64
        .size:           8
        .value_kind:     global_buffer
      - .actual_access:  read_only
        .address_space:  global
        .offset:         72
        .size:           8
        .value_kind:     global_buffer
      - .offset:         80
        .size:           16
        .value_kind:     by_value
      - .address_space:  global
        .offset:         96
        .size:           8
        .value_kind:     global_buffer
      - .offset:         104
        .size:           4
        .value_kind:     by_value
      - .offset:         108
        .size:           1
        .value_kind:     by_value
    .group_segment_fixed_size: 23328
    .kernarg_segment_align: 8
    .kernarg_segment_size: 112
    .language:       OpenCL C
    .language_version:
      - 2
      - 0
    .max_flat_workgroup_size: 729
    .name:           _ZN9rocsparseL20bsrxmvn_17_32_kernelILj27E21rocsparse_complex_numIdEiidS2_S2_EEvT2_20rocsparse_direction_NS_24const_host_device_scalarIT0_EES3_PKS3_PKT1_SC_S9_PKT3_PKT4_S7_PT5_21rocsparse_index_base_b
    .private_segment_fixed_size: 0
    .sgpr_count:     22
    .sgpr_spill_count: 0
    .symbol:         _ZN9rocsparseL20bsrxmvn_17_32_kernelILj27E21rocsparse_complex_numIdEiidS2_S2_EEvT2_20rocsparse_direction_NS_24const_host_device_scalarIT0_EES3_PKS3_PKT1_SC_S9_PKT3_PKT4_S7_PT5_21rocsparse_index_base_b.kd
    .uniform_work_group_size: 1
    .uses_dynamic_stack: false
    .vgpr_count:     26
    .vgpr_spill_count: 0
    .wavefront_size: 32
    .workgroup_processor_mode: 1
  - .args:
      - .offset:         0
        .size:           4
        .value_kind:     by_value
      - .offset:         4
        .size:           4
        .value_kind:     by_value
      - .offset:         8
        .size:           16
        .value_kind:     by_value
      - .offset:         24
        .size:           4
        .value_kind:     by_value
      - .actual_access:  read_only
        .address_space:  global
        .offset:         32
        .size:           8
        .value_kind:     global_buffer
      - .actual_access:  read_only
        .address_space:  global
        .offset:         40
        .size:           8
        .value_kind:     global_buffer
      - .actual_access:  read_only
        .address_space:  global
        .offset:         48
        .size:           8
        .value_kind:     global_buffer
      - .actual_access:  read_only
        .address_space:  global
        .offset:         56
        .size:           8
        .value_kind:     global_buffer
      - .actual_access:  read_only
        .address_space:  global
        .offset:         64
        .size:           8
        .value_kind:     global_buffer
      - .actual_access:  read_only
        .address_space:  global
        .offset:         72
        .size:           8
        .value_kind:     global_buffer
      - .offset:         80
        .size:           16
        .value_kind:     by_value
      - .address_space:  global
        .offset:         96
        .size:           8
        .value_kind:     global_buffer
      - .offset:         104
        .size:           4
        .value_kind:     by_value
      - .offset:         108
        .size:           1
        .value_kind:     by_value
    .group_segment_fixed_size: 25088
    .kernarg_segment_align: 8
    .kernarg_segment_size: 112
    .language:       OpenCL C
    .language_version:
      - 2
      - 0
    .max_flat_workgroup_size: 784
    .name:           _ZN9rocsparseL20bsrxmvn_17_32_kernelILj28E21rocsparse_complex_numIdEiidS2_S2_EEvT2_20rocsparse_direction_NS_24const_host_device_scalarIT0_EES3_PKS3_PKT1_SC_S9_PKT3_PKT4_S7_PT5_21rocsparse_index_base_b
    .private_segment_fixed_size: 0
    .sgpr_count:     22
    .sgpr_spill_count: 0
    .symbol:         _ZN9rocsparseL20bsrxmvn_17_32_kernelILj28E21rocsparse_complex_numIdEiidS2_S2_EEvT2_20rocsparse_direction_NS_24const_host_device_scalarIT0_EES3_PKS3_PKT1_SC_S9_PKT3_PKT4_S7_PT5_21rocsparse_index_base_b.kd
    .uniform_work_group_size: 1
    .uses_dynamic_stack: false
    .vgpr_count:     26
    .vgpr_spill_count: 0
    .wavefront_size: 32
    .workgroup_processor_mode: 1
  - .args:
      - .offset:         0
        .size:           4
        .value_kind:     by_value
      - .offset:         4
        .size:           4
        .value_kind:     by_value
      - .offset:         8
        .size:           16
        .value_kind:     by_value
      - .offset:         24
        .size:           4
        .value_kind:     by_value
      - .actual_access:  read_only
        .address_space:  global
        .offset:         32
        .size:           8
        .value_kind:     global_buffer
      - .actual_access:  read_only
        .address_space:  global
        .offset:         40
        .size:           8
        .value_kind:     global_buffer
      - .actual_access:  read_only
        .address_space:  global
        .offset:         48
        .size:           8
        .value_kind:     global_buffer
      - .actual_access:  read_only
        .address_space:  global
        .offset:         56
        .size:           8
        .value_kind:     global_buffer
      - .actual_access:  read_only
        .address_space:  global
        .offset:         64
        .size:           8
        .value_kind:     global_buffer
      - .actual_access:  read_only
        .address_space:  global
        .offset:         72
        .size:           8
        .value_kind:     global_buffer
      - .offset:         80
        .size:           16
        .value_kind:     by_value
      - .address_space:  global
        .offset:         96
        .size:           8
        .value_kind:     global_buffer
      - .offset:         104
        .size:           4
        .value_kind:     by_value
      - .offset:         108
        .size:           1
        .value_kind:     by_value
    .group_segment_fixed_size: 26912
    .kernarg_segment_align: 8
    .kernarg_segment_size: 112
    .language:       OpenCL C
    .language_version:
      - 2
      - 0
    .max_flat_workgroup_size: 841
    .name:           _ZN9rocsparseL20bsrxmvn_17_32_kernelILj29E21rocsparse_complex_numIdEiidS2_S2_EEvT2_20rocsparse_direction_NS_24const_host_device_scalarIT0_EES3_PKS3_PKT1_SC_S9_PKT3_PKT4_S7_PT5_21rocsparse_index_base_b
    .private_segment_fixed_size: 0
    .sgpr_count:     22
    .sgpr_spill_count: 0
    .symbol:         _ZN9rocsparseL20bsrxmvn_17_32_kernelILj29E21rocsparse_complex_numIdEiidS2_S2_EEvT2_20rocsparse_direction_NS_24const_host_device_scalarIT0_EES3_PKS3_PKT1_SC_S9_PKT3_PKT4_S7_PT5_21rocsparse_index_base_b.kd
    .uniform_work_group_size: 1
    .uses_dynamic_stack: false
    .vgpr_count:     26
    .vgpr_spill_count: 0
    .wavefront_size: 32
    .workgroup_processor_mode: 1
  - .args:
      - .offset:         0
        .size:           4
        .value_kind:     by_value
      - .offset:         4
        .size:           4
        .value_kind:     by_value
      - .offset:         8
        .size:           16
        .value_kind:     by_value
      - .offset:         24
        .size:           4
        .value_kind:     by_value
      - .actual_access:  read_only
        .address_space:  global
        .offset:         32
        .size:           8
        .value_kind:     global_buffer
      - .actual_access:  read_only
        .address_space:  global
        .offset:         40
        .size:           8
        .value_kind:     global_buffer
      - .actual_access:  read_only
        .address_space:  global
        .offset:         48
        .size:           8
        .value_kind:     global_buffer
      - .actual_access:  read_only
        .address_space:  global
        .offset:         56
        .size:           8
        .value_kind:     global_buffer
      - .actual_access:  read_only
        .address_space:  global
        .offset:         64
        .size:           8
        .value_kind:     global_buffer
      - .actual_access:  read_only
        .address_space:  global
        .offset:         72
        .size:           8
        .value_kind:     global_buffer
      - .offset:         80
        .size:           16
        .value_kind:     by_value
      - .address_space:  global
        .offset:         96
        .size:           8
        .value_kind:     global_buffer
      - .offset:         104
        .size:           4
        .value_kind:     by_value
      - .offset:         108
        .size:           1
        .value_kind:     by_value
    .group_segment_fixed_size: 28800
    .kernarg_segment_align: 8
    .kernarg_segment_size: 112
    .language:       OpenCL C
    .language_version:
      - 2
      - 0
    .max_flat_workgroup_size: 900
    .name:           _ZN9rocsparseL20bsrxmvn_17_32_kernelILj30E21rocsparse_complex_numIdEiidS2_S2_EEvT2_20rocsparse_direction_NS_24const_host_device_scalarIT0_EES3_PKS3_PKT1_SC_S9_PKT3_PKT4_S7_PT5_21rocsparse_index_base_b
    .private_segment_fixed_size: 0
    .sgpr_count:     22
    .sgpr_spill_count: 0
    .symbol:         _ZN9rocsparseL20bsrxmvn_17_32_kernelILj30E21rocsparse_complex_numIdEiidS2_S2_EEvT2_20rocsparse_direction_NS_24const_host_device_scalarIT0_EES3_PKS3_PKT1_SC_S9_PKT3_PKT4_S7_PT5_21rocsparse_index_base_b.kd
    .uniform_work_group_size: 1
    .uses_dynamic_stack: false
    .vgpr_count:     26
    .vgpr_spill_count: 0
    .wavefront_size: 32
    .workgroup_processor_mode: 1
  - .args:
      - .offset:         0
        .size:           4
        .value_kind:     by_value
      - .offset:         4
        .size:           4
        .value_kind:     by_value
      - .offset:         8
        .size:           16
        .value_kind:     by_value
      - .offset:         24
        .size:           4
        .value_kind:     by_value
      - .actual_access:  read_only
        .address_space:  global
        .offset:         32
        .size:           8
        .value_kind:     global_buffer
      - .actual_access:  read_only
        .address_space:  global
        .offset:         40
        .size:           8
        .value_kind:     global_buffer
      - .actual_access:  read_only
        .address_space:  global
        .offset:         48
        .size:           8
        .value_kind:     global_buffer
      - .actual_access:  read_only
        .address_space:  global
        .offset:         56
        .size:           8
        .value_kind:     global_buffer
      - .actual_access:  read_only
        .address_space:  global
        .offset:         64
        .size:           8
        .value_kind:     global_buffer
      - .actual_access:  read_only
        .address_space:  global
        .offset:         72
        .size:           8
        .value_kind:     global_buffer
      - .offset:         80
        .size:           16
        .value_kind:     by_value
      - .address_space:  global
        .offset:         96
        .size:           8
        .value_kind:     global_buffer
      - .offset:         104
        .size:           4
        .value_kind:     by_value
      - .offset:         108
        .size:           1
        .value_kind:     by_value
    .group_segment_fixed_size: 30752
    .kernarg_segment_align: 8
    .kernarg_segment_size: 112
    .language:       OpenCL C
    .language_version:
      - 2
      - 0
    .max_flat_workgroup_size: 961
    .name:           _ZN9rocsparseL20bsrxmvn_17_32_kernelILj31E21rocsparse_complex_numIdEiidS2_S2_EEvT2_20rocsparse_direction_NS_24const_host_device_scalarIT0_EES3_PKS3_PKT1_SC_S9_PKT3_PKT4_S7_PT5_21rocsparse_index_base_b
    .private_segment_fixed_size: 0
    .sgpr_count:     22
    .sgpr_spill_count: 0
    .symbol:         _ZN9rocsparseL20bsrxmvn_17_32_kernelILj31E21rocsparse_complex_numIdEiidS2_S2_EEvT2_20rocsparse_direction_NS_24const_host_device_scalarIT0_EES3_PKS3_PKT1_SC_S9_PKT3_PKT4_S7_PT5_21rocsparse_index_base_b.kd
    .uniform_work_group_size: 1
    .uses_dynamic_stack: false
    .vgpr_count:     26
    .vgpr_spill_count: 0
    .wavefront_size: 32
    .workgroup_processor_mode: 1
  - .args:
      - .offset:         0
        .size:           4
        .value_kind:     by_value
      - .offset:         4
        .size:           4
        .value_kind:     by_value
      - .offset:         8
        .size:           16
        .value_kind:     by_value
      - .offset:         24
        .size:           4
        .value_kind:     by_value
      - .actual_access:  read_only
        .address_space:  global
        .offset:         32
        .size:           8
        .value_kind:     global_buffer
      - .actual_access:  read_only
        .address_space:  global
        .offset:         40
        .size:           8
        .value_kind:     global_buffer
      - .actual_access:  read_only
        .address_space:  global
        .offset:         48
        .size:           8
        .value_kind:     global_buffer
      - .actual_access:  read_only
        .address_space:  global
        .offset:         56
        .size:           8
        .value_kind:     global_buffer
      - .actual_access:  read_only
        .address_space:  global
        .offset:         64
        .size:           8
        .value_kind:     global_buffer
      - .actual_access:  read_only
        .address_space:  global
        .offset:         72
        .size:           8
        .value_kind:     global_buffer
      - .offset:         80
        .size:           16
        .value_kind:     by_value
      - .address_space:  global
        .offset:         96
        .size:           8
        .value_kind:     global_buffer
      - .offset:         104
        .size:           4
        .value_kind:     by_value
      - .offset:         108
        .size:           1
        .value_kind:     by_value
    .group_segment_fixed_size: 32768
    .kernarg_segment_align: 8
    .kernarg_segment_size: 112
    .language:       OpenCL C
    .language_version:
      - 2
      - 0
    .max_flat_workgroup_size: 1024
    .name:           _ZN9rocsparseL20bsrxmvn_17_32_kernelILj32E21rocsparse_complex_numIdEiidS2_S2_EEvT2_20rocsparse_direction_NS_24const_host_device_scalarIT0_EES3_PKS3_PKT1_SC_S9_PKT3_PKT4_S7_PT5_21rocsparse_index_base_b
    .private_segment_fixed_size: 0
    .sgpr_count:     24
    .sgpr_spill_count: 0
    .symbol:         _ZN9rocsparseL20bsrxmvn_17_32_kernelILj32E21rocsparse_complex_numIdEiidS2_S2_EEvT2_20rocsparse_direction_NS_24const_host_device_scalarIT0_EES3_PKS3_PKT1_SC_S9_PKT3_PKT4_S7_PT5_21rocsparse_index_base_b.kd
    .uniform_work_group_size: 1
    .uses_dynamic_stack: false
    .vgpr_count:     26
    .vgpr_spill_count: 0
    .wavefront_size: 32
    .workgroup_processor_mode: 1
  - .args:
      - .offset:         0
        .size:           4
        .value_kind:     by_value
      - .offset:         4
        .size:           4
        .value_kind:     by_value
      - .offset:         8
        .size:           16
        .value_kind:     by_value
      - .offset:         24
        .size:           4
        .value_kind:     by_value
      - .actual_access:  read_only
        .address_space:  global
        .offset:         32
        .size:           8
        .value_kind:     global_buffer
      - .actual_access:  read_only
        .address_space:  global
        .offset:         40
        .size:           8
        .value_kind:     global_buffer
      - .actual_access:  read_only
        .address_space:  global
        .offset:         48
        .size:           8
        .value_kind:     global_buffer
      - .actual_access:  read_only
        .address_space:  global
        .offset:         56
        .size:           8
        .value_kind:     global_buffer
      - .actual_access:  read_only
        .address_space:  global
        .offset:         64
        .size:           8
        .value_kind:     global_buffer
      - .actual_access:  read_only
        .address_space:  global
        .offset:         72
        .size:           8
        .value_kind:     global_buffer
      - .offset:         80
        .size:           16
        .value_kind:     by_value
      - .address_space:  global
        .offset:         96
        .size:           8
        .value_kind:     global_buffer
      - .offset:         104
        .size:           4
        .value_kind:     by_value
      - .offset:         108
        .size:           1
        .value_kind:     by_value
    .group_segment_fixed_size: 9248
    .kernarg_segment_align: 8
    .kernarg_segment_size: 112
    .language:       OpenCL C
    .language_version:
      - 2
      - 0
    .max_flat_workgroup_size: 289
    .name:           _ZN9rocsparseL20bsrxmvn_17_32_kernelILj17E21rocsparse_complex_numIdElidS2_S2_EEvT2_20rocsparse_direction_NS_24const_host_device_scalarIT0_EES3_PKS3_PKT1_SC_S9_PKT3_PKT4_S7_PT5_21rocsparse_index_base_b
    .private_segment_fixed_size: 0
    .sgpr_count:     23
    .sgpr_spill_count: 0
    .symbol:         _ZN9rocsparseL20bsrxmvn_17_32_kernelILj17E21rocsparse_complex_numIdElidS2_S2_EEvT2_20rocsparse_direction_NS_24const_host_device_scalarIT0_EES3_PKS3_PKT1_SC_S9_PKT3_PKT4_S7_PT5_21rocsparse_index_base_b.kd
    .uniform_work_group_size: 1
    .uses_dynamic_stack: false
    .vgpr_count:     26
    .vgpr_spill_count: 0
    .wavefront_size: 32
    .workgroup_processor_mode: 1
  - .args:
      - .offset:         0
        .size:           4
        .value_kind:     by_value
      - .offset:         4
        .size:           4
        .value_kind:     by_value
      - .offset:         8
        .size:           16
        .value_kind:     by_value
      - .offset:         24
        .size:           4
        .value_kind:     by_value
      - .actual_access:  read_only
        .address_space:  global
        .offset:         32
        .size:           8
        .value_kind:     global_buffer
      - .actual_access:  read_only
        .address_space:  global
        .offset:         40
        .size:           8
        .value_kind:     global_buffer
      - .actual_access:  read_only
        .address_space:  global
        .offset:         48
        .size:           8
        .value_kind:     global_buffer
      - .actual_access:  read_only
        .address_space:  global
        .offset:         56
        .size:           8
        .value_kind:     global_buffer
      - .actual_access:  read_only
        .address_space:  global
        .offset:         64
        .size:           8
        .value_kind:     global_buffer
      - .actual_access:  read_only
        .address_space:  global
        .offset:         72
        .size:           8
        .value_kind:     global_buffer
      - .offset:         80
        .size:           16
        .value_kind:     by_value
      - .address_space:  global
        .offset:         96
        .size:           8
        .value_kind:     global_buffer
      - .offset:         104
        .size:           4
        .value_kind:     by_value
      - .offset:         108
        .size:           1
        .value_kind:     by_value
    .group_segment_fixed_size: 10368
    .kernarg_segment_align: 8
    .kernarg_segment_size: 112
    .language:       OpenCL C
    .language_version:
      - 2
      - 0
    .max_flat_workgroup_size: 324
    .name:           _ZN9rocsparseL20bsrxmvn_17_32_kernelILj18E21rocsparse_complex_numIdElidS2_S2_EEvT2_20rocsparse_direction_NS_24const_host_device_scalarIT0_EES3_PKS3_PKT1_SC_S9_PKT3_PKT4_S7_PT5_21rocsparse_index_base_b
    .private_segment_fixed_size: 0
    .sgpr_count:     23
    .sgpr_spill_count: 0
    .symbol:         _ZN9rocsparseL20bsrxmvn_17_32_kernelILj18E21rocsparse_complex_numIdElidS2_S2_EEvT2_20rocsparse_direction_NS_24const_host_device_scalarIT0_EES3_PKS3_PKT1_SC_S9_PKT3_PKT4_S7_PT5_21rocsparse_index_base_b.kd
    .uniform_work_group_size: 1
    .uses_dynamic_stack: false
    .vgpr_count:     26
    .vgpr_spill_count: 0
    .wavefront_size: 32
    .workgroup_processor_mode: 1
  - .args:
      - .offset:         0
        .size:           4
        .value_kind:     by_value
      - .offset:         4
        .size:           4
        .value_kind:     by_value
      - .offset:         8
        .size:           16
        .value_kind:     by_value
      - .offset:         24
        .size:           4
        .value_kind:     by_value
      - .actual_access:  read_only
        .address_space:  global
        .offset:         32
        .size:           8
        .value_kind:     global_buffer
      - .actual_access:  read_only
        .address_space:  global
        .offset:         40
        .size:           8
        .value_kind:     global_buffer
      - .actual_access:  read_only
        .address_space:  global
        .offset:         48
        .size:           8
        .value_kind:     global_buffer
      - .actual_access:  read_only
        .address_space:  global
        .offset:         56
        .size:           8
        .value_kind:     global_buffer
      - .actual_access:  read_only
        .address_space:  global
        .offset:         64
        .size:           8
        .value_kind:     global_buffer
      - .actual_access:  read_only
        .address_space:  global
        .offset:         72
        .size:           8
        .value_kind:     global_buffer
      - .offset:         80
        .size:           16
        .value_kind:     by_value
      - .address_space:  global
        .offset:         96
        .size:           8
        .value_kind:     global_buffer
      - .offset:         104
        .size:           4
        .value_kind:     by_value
      - .offset:         108
        .size:           1
        .value_kind:     by_value
    .group_segment_fixed_size: 11552
    .kernarg_segment_align: 8
    .kernarg_segment_size: 112
    .language:       OpenCL C
    .language_version:
      - 2
      - 0
    .max_flat_workgroup_size: 361
    .name:           _ZN9rocsparseL20bsrxmvn_17_32_kernelILj19E21rocsparse_complex_numIdElidS2_S2_EEvT2_20rocsparse_direction_NS_24const_host_device_scalarIT0_EES3_PKS3_PKT1_SC_S9_PKT3_PKT4_S7_PT5_21rocsparse_index_base_b
    .private_segment_fixed_size: 0
    .sgpr_count:     23
    .sgpr_spill_count: 0
    .symbol:         _ZN9rocsparseL20bsrxmvn_17_32_kernelILj19E21rocsparse_complex_numIdElidS2_S2_EEvT2_20rocsparse_direction_NS_24const_host_device_scalarIT0_EES3_PKS3_PKT1_SC_S9_PKT3_PKT4_S7_PT5_21rocsparse_index_base_b.kd
    .uniform_work_group_size: 1
    .uses_dynamic_stack: false
    .vgpr_count:     26
    .vgpr_spill_count: 0
    .wavefront_size: 32
    .workgroup_processor_mode: 1
  - .args:
      - .offset:         0
        .size:           4
        .value_kind:     by_value
      - .offset:         4
        .size:           4
        .value_kind:     by_value
      - .offset:         8
        .size:           16
        .value_kind:     by_value
      - .offset:         24
        .size:           4
        .value_kind:     by_value
      - .actual_access:  read_only
        .address_space:  global
        .offset:         32
        .size:           8
        .value_kind:     global_buffer
      - .actual_access:  read_only
        .address_space:  global
        .offset:         40
        .size:           8
        .value_kind:     global_buffer
      - .actual_access:  read_only
        .address_space:  global
        .offset:         48
        .size:           8
        .value_kind:     global_buffer
      - .actual_access:  read_only
        .address_space:  global
        .offset:         56
        .size:           8
        .value_kind:     global_buffer
      - .actual_access:  read_only
        .address_space:  global
        .offset:         64
        .size:           8
        .value_kind:     global_buffer
      - .actual_access:  read_only
        .address_space:  global
        .offset:         72
        .size:           8
        .value_kind:     global_buffer
      - .offset:         80
        .size:           16
        .value_kind:     by_value
      - .address_space:  global
        .offset:         96
        .size:           8
        .value_kind:     global_buffer
      - .offset:         104
        .size:           4
        .value_kind:     by_value
      - .offset:         108
        .size:           1
        .value_kind:     by_value
    .group_segment_fixed_size: 12800
    .kernarg_segment_align: 8
    .kernarg_segment_size: 112
    .language:       OpenCL C
    .language_version:
      - 2
      - 0
    .max_flat_workgroup_size: 400
    .name:           _ZN9rocsparseL20bsrxmvn_17_32_kernelILj20E21rocsparse_complex_numIdElidS2_S2_EEvT2_20rocsparse_direction_NS_24const_host_device_scalarIT0_EES3_PKS3_PKT1_SC_S9_PKT3_PKT4_S7_PT5_21rocsparse_index_base_b
    .private_segment_fixed_size: 0
    .sgpr_count:     23
    .sgpr_spill_count: 0
    .symbol:         _ZN9rocsparseL20bsrxmvn_17_32_kernelILj20E21rocsparse_complex_numIdElidS2_S2_EEvT2_20rocsparse_direction_NS_24const_host_device_scalarIT0_EES3_PKS3_PKT1_SC_S9_PKT3_PKT4_S7_PT5_21rocsparse_index_base_b.kd
    .uniform_work_group_size: 1
    .uses_dynamic_stack: false
    .vgpr_count:     26
    .vgpr_spill_count: 0
    .wavefront_size: 32
    .workgroup_processor_mode: 1
  - .args:
      - .offset:         0
        .size:           4
        .value_kind:     by_value
      - .offset:         4
        .size:           4
        .value_kind:     by_value
      - .offset:         8
        .size:           16
        .value_kind:     by_value
      - .offset:         24
        .size:           4
        .value_kind:     by_value
      - .actual_access:  read_only
        .address_space:  global
        .offset:         32
        .size:           8
        .value_kind:     global_buffer
      - .actual_access:  read_only
        .address_space:  global
        .offset:         40
        .size:           8
        .value_kind:     global_buffer
      - .actual_access:  read_only
        .address_space:  global
        .offset:         48
        .size:           8
        .value_kind:     global_buffer
      - .actual_access:  read_only
        .address_space:  global
        .offset:         56
        .size:           8
        .value_kind:     global_buffer
      - .actual_access:  read_only
        .address_space:  global
        .offset:         64
        .size:           8
        .value_kind:     global_buffer
      - .actual_access:  read_only
        .address_space:  global
        .offset:         72
        .size:           8
        .value_kind:     global_buffer
      - .offset:         80
        .size:           16
        .value_kind:     by_value
      - .address_space:  global
        .offset:         96
        .size:           8
        .value_kind:     global_buffer
      - .offset:         104
        .size:           4
        .value_kind:     by_value
      - .offset:         108
        .size:           1
        .value_kind:     by_value
    .group_segment_fixed_size: 14112
    .kernarg_segment_align: 8
    .kernarg_segment_size: 112
    .language:       OpenCL C
    .language_version:
      - 2
      - 0
    .max_flat_workgroup_size: 441
    .name:           _ZN9rocsparseL20bsrxmvn_17_32_kernelILj21E21rocsparse_complex_numIdElidS2_S2_EEvT2_20rocsparse_direction_NS_24const_host_device_scalarIT0_EES3_PKS3_PKT1_SC_S9_PKT3_PKT4_S7_PT5_21rocsparse_index_base_b
    .private_segment_fixed_size: 0
    .sgpr_count:     23
    .sgpr_spill_count: 0
    .symbol:         _ZN9rocsparseL20bsrxmvn_17_32_kernelILj21E21rocsparse_complex_numIdElidS2_S2_EEvT2_20rocsparse_direction_NS_24const_host_device_scalarIT0_EES3_PKS3_PKT1_SC_S9_PKT3_PKT4_S7_PT5_21rocsparse_index_base_b.kd
    .uniform_work_group_size: 1
    .uses_dynamic_stack: false
    .vgpr_count:     26
    .vgpr_spill_count: 0
    .wavefront_size: 32
    .workgroup_processor_mode: 1
  - .args:
      - .offset:         0
        .size:           4
        .value_kind:     by_value
      - .offset:         4
        .size:           4
        .value_kind:     by_value
      - .offset:         8
        .size:           16
        .value_kind:     by_value
      - .offset:         24
        .size:           4
        .value_kind:     by_value
      - .actual_access:  read_only
        .address_space:  global
        .offset:         32
        .size:           8
        .value_kind:     global_buffer
      - .actual_access:  read_only
        .address_space:  global
        .offset:         40
        .size:           8
        .value_kind:     global_buffer
      - .actual_access:  read_only
        .address_space:  global
        .offset:         48
        .size:           8
        .value_kind:     global_buffer
      - .actual_access:  read_only
        .address_space:  global
        .offset:         56
        .size:           8
        .value_kind:     global_buffer
      - .actual_access:  read_only
        .address_space:  global
        .offset:         64
        .size:           8
        .value_kind:     global_buffer
      - .actual_access:  read_only
        .address_space:  global
        .offset:         72
        .size:           8
        .value_kind:     global_buffer
      - .offset:         80
        .size:           16
        .value_kind:     by_value
      - .address_space:  global
        .offset:         96
        .size:           8
        .value_kind:     global_buffer
      - .offset:         104
        .size:           4
        .value_kind:     by_value
      - .offset:         108
        .size:           1
        .value_kind:     by_value
    .group_segment_fixed_size: 15488
    .kernarg_segment_align: 8
    .kernarg_segment_size: 112
    .language:       OpenCL C
    .language_version:
      - 2
      - 0
    .max_flat_workgroup_size: 484
    .name:           _ZN9rocsparseL20bsrxmvn_17_32_kernelILj22E21rocsparse_complex_numIdElidS2_S2_EEvT2_20rocsparse_direction_NS_24const_host_device_scalarIT0_EES3_PKS3_PKT1_SC_S9_PKT3_PKT4_S7_PT5_21rocsparse_index_base_b
    .private_segment_fixed_size: 0
    .sgpr_count:     23
    .sgpr_spill_count: 0
    .symbol:         _ZN9rocsparseL20bsrxmvn_17_32_kernelILj22E21rocsparse_complex_numIdElidS2_S2_EEvT2_20rocsparse_direction_NS_24const_host_device_scalarIT0_EES3_PKS3_PKT1_SC_S9_PKT3_PKT4_S7_PT5_21rocsparse_index_base_b.kd
    .uniform_work_group_size: 1
    .uses_dynamic_stack: false
    .vgpr_count:     26
    .vgpr_spill_count: 0
    .wavefront_size: 32
    .workgroup_processor_mode: 1
  - .args:
      - .offset:         0
        .size:           4
        .value_kind:     by_value
      - .offset:         4
        .size:           4
        .value_kind:     by_value
      - .offset:         8
        .size:           16
        .value_kind:     by_value
      - .offset:         24
        .size:           4
        .value_kind:     by_value
      - .actual_access:  read_only
        .address_space:  global
        .offset:         32
        .size:           8
        .value_kind:     global_buffer
      - .actual_access:  read_only
        .address_space:  global
        .offset:         40
        .size:           8
        .value_kind:     global_buffer
      - .actual_access:  read_only
        .address_space:  global
        .offset:         48
        .size:           8
        .value_kind:     global_buffer
      - .actual_access:  read_only
        .address_space:  global
        .offset:         56
        .size:           8
        .value_kind:     global_buffer
      - .actual_access:  read_only
        .address_space:  global
        .offset:         64
        .size:           8
        .value_kind:     global_buffer
      - .actual_access:  read_only
        .address_space:  global
        .offset:         72
        .size:           8
        .value_kind:     global_buffer
      - .offset:         80
        .size:           16
        .value_kind:     by_value
      - .address_space:  global
        .offset:         96
        .size:           8
        .value_kind:     global_buffer
      - .offset:         104
        .size:           4
        .value_kind:     by_value
      - .offset:         108
        .size:           1
        .value_kind:     by_value
    .group_segment_fixed_size: 16928
    .kernarg_segment_align: 8
    .kernarg_segment_size: 112
    .language:       OpenCL C
    .language_version:
      - 2
      - 0
    .max_flat_workgroup_size: 529
    .name:           _ZN9rocsparseL20bsrxmvn_17_32_kernelILj23E21rocsparse_complex_numIdElidS2_S2_EEvT2_20rocsparse_direction_NS_24const_host_device_scalarIT0_EES3_PKS3_PKT1_SC_S9_PKT3_PKT4_S7_PT5_21rocsparse_index_base_b
    .private_segment_fixed_size: 0
    .sgpr_count:     24
    .sgpr_spill_count: 0
    .symbol:         _ZN9rocsparseL20bsrxmvn_17_32_kernelILj23E21rocsparse_complex_numIdElidS2_S2_EEvT2_20rocsparse_direction_NS_24const_host_device_scalarIT0_EES3_PKS3_PKT1_SC_S9_PKT3_PKT4_S7_PT5_21rocsparse_index_base_b.kd
    .uniform_work_group_size: 1
    .uses_dynamic_stack: false
    .vgpr_count:     26
    .vgpr_spill_count: 0
    .wavefront_size: 32
    .workgroup_processor_mode: 1
  - .args:
      - .offset:         0
        .size:           4
        .value_kind:     by_value
      - .offset:         4
        .size:           4
        .value_kind:     by_value
      - .offset:         8
        .size:           16
        .value_kind:     by_value
      - .offset:         24
        .size:           4
        .value_kind:     by_value
      - .actual_access:  read_only
        .address_space:  global
        .offset:         32
        .size:           8
        .value_kind:     global_buffer
      - .actual_access:  read_only
        .address_space:  global
        .offset:         40
        .size:           8
        .value_kind:     global_buffer
      - .actual_access:  read_only
        .address_space:  global
        .offset:         48
        .size:           8
        .value_kind:     global_buffer
      - .actual_access:  read_only
        .address_space:  global
        .offset:         56
        .size:           8
        .value_kind:     global_buffer
      - .actual_access:  read_only
        .address_space:  global
        .offset:         64
        .size:           8
        .value_kind:     global_buffer
      - .actual_access:  read_only
        .address_space:  global
        .offset:         72
        .size:           8
        .value_kind:     global_buffer
      - .offset:         80
        .size:           16
        .value_kind:     by_value
      - .address_space:  global
        .offset:         96
        .size:           8
        .value_kind:     global_buffer
      - .offset:         104
        .size:           4
        .value_kind:     by_value
      - .offset:         108
        .size:           1
        .value_kind:     by_value
    .group_segment_fixed_size: 18432
    .kernarg_segment_align: 8
    .kernarg_segment_size: 112
    .language:       OpenCL C
    .language_version:
      - 2
      - 0
    .max_flat_workgroup_size: 576
    .name:           _ZN9rocsparseL20bsrxmvn_17_32_kernelILj24E21rocsparse_complex_numIdElidS2_S2_EEvT2_20rocsparse_direction_NS_24const_host_device_scalarIT0_EES3_PKS3_PKT1_SC_S9_PKT3_PKT4_S7_PT5_21rocsparse_index_base_b
    .private_segment_fixed_size: 0
    .sgpr_count:     24
    .sgpr_spill_count: 0
    .symbol:         _ZN9rocsparseL20bsrxmvn_17_32_kernelILj24E21rocsparse_complex_numIdElidS2_S2_EEvT2_20rocsparse_direction_NS_24const_host_device_scalarIT0_EES3_PKS3_PKT1_SC_S9_PKT3_PKT4_S7_PT5_21rocsparse_index_base_b.kd
    .uniform_work_group_size: 1
    .uses_dynamic_stack: false
    .vgpr_count:     26
    .vgpr_spill_count: 0
    .wavefront_size: 32
    .workgroup_processor_mode: 1
  - .args:
      - .offset:         0
        .size:           4
        .value_kind:     by_value
      - .offset:         4
        .size:           4
        .value_kind:     by_value
      - .offset:         8
        .size:           16
        .value_kind:     by_value
      - .offset:         24
        .size:           4
        .value_kind:     by_value
      - .actual_access:  read_only
        .address_space:  global
        .offset:         32
        .size:           8
        .value_kind:     global_buffer
      - .actual_access:  read_only
        .address_space:  global
        .offset:         40
        .size:           8
        .value_kind:     global_buffer
      - .actual_access:  read_only
        .address_space:  global
        .offset:         48
        .size:           8
        .value_kind:     global_buffer
      - .actual_access:  read_only
        .address_space:  global
        .offset:         56
        .size:           8
        .value_kind:     global_buffer
      - .actual_access:  read_only
        .address_space:  global
        .offset:         64
        .size:           8
        .value_kind:     global_buffer
      - .actual_access:  read_only
        .address_space:  global
        .offset:         72
        .size:           8
        .value_kind:     global_buffer
      - .offset:         80
        .size:           16
        .value_kind:     by_value
      - .address_space:  global
        .offset:         96
        .size:           8
        .value_kind:     global_buffer
      - .offset:         104
        .size:           4
        .value_kind:     by_value
      - .offset:         108
        .size:           1
        .value_kind:     by_value
    .group_segment_fixed_size: 20000
    .kernarg_segment_align: 8
    .kernarg_segment_size: 112
    .language:       OpenCL C
    .language_version:
      - 2
      - 0
    .max_flat_workgroup_size: 625
    .name:           _ZN9rocsparseL20bsrxmvn_17_32_kernelILj25E21rocsparse_complex_numIdElidS2_S2_EEvT2_20rocsparse_direction_NS_24const_host_device_scalarIT0_EES3_PKS3_PKT1_SC_S9_PKT3_PKT4_S7_PT5_21rocsparse_index_base_b
    .private_segment_fixed_size: 0
    .sgpr_count:     24
    .sgpr_spill_count: 0
    .symbol:         _ZN9rocsparseL20bsrxmvn_17_32_kernelILj25E21rocsparse_complex_numIdElidS2_S2_EEvT2_20rocsparse_direction_NS_24const_host_device_scalarIT0_EES3_PKS3_PKT1_SC_S9_PKT3_PKT4_S7_PT5_21rocsparse_index_base_b.kd
    .uniform_work_group_size: 1
    .uses_dynamic_stack: false
    .vgpr_count:     26
    .vgpr_spill_count: 0
    .wavefront_size: 32
    .workgroup_processor_mode: 1
  - .args:
      - .offset:         0
        .size:           4
        .value_kind:     by_value
      - .offset:         4
        .size:           4
        .value_kind:     by_value
      - .offset:         8
        .size:           16
        .value_kind:     by_value
      - .offset:         24
        .size:           4
        .value_kind:     by_value
      - .actual_access:  read_only
        .address_space:  global
        .offset:         32
        .size:           8
        .value_kind:     global_buffer
      - .actual_access:  read_only
        .address_space:  global
        .offset:         40
        .size:           8
        .value_kind:     global_buffer
      - .actual_access:  read_only
        .address_space:  global
        .offset:         48
        .size:           8
        .value_kind:     global_buffer
      - .actual_access:  read_only
        .address_space:  global
        .offset:         56
        .size:           8
        .value_kind:     global_buffer
      - .actual_access:  read_only
        .address_space:  global
        .offset:         64
        .size:           8
        .value_kind:     global_buffer
      - .actual_access:  read_only
        .address_space:  global
        .offset:         72
        .size:           8
        .value_kind:     global_buffer
      - .offset:         80
        .size:           16
        .value_kind:     by_value
      - .address_space:  global
        .offset:         96
        .size:           8
        .value_kind:     global_buffer
      - .offset:         104
        .size:           4
        .value_kind:     by_value
      - .offset:         108
        .size:           1
        .value_kind:     by_value
    .group_segment_fixed_size: 21632
    .kernarg_segment_align: 8
    .kernarg_segment_size: 112
    .language:       OpenCL C
    .language_version:
      - 2
      - 0
    .max_flat_workgroup_size: 676
    .name:           _ZN9rocsparseL20bsrxmvn_17_32_kernelILj26E21rocsparse_complex_numIdElidS2_S2_EEvT2_20rocsparse_direction_NS_24const_host_device_scalarIT0_EES3_PKS3_PKT1_SC_S9_PKT3_PKT4_S7_PT5_21rocsparse_index_base_b
    .private_segment_fixed_size: 0
    .sgpr_count:     24
    .sgpr_spill_count: 0
    .symbol:         _ZN9rocsparseL20bsrxmvn_17_32_kernelILj26E21rocsparse_complex_numIdElidS2_S2_EEvT2_20rocsparse_direction_NS_24const_host_device_scalarIT0_EES3_PKS3_PKT1_SC_S9_PKT3_PKT4_S7_PT5_21rocsparse_index_base_b.kd
    .uniform_work_group_size: 1
    .uses_dynamic_stack: false
    .vgpr_count:     26
    .vgpr_spill_count: 0
    .wavefront_size: 32
    .workgroup_processor_mode: 1
  - .args:
      - .offset:         0
        .size:           4
        .value_kind:     by_value
      - .offset:         4
        .size:           4
        .value_kind:     by_value
      - .offset:         8
        .size:           16
        .value_kind:     by_value
      - .offset:         24
        .size:           4
        .value_kind:     by_value
      - .actual_access:  read_only
        .address_space:  global
        .offset:         32
        .size:           8
        .value_kind:     global_buffer
      - .actual_access:  read_only
        .address_space:  global
        .offset:         40
        .size:           8
        .value_kind:     global_buffer
      - .actual_access:  read_only
        .address_space:  global
        .offset:         48
        .size:           8
        .value_kind:     global_buffer
      - .actual_access:  read_only
        .address_space:  global
        .offset:         56
        .size:           8
        .value_kind:     global_buffer
      - .actual_access:  read_only
        .address_space:  global
        .offset:         64
        .size:           8
        .value_kind:     global_buffer
      - .actual_access:  read_only
        .address_space:  global
        .offset:         72
        .size:           8
        .value_kind:     global_buffer
      - .offset:         80
        .size:           16
        .value_kind:     by_value
      - .address_space:  global
        .offset:         96
        .size:           8
        .value_kind:     global_buffer
      - .offset:         104
        .size:           4
        .value_kind:     by_value
      - .offset:         108
        .size:           1
        .value_kind:     by_value
    .group_segment_fixed_size: 23328
    .kernarg_segment_align: 8
    .kernarg_segment_size: 112
    .language:       OpenCL C
    .language_version:
      - 2
      - 0
    .max_flat_workgroup_size: 729
    .name:           _ZN9rocsparseL20bsrxmvn_17_32_kernelILj27E21rocsparse_complex_numIdElidS2_S2_EEvT2_20rocsparse_direction_NS_24const_host_device_scalarIT0_EES3_PKS3_PKT1_SC_S9_PKT3_PKT4_S7_PT5_21rocsparse_index_base_b
    .private_segment_fixed_size: 0
    .sgpr_count:     24
    .sgpr_spill_count: 0
    .symbol:         _ZN9rocsparseL20bsrxmvn_17_32_kernelILj27E21rocsparse_complex_numIdElidS2_S2_EEvT2_20rocsparse_direction_NS_24const_host_device_scalarIT0_EES3_PKS3_PKT1_SC_S9_PKT3_PKT4_S7_PT5_21rocsparse_index_base_b.kd
    .uniform_work_group_size: 1
    .uses_dynamic_stack: false
    .vgpr_count:     26
    .vgpr_spill_count: 0
    .wavefront_size: 32
    .workgroup_processor_mode: 1
  - .args:
      - .offset:         0
        .size:           4
        .value_kind:     by_value
      - .offset:         4
        .size:           4
        .value_kind:     by_value
      - .offset:         8
        .size:           16
        .value_kind:     by_value
      - .offset:         24
        .size:           4
        .value_kind:     by_value
      - .actual_access:  read_only
        .address_space:  global
        .offset:         32
        .size:           8
        .value_kind:     global_buffer
      - .actual_access:  read_only
        .address_space:  global
        .offset:         40
        .size:           8
        .value_kind:     global_buffer
      - .actual_access:  read_only
        .address_space:  global
        .offset:         48
        .size:           8
        .value_kind:     global_buffer
      - .actual_access:  read_only
        .address_space:  global
        .offset:         56
        .size:           8
        .value_kind:     global_buffer
      - .actual_access:  read_only
        .address_space:  global
        .offset:         64
        .size:           8
        .value_kind:     global_buffer
      - .actual_access:  read_only
        .address_space:  global
        .offset:         72
        .size:           8
        .value_kind:     global_buffer
      - .offset:         80
        .size:           16
        .value_kind:     by_value
      - .address_space:  global
        .offset:         96
        .size:           8
        .value_kind:     global_buffer
      - .offset:         104
        .size:           4
        .value_kind:     by_value
      - .offset:         108
        .size:           1
        .value_kind:     by_value
    .group_segment_fixed_size: 25088
    .kernarg_segment_align: 8
    .kernarg_segment_size: 112
    .language:       OpenCL C
    .language_version:
      - 2
      - 0
    .max_flat_workgroup_size: 784
    .name:           _ZN9rocsparseL20bsrxmvn_17_32_kernelILj28E21rocsparse_complex_numIdElidS2_S2_EEvT2_20rocsparse_direction_NS_24const_host_device_scalarIT0_EES3_PKS3_PKT1_SC_S9_PKT3_PKT4_S7_PT5_21rocsparse_index_base_b
    .private_segment_fixed_size: 0
    .sgpr_count:     24
    .sgpr_spill_count: 0
    .symbol:         _ZN9rocsparseL20bsrxmvn_17_32_kernelILj28E21rocsparse_complex_numIdElidS2_S2_EEvT2_20rocsparse_direction_NS_24const_host_device_scalarIT0_EES3_PKS3_PKT1_SC_S9_PKT3_PKT4_S7_PT5_21rocsparse_index_base_b.kd
    .uniform_work_group_size: 1
    .uses_dynamic_stack: false
    .vgpr_count:     26
    .vgpr_spill_count: 0
    .wavefront_size: 32
    .workgroup_processor_mode: 1
  - .args:
      - .offset:         0
        .size:           4
        .value_kind:     by_value
      - .offset:         4
        .size:           4
        .value_kind:     by_value
      - .offset:         8
        .size:           16
        .value_kind:     by_value
      - .offset:         24
        .size:           4
        .value_kind:     by_value
      - .actual_access:  read_only
        .address_space:  global
        .offset:         32
        .size:           8
        .value_kind:     global_buffer
      - .actual_access:  read_only
        .address_space:  global
        .offset:         40
        .size:           8
        .value_kind:     global_buffer
      - .actual_access:  read_only
        .address_space:  global
        .offset:         48
        .size:           8
        .value_kind:     global_buffer
      - .actual_access:  read_only
        .address_space:  global
        .offset:         56
        .size:           8
        .value_kind:     global_buffer
      - .actual_access:  read_only
        .address_space:  global
        .offset:         64
        .size:           8
        .value_kind:     global_buffer
      - .actual_access:  read_only
        .address_space:  global
        .offset:         72
        .size:           8
        .value_kind:     global_buffer
      - .offset:         80
        .size:           16
        .value_kind:     by_value
      - .address_space:  global
        .offset:         96
        .size:           8
        .value_kind:     global_buffer
      - .offset:         104
        .size:           4
        .value_kind:     by_value
      - .offset:         108
        .size:           1
        .value_kind:     by_value
    .group_segment_fixed_size: 26912
    .kernarg_segment_align: 8
    .kernarg_segment_size: 112
    .language:       OpenCL C
    .language_version:
      - 2
      - 0
    .max_flat_workgroup_size: 841
    .name:           _ZN9rocsparseL20bsrxmvn_17_32_kernelILj29E21rocsparse_complex_numIdElidS2_S2_EEvT2_20rocsparse_direction_NS_24const_host_device_scalarIT0_EES3_PKS3_PKT1_SC_S9_PKT3_PKT4_S7_PT5_21rocsparse_index_base_b
    .private_segment_fixed_size: 0
    .sgpr_count:     24
    .sgpr_spill_count: 0
    .symbol:         _ZN9rocsparseL20bsrxmvn_17_32_kernelILj29E21rocsparse_complex_numIdElidS2_S2_EEvT2_20rocsparse_direction_NS_24const_host_device_scalarIT0_EES3_PKS3_PKT1_SC_S9_PKT3_PKT4_S7_PT5_21rocsparse_index_base_b.kd
    .uniform_work_group_size: 1
    .uses_dynamic_stack: false
    .vgpr_count:     26
    .vgpr_spill_count: 0
    .wavefront_size: 32
    .workgroup_processor_mode: 1
  - .args:
      - .offset:         0
        .size:           4
        .value_kind:     by_value
      - .offset:         4
        .size:           4
        .value_kind:     by_value
      - .offset:         8
        .size:           16
        .value_kind:     by_value
      - .offset:         24
        .size:           4
        .value_kind:     by_value
      - .actual_access:  read_only
        .address_space:  global
        .offset:         32
        .size:           8
        .value_kind:     global_buffer
      - .actual_access:  read_only
        .address_space:  global
        .offset:         40
        .size:           8
        .value_kind:     global_buffer
      - .actual_access:  read_only
        .address_space:  global
        .offset:         48
        .size:           8
        .value_kind:     global_buffer
      - .actual_access:  read_only
        .address_space:  global
        .offset:         56
        .size:           8
        .value_kind:     global_buffer
      - .actual_access:  read_only
        .address_space:  global
        .offset:         64
        .size:           8
        .value_kind:     global_buffer
      - .actual_access:  read_only
        .address_space:  global
        .offset:         72
        .size:           8
        .value_kind:     global_buffer
      - .offset:         80
        .size:           16
        .value_kind:     by_value
      - .address_space:  global
        .offset:         96
        .size:           8
        .value_kind:     global_buffer
      - .offset:         104
        .size:           4
        .value_kind:     by_value
      - .offset:         108
        .size:           1
        .value_kind:     by_value
    .group_segment_fixed_size: 28800
    .kernarg_segment_align: 8
    .kernarg_segment_size: 112
    .language:       OpenCL C
    .language_version:
      - 2
      - 0
    .max_flat_workgroup_size: 900
    .name:           _ZN9rocsparseL20bsrxmvn_17_32_kernelILj30E21rocsparse_complex_numIdElidS2_S2_EEvT2_20rocsparse_direction_NS_24const_host_device_scalarIT0_EES3_PKS3_PKT1_SC_S9_PKT3_PKT4_S7_PT5_21rocsparse_index_base_b
    .private_segment_fixed_size: 0
    .sgpr_count:     24
    .sgpr_spill_count: 0
    .symbol:         _ZN9rocsparseL20bsrxmvn_17_32_kernelILj30E21rocsparse_complex_numIdElidS2_S2_EEvT2_20rocsparse_direction_NS_24const_host_device_scalarIT0_EES3_PKS3_PKT1_SC_S9_PKT3_PKT4_S7_PT5_21rocsparse_index_base_b.kd
    .uniform_work_group_size: 1
    .uses_dynamic_stack: false
    .vgpr_count:     26
    .vgpr_spill_count: 0
    .wavefront_size: 32
    .workgroup_processor_mode: 1
  - .args:
      - .offset:         0
        .size:           4
        .value_kind:     by_value
      - .offset:         4
        .size:           4
        .value_kind:     by_value
      - .offset:         8
        .size:           16
        .value_kind:     by_value
      - .offset:         24
        .size:           4
        .value_kind:     by_value
      - .actual_access:  read_only
        .address_space:  global
        .offset:         32
        .size:           8
        .value_kind:     global_buffer
      - .actual_access:  read_only
        .address_space:  global
        .offset:         40
        .size:           8
        .value_kind:     global_buffer
      - .actual_access:  read_only
        .address_space:  global
        .offset:         48
        .size:           8
        .value_kind:     global_buffer
      - .actual_access:  read_only
        .address_space:  global
        .offset:         56
        .size:           8
        .value_kind:     global_buffer
      - .actual_access:  read_only
        .address_space:  global
        .offset:         64
        .size:           8
        .value_kind:     global_buffer
      - .actual_access:  read_only
        .address_space:  global
        .offset:         72
        .size:           8
        .value_kind:     global_buffer
      - .offset:         80
        .size:           16
        .value_kind:     by_value
      - .address_space:  global
        .offset:         96
        .size:           8
        .value_kind:     global_buffer
      - .offset:         104
        .size:           4
        .value_kind:     by_value
      - .offset:         108
        .size:           1
        .value_kind:     by_value
    .group_segment_fixed_size: 30752
    .kernarg_segment_align: 8
    .kernarg_segment_size: 112
    .language:       OpenCL C
    .language_version:
      - 2
      - 0
    .max_flat_workgroup_size: 961
    .name:           _ZN9rocsparseL20bsrxmvn_17_32_kernelILj31E21rocsparse_complex_numIdElidS2_S2_EEvT2_20rocsparse_direction_NS_24const_host_device_scalarIT0_EES3_PKS3_PKT1_SC_S9_PKT3_PKT4_S7_PT5_21rocsparse_index_base_b
    .private_segment_fixed_size: 0
    .sgpr_count:     24
    .sgpr_spill_count: 0
    .symbol:         _ZN9rocsparseL20bsrxmvn_17_32_kernelILj31E21rocsparse_complex_numIdElidS2_S2_EEvT2_20rocsparse_direction_NS_24const_host_device_scalarIT0_EES3_PKS3_PKT1_SC_S9_PKT3_PKT4_S7_PT5_21rocsparse_index_base_b.kd
    .uniform_work_group_size: 1
    .uses_dynamic_stack: false
    .vgpr_count:     26
    .vgpr_spill_count: 0
    .wavefront_size: 32
    .workgroup_processor_mode: 1
  - .args:
      - .offset:         0
        .size:           4
        .value_kind:     by_value
      - .offset:         4
        .size:           4
        .value_kind:     by_value
      - .offset:         8
        .size:           16
        .value_kind:     by_value
      - .offset:         24
        .size:           4
        .value_kind:     by_value
      - .actual_access:  read_only
        .address_space:  global
        .offset:         32
        .size:           8
        .value_kind:     global_buffer
      - .actual_access:  read_only
        .address_space:  global
        .offset:         40
        .size:           8
        .value_kind:     global_buffer
      - .actual_access:  read_only
        .address_space:  global
        .offset:         48
        .size:           8
        .value_kind:     global_buffer
      - .actual_access:  read_only
        .address_space:  global
        .offset:         56
        .size:           8
        .value_kind:     global_buffer
      - .actual_access:  read_only
        .address_space:  global
        .offset:         64
        .size:           8
        .value_kind:     global_buffer
      - .actual_access:  read_only
        .address_space:  global
        .offset:         72
        .size:           8
        .value_kind:     global_buffer
      - .offset:         80
        .size:           16
        .value_kind:     by_value
      - .address_space:  global
        .offset:         96
        .size:           8
        .value_kind:     global_buffer
      - .offset:         104
        .size:           4
        .value_kind:     by_value
      - .offset:         108
        .size:           1
        .value_kind:     by_value
    .group_segment_fixed_size: 32768
    .kernarg_segment_align: 8
    .kernarg_segment_size: 112
    .language:       OpenCL C
    .language_version:
      - 2
      - 0
    .max_flat_workgroup_size: 1024
    .name:           _ZN9rocsparseL20bsrxmvn_17_32_kernelILj32E21rocsparse_complex_numIdElidS2_S2_EEvT2_20rocsparse_direction_NS_24const_host_device_scalarIT0_EES3_PKS3_PKT1_SC_S9_PKT3_PKT4_S7_PT5_21rocsparse_index_base_b
    .private_segment_fixed_size: 0
    .sgpr_count:     28
    .sgpr_spill_count: 0
    .symbol:         _ZN9rocsparseL20bsrxmvn_17_32_kernelILj32E21rocsparse_complex_numIdElidS2_S2_EEvT2_20rocsparse_direction_NS_24const_host_device_scalarIT0_EES3_PKS3_PKT1_SC_S9_PKT3_PKT4_S7_PT5_21rocsparse_index_base_b.kd
    .uniform_work_group_size: 1
    .uses_dynamic_stack: false
    .vgpr_count:     26
    .vgpr_spill_count: 0
    .wavefront_size: 32
    .workgroup_processor_mode: 1
  - .args:
      - .offset:         0
        .size:           8
        .value_kind:     by_value
      - .offset:         8
        .size:           4
        .value_kind:     by_value
      - .offset:         16
        .size:           16
        .value_kind:     by_value
      - .offset:         32
        .size:           8
        .value_kind:     by_value
      - .actual_access:  read_only
        .address_space:  global
        .offset:         40
        .size:           8
        .value_kind:     global_buffer
      - .actual_access:  read_only
        .address_space:  global
        .offset:         48
        .size:           8
        .value_kind:     global_buffer
      - .actual_access:  read_only
        .address_space:  global
        .offset:         56
        .size:           8
        .value_kind:     global_buffer
      - .actual_access:  read_only
        .address_space:  global
        .offset:         64
        .size:           8
        .value_kind:     global_buffer
      - .actual_access:  read_only
        .address_space:  global
        .offset:         72
        .size:           8
        .value_kind:     global_buffer
      - .actual_access:  read_only
        .address_space:  global
        .offset:         80
        .size:           8
        .value_kind:     global_buffer
      - .offset:         88
        .size:           16
        .value_kind:     by_value
      - .address_space:  global
        .offset:         104
        .size:           8
        .value_kind:     global_buffer
      - .offset:         112
        .size:           4
        .value_kind:     by_value
      - .offset:         116
        .size:           1
        .value_kind:     by_value
    .group_segment_fixed_size: 9248
    .kernarg_segment_align: 8
    .kernarg_segment_size: 120
    .language:       OpenCL C
    .language_version:
      - 2
      - 0
    .max_flat_workgroup_size: 289
    .name:           _ZN9rocsparseL20bsrxmvn_17_32_kernelILj17E21rocsparse_complex_numIdElldS2_S2_EEvT2_20rocsparse_direction_NS_24const_host_device_scalarIT0_EES3_PKS3_PKT1_SC_S9_PKT3_PKT4_S7_PT5_21rocsparse_index_base_b
    .private_segment_fixed_size: 0
    .sgpr_count:     24
    .sgpr_spill_count: 0
    .symbol:         _ZN9rocsparseL20bsrxmvn_17_32_kernelILj17E21rocsparse_complex_numIdElldS2_S2_EEvT2_20rocsparse_direction_NS_24const_host_device_scalarIT0_EES3_PKS3_PKT1_SC_S9_PKT3_PKT4_S7_PT5_21rocsparse_index_base_b.kd
    .uniform_work_group_size: 1
    .uses_dynamic_stack: false
    .vgpr_count:     27
    .vgpr_spill_count: 0
    .wavefront_size: 32
    .workgroup_processor_mode: 1
  - .args:
      - .offset:         0
        .size:           8
        .value_kind:     by_value
      - .offset:         8
        .size:           4
        .value_kind:     by_value
      - .offset:         16
        .size:           16
        .value_kind:     by_value
      - .offset:         32
        .size:           8
        .value_kind:     by_value
      - .actual_access:  read_only
        .address_space:  global
        .offset:         40
        .size:           8
        .value_kind:     global_buffer
      - .actual_access:  read_only
        .address_space:  global
        .offset:         48
        .size:           8
        .value_kind:     global_buffer
      - .actual_access:  read_only
        .address_space:  global
        .offset:         56
        .size:           8
        .value_kind:     global_buffer
      - .actual_access:  read_only
        .address_space:  global
        .offset:         64
        .size:           8
        .value_kind:     global_buffer
      - .actual_access:  read_only
        .address_space:  global
        .offset:         72
        .size:           8
        .value_kind:     global_buffer
      - .actual_access:  read_only
        .address_space:  global
        .offset:         80
        .size:           8
        .value_kind:     global_buffer
      - .offset:         88
        .size:           16
        .value_kind:     by_value
      - .address_space:  global
        .offset:         104
        .size:           8
        .value_kind:     global_buffer
      - .offset:         112
        .size:           4
        .value_kind:     by_value
      - .offset:         116
        .size:           1
        .value_kind:     by_value
    .group_segment_fixed_size: 10368
    .kernarg_segment_align: 8
    .kernarg_segment_size: 120
    .language:       OpenCL C
    .language_version:
      - 2
      - 0
    .max_flat_workgroup_size: 324
    .name:           _ZN9rocsparseL20bsrxmvn_17_32_kernelILj18E21rocsparse_complex_numIdElldS2_S2_EEvT2_20rocsparse_direction_NS_24const_host_device_scalarIT0_EES3_PKS3_PKT1_SC_S9_PKT3_PKT4_S7_PT5_21rocsparse_index_base_b
    .private_segment_fixed_size: 0
    .sgpr_count:     24
    .sgpr_spill_count: 0
    .symbol:         _ZN9rocsparseL20bsrxmvn_17_32_kernelILj18E21rocsparse_complex_numIdElldS2_S2_EEvT2_20rocsparse_direction_NS_24const_host_device_scalarIT0_EES3_PKS3_PKT1_SC_S9_PKT3_PKT4_S7_PT5_21rocsparse_index_base_b.kd
    .uniform_work_group_size: 1
    .uses_dynamic_stack: false
    .vgpr_count:     27
    .vgpr_spill_count: 0
    .wavefront_size: 32
    .workgroup_processor_mode: 1
  - .args:
      - .offset:         0
        .size:           8
        .value_kind:     by_value
      - .offset:         8
        .size:           4
        .value_kind:     by_value
      - .offset:         16
        .size:           16
        .value_kind:     by_value
      - .offset:         32
        .size:           8
        .value_kind:     by_value
      - .actual_access:  read_only
        .address_space:  global
        .offset:         40
        .size:           8
        .value_kind:     global_buffer
      - .actual_access:  read_only
        .address_space:  global
        .offset:         48
        .size:           8
        .value_kind:     global_buffer
      - .actual_access:  read_only
        .address_space:  global
        .offset:         56
        .size:           8
        .value_kind:     global_buffer
      - .actual_access:  read_only
        .address_space:  global
        .offset:         64
        .size:           8
        .value_kind:     global_buffer
      - .actual_access:  read_only
        .address_space:  global
        .offset:         72
        .size:           8
        .value_kind:     global_buffer
      - .actual_access:  read_only
        .address_space:  global
        .offset:         80
        .size:           8
        .value_kind:     global_buffer
      - .offset:         88
        .size:           16
        .value_kind:     by_value
      - .address_space:  global
        .offset:         104
        .size:           8
        .value_kind:     global_buffer
      - .offset:         112
        .size:           4
        .value_kind:     by_value
      - .offset:         116
        .size:           1
        .value_kind:     by_value
    .group_segment_fixed_size: 11552
    .kernarg_segment_align: 8
    .kernarg_segment_size: 120
    .language:       OpenCL C
    .language_version:
      - 2
      - 0
    .max_flat_workgroup_size: 361
    .name:           _ZN9rocsparseL20bsrxmvn_17_32_kernelILj19E21rocsparse_complex_numIdElldS2_S2_EEvT2_20rocsparse_direction_NS_24const_host_device_scalarIT0_EES3_PKS3_PKT1_SC_S9_PKT3_PKT4_S7_PT5_21rocsparse_index_base_b
    .private_segment_fixed_size: 0
    .sgpr_count:     24
    .sgpr_spill_count: 0
    .symbol:         _ZN9rocsparseL20bsrxmvn_17_32_kernelILj19E21rocsparse_complex_numIdElldS2_S2_EEvT2_20rocsparse_direction_NS_24const_host_device_scalarIT0_EES3_PKS3_PKT1_SC_S9_PKT3_PKT4_S7_PT5_21rocsparse_index_base_b.kd
    .uniform_work_group_size: 1
    .uses_dynamic_stack: false
    .vgpr_count:     27
    .vgpr_spill_count: 0
    .wavefront_size: 32
    .workgroup_processor_mode: 1
  - .args:
      - .offset:         0
        .size:           8
        .value_kind:     by_value
      - .offset:         8
        .size:           4
        .value_kind:     by_value
      - .offset:         16
        .size:           16
        .value_kind:     by_value
      - .offset:         32
        .size:           8
        .value_kind:     by_value
      - .actual_access:  read_only
        .address_space:  global
        .offset:         40
        .size:           8
        .value_kind:     global_buffer
      - .actual_access:  read_only
        .address_space:  global
        .offset:         48
        .size:           8
        .value_kind:     global_buffer
      - .actual_access:  read_only
        .address_space:  global
        .offset:         56
        .size:           8
        .value_kind:     global_buffer
      - .actual_access:  read_only
        .address_space:  global
        .offset:         64
        .size:           8
        .value_kind:     global_buffer
      - .actual_access:  read_only
        .address_space:  global
        .offset:         72
        .size:           8
        .value_kind:     global_buffer
      - .actual_access:  read_only
        .address_space:  global
        .offset:         80
        .size:           8
        .value_kind:     global_buffer
      - .offset:         88
        .size:           16
        .value_kind:     by_value
      - .address_space:  global
        .offset:         104
        .size:           8
        .value_kind:     global_buffer
      - .offset:         112
        .size:           4
        .value_kind:     by_value
      - .offset:         116
        .size:           1
        .value_kind:     by_value
    .group_segment_fixed_size: 12800
    .kernarg_segment_align: 8
    .kernarg_segment_size: 120
    .language:       OpenCL C
    .language_version:
      - 2
      - 0
    .max_flat_workgroup_size: 400
    .name:           _ZN9rocsparseL20bsrxmvn_17_32_kernelILj20E21rocsparse_complex_numIdElldS2_S2_EEvT2_20rocsparse_direction_NS_24const_host_device_scalarIT0_EES3_PKS3_PKT1_SC_S9_PKT3_PKT4_S7_PT5_21rocsparse_index_base_b
    .private_segment_fixed_size: 0
    .sgpr_count:     24
    .sgpr_spill_count: 0
    .symbol:         _ZN9rocsparseL20bsrxmvn_17_32_kernelILj20E21rocsparse_complex_numIdElldS2_S2_EEvT2_20rocsparse_direction_NS_24const_host_device_scalarIT0_EES3_PKS3_PKT1_SC_S9_PKT3_PKT4_S7_PT5_21rocsparse_index_base_b.kd
    .uniform_work_group_size: 1
    .uses_dynamic_stack: false
    .vgpr_count:     27
    .vgpr_spill_count: 0
    .wavefront_size: 32
    .workgroup_processor_mode: 1
  - .args:
      - .offset:         0
        .size:           8
        .value_kind:     by_value
      - .offset:         8
        .size:           4
        .value_kind:     by_value
      - .offset:         16
        .size:           16
        .value_kind:     by_value
      - .offset:         32
        .size:           8
        .value_kind:     by_value
      - .actual_access:  read_only
        .address_space:  global
        .offset:         40
        .size:           8
        .value_kind:     global_buffer
      - .actual_access:  read_only
        .address_space:  global
        .offset:         48
        .size:           8
        .value_kind:     global_buffer
      - .actual_access:  read_only
        .address_space:  global
        .offset:         56
        .size:           8
        .value_kind:     global_buffer
      - .actual_access:  read_only
        .address_space:  global
        .offset:         64
        .size:           8
        .value_kind:     global_buffer
      - .actual_access:  read_only
        .address_space:  global
        .offset:         72
        .size:           8
        .value_kind:     global_buffer
      - .actual_access:  read_only
        .address_space:  global
        .offset:         80
        .size:           8
        .value_kind:     global_buffer
      - .offset:         88
        .size:           16
        .value_kind:     by_value
      - .address_space:  global
        .offset:         104
        .size:           8
        .value_kind:     global_buffer
      - .offset:         112
        .size:           4
        .value_kind:     by_value
      - .offset:         116
        .size:           1
        .value_kind:     by_value
    .group_segment_fixed_size: 14112
    .kernarg_segment_align: 8
    .kernarg_segment_size: 120
    .language:       OpenCL C
    .language_version:
      - 2
      - 0
    .max_flat_workgroup_size: 441
    .name:           _ZN9rocsparseL20bsrxmvn_17_32_kernelILj21E21rocsparse_complex_numIdElldS2_S2_EEvT2_20rocsparse_direction_NS_24const_host_device_scalarIT0_EES3_PKS3_PKT1_SC_S9_PKT3_PKT4_S7_PT5_21rocsparse_index_base_b
    .private_segment_fixed_size: 0
    .sgpr_count:     24
    .sgpr_spill_count: 0
    .symbol:         _ZN9rocsparseL20bsrxmvn_17_32_kernelILj21E21rocsparse_complex_numIdElldS2_S2_EEvT2_20rocsparse_direction_NS_24const_host_device_scalarIT0_EES3_PKS3_PKT1_SC_S9_PKT3_PKT4_S7_PT5_21rocsparse_index_base_b.kd
    .uniform_work_group_size: 1
    .uses_dynamic_stack: false
    .vgpr_count:     27
    .vgpr_spill_count: 0
    .wavefront_size: 32
    .workgroup_processor_mode: 1
  - .args:
      - .offset:         0
        .size:           8
        .value_kind:     by_value
      - .offset:         8
        .size:           4
        .value_kind:     by_value
      - .offset:         16
        .size:           16
        .value_kind:     by_value
      - .offset:         32
        .size:           8
        .value_kind:     by_value
      - .actual_access:  read_only
        .address_space:  global
        .offset:         40
        .size:           8
        .value_kind:     global_buffer
      - .actual_access:  read_only
        .address_space:  global
        .offset:         48
        .size:           8
        .value_kind:     global_buffer
      - .actual_access:  read_only
        .address_space:  global
        .offset:         56
        .size:           8
        .value_kind:     global_buffer
      - .actual_access:  read_only
        .address_space:  global
        .offset:         64
        .size:           8
        .value_kind:     global_buffer
      - .actual_access:  read_only
        .address_space:  global
        .offset:         72
        .size:           8
        .value_kind:     global_buffer
      - .actual_access:  read_only
        .address_space:  global
        .offset:         80
        .size:           8
        .value_kind:     global_buffer
      - .offset:         88
        .size:           16
        .value_kind:     by_value
      - .address_space:  global
        .offset:         104
        .size:           8
        .value_kind:     global_buffer
      - .offset:         112
        .size:           4
        .value_kind:     by_value
      - .offset:         116
        .size:           1
        .value_kind:     by_value
    .group_segment_fixed_size: 15488
    .kernarg_segment_align: 8
    .kernarg_segment_size: 120
    .language:       OpenCL C
    .language_version:
      - 2
      - 0
    .max_flat_workgroup_size: 484
    .name:           _ZN9rocsparseL20bsrxmvn_17_32_kernelILj22E21rocsparse_complex_numIdElldS2_S2_EEvT2_20rocsparse_direction_NS_24const_host_device_scalarIT0_EES3_PKS3_PKT1_SC_S9_PKT3_PKT4_S7_PT5_21rocsparse_index_base_b
    .private_segment_fixed_size: 0
    .sgpr_count:     24
    .sgpr_spill_count: 0
    .symbol:         _ZN9rocsparseL20bsrxmvn_17_32_kernelILj22E21rocsparse_complex_numIdElldS2_S2_EEvT2_20rocsparse_direction_NS_24const_host_device_scalarIT0_EES3_PKS3_PKT1_SC_S9_PKT3_PKT4_S7_PT5_21rocsparse_index_base_b.kd
    .uniform_work_group_size: 1
    .uses_dynamic_stack: false
    .vgpr_count:     27
    .vgpr_spill_count: 0
    .wavefront_size: 32
    .workgroup_processor_mode: 1
  - .args:
      - .offset:         0
        .size:           8
        .value_kind:     by_value
      - .offset:         8
        .size:           4
        .value_kind:     by_value
      - .offset:         16
        .size:           16
        .value_kind:     by_value
      - .offset:         32
        .size:           8
        .value_kind:     by_value
      - .actual_access:  read_only
        .address_space:  global
        .offset:         40
        .size:           8
        .value_kind:     global_buffer
      - .actual_access:  read_only
        .address_space:  global
        .offset:         48
        .size:           8
        .value_kind:     global_buffer
      - .actual_access:  read_only
        .address_space:  global
        .offset:         56
        .size:           8
        .value_kind:     global_buffer
      - .actual_access:  read_only
        .address_space:  global
        .offset:         64
        .size:           8
        .value_kind:     global_buffer
      - .actual_access:  read_only
        .address_space:  global
        .offset:         72
        .size:           8
        .value_kind:     global_buffer
      - .actual_access:  read_only
        .address_space:  global
        .offset:         80
        .size:           8
        .value_kind:     global_buffer
      - .offset:         88
        .size:           16
        .value_kind:     by_value
      - .address_space:  global
        .offset:         104
        .size:           8
        .value_kind:     global_buffer
      - .offset:         112
        .size:           4
        .value_kind:     by_value
      - .offset:         116
        .size:           1
        .value_kind:     by_value
    .group_segment_fixed_size: 16928
    .kernarg_segment_align: 8
    .kernarg_segment_size: 120
    .language:       OpenCL C
    .language_version:
      - 2
      - 0
    .max_flat_workgroup_size: 529
    .name:           _ZN9rocsparseL20bsrxmvn_17_32_kernelILj23E21rocsparse_complex_numIdElldS2_S2_EEvT2_20rocsparse_direction_NS_24const_host_device_scalarIT0_EES3_PKS3_PKT1_SC_S9_PKT3_PKT4_S7_PT5_21rocsparse_index_base_b
    .private_segment_fixed_size: 0
    .sgpr_count:     24
    .sgpr_spill_count: 0
    .symbol:         _ZN9rocsparseL20bsrxmvn_17_32_kernelILj23E21rocsparse_complex_numIdElldS2_S2_EEvT2_20rocsparse_direction_NS_24const_host_device_scalarIT0_EES3_PKS3_PKT1_SC_S9_PKT3_PKT4_S7_PT5_21rocsparse_index_base_b.kd
    .uniform_work_group_size: 1
    .uses_dynamic_stack: false
    .vgpr_count:     25
    .vgpr_spill_count: 0
    .wavefront_size: 32
    .workgroup_processor_mode: 1
  - .args:
      - .offset:         0
        .size:           8
        .value_kind:     by_value
      - .offset:         8
        .size:           4
        .value_kind:     by_value
      - .offset:         16
        .size:           16
        .value_kind:     by_value
      - .offset:         32
        .size:           8
        .value_kind:     by_value
      - .actual_access:  read_only
        .address_space:  global
        .offset:         40
        .size:           8
        .value_kind:     global_buffer
      - .actual_access:  read_only
        .address_space:  global
        .offset:         48
        .size:           8
        .value_kind:     global_buffer
      - .actual_access:  read_only
        .address_space:  global
        .offset:         56
        .size:           8
        .value_kind:     global_buffer
      - .actual_access:  read_only
        .address_space:  global
        .offset:         64
        .size:           8
        .value_kind:     global_buffer
      - .actual_access:  read_only
        .address_space:  global
        .offset:         72
        .size:           8
        .value_kind:     global_buffer
      - .actual_access:  read_only
        .address_space:  global
        .offset:         80
        .size:           8
        .value_kind:     global_buffer
      - .offset:         88
        .size:           16
        .value_kind:     by_value
      - .address_space:  global
        .offset:         104
        .size:           8
        .value_kind:     global_buffer
      - .offset:         112
        .size:           4
        .value_kind:     by_value
      - .offset:         116
        .size:           1
        .value_kind:     by_value
    .group_segment_fixed_size: 18432
    .kernarg_segment_align: 8
    .kernarg_segment_size: 120
    .language:       OpenCL C
    .language_version:
      - 2
      - 0
    .max_flat_workgroup_size: 576
    .name:           _ZN9rocsparseL20bsrxmvn_17_32_kernelILj24E21rocsparse_complex_numIdElldS2_S2_EEvT2_20rocsparse_direction_NS_24const_host_device_scalarIT0_EES3_PKS3_PKT1_SC_S9_PKT3_PKT4_S7_PT5_21rocsparse_index_base_b
    .private_segment_fixed_size: 0
    .sgpr_count:     24
    .sgpr_spill_count: 0
    .symbol:         _ZN9rocsparseL20bsrxmvn_17_32_kernelILj24E21rocsparse_complex_numIdElldS2_S2_EEvT2_20rocsparse_direction_NS_24const_host_device_scalarIT0_EES3_PKS3_PKT1_SC_S9_PKT3_PKT4_S7_PT5_21rocsparse_index_base_b.kd
    .uniform_work_group_size: 1
    .uses_dynamic_stack: false
    .vgpr_count:     25
    .vgpr_spill_count: 0
    .wavefront_size: 32
    .workgroup_processor_mode: 1
  - .args:
      - .offset:         0
        .size:           8
        .value_kind:     by_value
      - .offset:         8
        .size:           4
        .value_kind:     by_value
      - .offset:         16
        .size:           16
        .value_kind:     by_value
      - .offset:         32
        .size:           8
        .value_kind:     by_value
      - .actual_access:  read_only
        .address_space:  global
        .offset:         40
        .size:           8
        .value_kind:     global_buffer
      - .actual_access:  read_only
        .address_space:  global
        .offset:         48
        .size:           8
        .value_kind:     global_buffer
      - .actual_access:  read_only
        .address_space:  global
        .offset:         56
        .size:           8
        .value_kind:     global_buffer
      - .actual_access:  read_only
        .address_space:  global
        .offset:         64
        .size:           8
        .value_kind:     global_buffer
      - .actual_access:  read_only
        .address_space:  global
        .offset:         72
        .size:           8
        .value_kind:     global_buffer
      - .actual_access:  read_only
        .address_space:  global
        .offset:         80
        .size:           8
        .value_kind:     global_buffer
      - .offset:         88
        .size:           16
        .value_kind:     by_value
      - .address_space:  global
        .offset:         104
        .size:           8
        .value_kind:     global_buffer
      - .offset:         112
        .size:           4
        .value_kind:     by_value
      - .offset:         116
        .size:           1
        .value_kind:     by_value
    .group_segment_fixed_size: 20000
    .kernarg_segment_align: 8
    .kernarg_segment_size: 120
    .language:       OpenCL C
    .language_version:
      - 2
      - 0
    .max_flat_workgroup_size: 625
    .name:           _ZN9rocsparseL20bsrxmvn_17_32_kernelILj25E21rocsparse_complex_numIdElldS2_S2_EEvT2_20rocsparse_direction_NS_24const_host_device_scalarIT0_EES3_PKS3_PKT1_SC_S9_PKT3_PKT4_S7_PT5_21rocsparse_index_base_b
    .private_segment_fixed_size: 0
    .sgpr_count:     24
    .sgpr_spill_count: 0
    .symbol:         _ZN9rocsparseL20bsrxmvn_17_32_kernelILj25E21rocsparse_complex_numIdElldS2_S2_EEvT2_20rocsparse_direction_NS_24const_host_device_scalarIT0_EES3_PKS3_PKT1_SC_S9_PKT3_PKT4_S7_PT5_21rocsparse_index_base_b.kd
    .uniform_work_group_size: 1
    .uses_dynamic_stack: false
    .vgpr_count:     25
    .vgpr_spill_count: 0
    .wavefront_size: 32
    .workgroup_processor_mode: 1
  - .args:
      - .offset:         0
        .size:           8
        .value_kind:     by_value
      - .offset:         8
        .size:           4
        .value_kind:     by_value
      - .offset:         16
        .size:           16
        .value_kind:     by_value
      - .offset:         32
        .size:           8
        .value_kind:     by_value
      - .actual_access:  read_only
        .address_space:  global
        .offset:         40
        .size:           8
        .value_kind:     global_buffer
      - .actual_access:  read_only
        .address_space:  global
        .offset:         48
        .size:           8
        .value_kind:     global_buffer
      - .actual_access:  read_only
        .address_space:  global
        .offset:         56
        .size:           8
        .value_kind:     global_buffer
      - .actual_access:  read_only
        .address_space:  global
        .offset:         64
        .size:           8
        .value_kind:     global_buffer
      - .actual_access:  read_only
        .address_space:  global
        .offset:         72
        .size:           8
        .value_kind:     global_buffer
      - .actual_access:  read_only
        .address_space:  global
        .offset:         80
        .size:           8
        .value_kind:     global_buffer
      - .offset:         88
        .size:           16
        .value_kind:     by_value
      - .address_space:  global
        .offset:         104
        .size:           8
        .value_kind:     global_buffer
      - .offset:         112
        .size:           4
        .value_kind:     by_value
      - .offset:         116
        .size:           1
        .value_kind:     by_value
    .group_segment_fixed_size: 21632
    .kernarg_segment_align: 8
    .kernarg_segment_size: 120
    .language:       OpenCL C
    .language_version:
      - 2
      - 0
    .max_flat_workgroup_size: 676
    .name:           _ZN9rocsparseL20bsrxmvn_17_32_kernelILj26E21rocsparse_complex_numIdElldS2_S2_EEvT2_20rocsparse_direction_NS_24const_host_device_scalarIT0_EES3_PKS3_PKT1_SC_S9_PKT3_PKT4_S7_PT5_21rocsparse_index_base_b
    .private_segment_fixed_size: 0
    .sgpr_count:     24
    .sgpr_spill_count: 0
    .symbol:         _ZN9rocsparseL20bsrxmvn_17_32_kernelILj26E21rocsparse_complex_numIdElldS2_S2_EEvT2_20rocsparse_direction_NS_24const_host_device_scalarIT0_EES3_PKS3_PKT1_SC_S9_PKT3_PKT4_S7_PT5_21rocsparse_index_base_b.kd
    .uniform_work_group_size: 1
    .uses_dynamic_stack: false
    .vgpr_count:     25
    .vgpr_spill_count: 0
    .wavefront_size: 32
    .workgroup_processor_mode: 1
  - .args:
      - .offset:         0
        .size:           8
        .value_kind:     by_value
      - .offset:         8
        .size:           4
        .value_kind:     by_value
      - .offset:         16
        .size:           16
        .value_kind:     by_value
      - .offset:         32
        .size:           8
        .value_kind:     by_value
      - .actual_access:  read_only
        .address_space:  global
        .offset:         40
        .size:           8
        .value_kind:     global_buffer
      - .actual_access:  read_only
        .address_space:  global
        .offset:         48
        .size:           8
        .value_kind:     global_buffer
      - .actual_access:  read_only
        .address_space:  global
        .offset:         56
        .size:           8
        .value_kind:     global_buffer
      - .actual_access:  read_only
        .address_space:  global
        .offset:         64
        .size:           8
        .value_kind:     global_buffer
      - .actual_access:  read_only
        .address_space:  global
        .offset:         72
        .size:           8
        .value_kind:     global_buffer
      - .actual_access:  read_only
        .address_space:  global
        .offset:         80
        .size:           8
        .value_kind:     global_buffer
      - .offset:         88
        .size:           16
        .value_kind:     by_value
      - .address_space:  global
        .offset:         104
        .size:           8
        .value_kind:     global_buffer
      - .offset:         112
        .size:           4
        .value_kind:     by_value
      - .offset:         116
        .size:           1
        .value_kind:     by_value
    .group_segment_fixed_size: 23328
    .kernarg_segment_align: 8
    .kernarg_segment_size: 120
    .language:       OpenCL C
    .language_version:
      - 2
      - 0
    .max_flat_workgroup_size: 729
    .name:           _ZN9rocsparseL20bsrxmvn_17_32_kernelILj27E21rocsparse_complex_numIdElldS2_S2_EEvT2_20rocsparse_direction_NS_24const_host_device_scalarIT0_EES3_PKS3_PKT1_SC_S9_PKT3_PKT4_S7_PT5_21rocsparse_index_base_b
    .private_segment_fixed_size: 0
    .sgpr_count:     24
    .sgpr_spill_count: 0
    .symbol:         _ZN9rocsparseL20bsrxmvn_17_32_kernelILj27E21rocsparse_complex_numIdElldS2_S2_EEvT2_20rocsparse_direction_NS_24const_host_device_scalarIT0_EES3_PKS3_PKT1_SC_S9_PKT3_PKT4_S7_PT5_21rocsparse_index_base_b.kd
    .uniform_work_group_size: 1
    .uses_dynamic_stack: false
    .vgpr_count:     25
    .vgpr_spill_count: 0
    .wavefront_size: 32
    .workgroup_processor_mode: 1
  - .args:
      - .offset:         0
        .size:           8
        .value_kind:     by_value
      - .offset:         8
        .size:           4
        .value_kind:     by_value
      - .offset:         16
        .size:           16
        .value_kind:     by_value
      - .offset:         32
        .size:           8
        .value_kind:     by_value
      - .actual_access:  read_only
        .address_space:  global
        .offset:         40
        .size:           8
        .value_kind:     global_buffer
      - .actual_access:  read_only
        .address_space:  global
        .offset:         48
        .size:           8
        .value_kind:     global_buffer
      - .actual_access:  read_only
        .address_space:  global
        .offset:         56
        .size:           8
        .value_kind:     global_buffer
      - .actual_access:  read_only
        .address_space:  global
        .offset:         64
        .size:           8
        .value_kind:     global_buffer
      - .actual_access:  read_only
        .address_space:  global
        .offset:         72
        .size:           8
        .value_kind:     global_buffer
      - .actual_access:  read_only
        .address_space:  global
        .offset:         80
        .size:           8
        .value_kind:     global_buffer
      - .offset:         88
        .size:           16
        .value_kind:     by_value
      - .address_space:  global
        .offset:         104
        .size:           8
        .value_kind:     global_buffer
      - .offset:         112
        .size:           4
        .value_kind:     by_value
      - .offset:         116
        .size:           1
        .value_kind:     by_value
    .group_segment_fixed_size: 25088
    .kernarg_segment_align: 8
    .kernarg_segment_size: 120
    .language:       OpenCL C
    .language_version:
      - 2
      - 0
    .max_flat_workgroup_size: 784
    .name:           _ZN9rocsparseL20bsrxmvn_17_32_kernelILj28E21rocsparse_complex_numIdElldS2_S2_EEvT2_20rocsparse_direction_NS_24const_host_device_scalarIT0_EES3_PKS3_PKT1_SC_S9_PKT3_PKT4_S7_PT5_21rocsparse_index_base_b
    .private_segment_fixed_size: 0
    .sgpr_count:     24
    .sgpr_spill_count: 0
    .symbol:         _ZN9rocsparseL20bsrxmvn_17_32_kernelILj28E21rocsparse_complex_numIdElldS2_S2_EEvT2_20rocsparse_direction_NS_24const_host_device_scalarIT0_EES3_PKS3_PKT1_SC_S9_PKT3_PKT4_S7_PT5_21rocsparse_index_base_b.kd
    .uniform_work_group_size: 1
    .uses_dynamic_stack: false
    .vgpr_count:     25
    .vgpr_spill_count: 0
    .wavefront_size: 32
    .workgroup_processor_mode: 1
  - .args:
      - .offset:         0
        .size:           8
        .value_kind:     by_value
      - .offset:         8
        .size:           4
        .value_kind:     by_value
      - .offset:         16
        .size:           16
        .value_kind:     by_value
      - .offset:         32
        .size:           8
        .value_kind:     by_value
      - .actual_access:  read_only
        .address_space:  global
        .offset:         40
        .size:           8
        .value_kind:     global_buffer
      - .actual_access:  read_only
        .address_space:  global
        .offset:         48
        .size:           8
        .value_kind:     global_buffer
      - .actual_access:  read_only
        .address_space:  global
        .offset:         56
        .size:           8
        .value_kind:     global_buffer
      - .actual_access:  read_only
        .address_space:  global
        .offset:         64
        .size:           8
        .value_kind:     global_buffer
      - .actual_access:  read_only
        .address_space:  global
        .offset:         72
        .size:           8
        .value_kind:     global_buffer
      - .actual_access:  read_only
        .address_space:  global
        .offset:         80
        .size:           8
        .value_kind:     global_buffer
      - .offset:         88
        .size:           16
        .value_kind:     by_value
      - .address_space:  global
        .offset:         104
        .size:           8
        .value_kind:     global_buffer
      - .offset:         112
        .size:           4
        .value_kind:     by_value
      - .offset:         116
        .size:           1
        .value_kind:     by_value
    .group_segment_fixed_size: 26912
    .kernarg_segment_align: 8
    .kernarg_segment_size: 120
    .language:       OpenCL C
    .language_version:
      - 2
      - 0
    .max_flat_workgroup_size: 841
    .name:           _ZN9rocsparseL20bsrxmvn_17_32_kernelILj29E21rocsparse_complex_numIdElldS2_S2_EEvT2_20rocsparse_direction_NS_24const_host_device_scalarIT0_EES3_PKS3_PKT1_SC_S9_PKT3_PKT4_S7_PT5_21rocsparse_index_base_b
    .private_segment_fixed_size: 0
    .sgpr_count:     24
    .sgpr_spill_count: 0
    .symbol:         _ZN9rocsparseL20bsrxmvn_17_32_kernelILj29E21rocsparse_complex_numIdElldS2_S2_EEvT2_20rocsparse_direction_NS_24const_host_device_scalarIT0_EES3_PKS3_PKT1_SC_S9_PKT3_PKT4_S7_PT5_21rocsparse_index_base_b.kd
    .uniform_work_group_size: 1
    .uses_dynamic_stack: false
    .vgpr_count:     25
    .vgpr_spill_count: 0
    .wavefront_size: 32
    .workgroup_processor_mode: 1
  - .args:
      - .offset:         0
        .size:           8
        .value_kind:     by_value
      - .offset:         8
        .size:           4
        .value_kind:     by_value
      - .offset:         16
        .size:           16
        .value_kind:     by_value
      - .offset:         32
        .size:           8
        .value_kind:     by_value
      - .actual_access:  read_only
        .address_space:  global
        .offset:         40
        .size:           8
        .value_kind:     global_buffer
      - .actual_access:  read_only
        .address_space:  global
        .offset:         48
        .size:           8
        .value_kind:     global_buffer
      - .actual_access:  read_only
        .address_space:  global
        .offset:         56
        .size:           8
        .value_kind:     global_buffer
      - .actual_access:  read_only
        .address_space:  global
        .offset:         64
        .size:           8
        .value_kind:     global_buffer
      - .actual_access:  read_only
        .address_space:  global
        .offset:         72
        .size:           8
        .value_kind:     global_buffer
      - .actual_access:  read_only
        .address_space:  global
        .offset:         80
        .size:           8
        .value_kind:     global_buffer
      - .offset:         88
        .size:           16
        .value_kind:     by_value
      - .address_space:  global
        .offset:         104
        .size:           8
        .value_kind:     global_buffer
      - .offset:         112
        .size:           4
        .value_kind:     by_value
      - .offset:         116
        .size:           1
        .value_kind:     by_value
    .group_segment_fixed_size: 28800
    .kernarg_segment_align: 8
    .kernarg_segment_size: 120
    .language:       OpenCL C
    .language_version:
      - 2
      - 0
    .max_flat_workgroup_size: 900
    .name:           _ZN9rocsparseL20bsrxmvn_17_32_kernelILj30E21rocsparse_complex_numIdElldS2_S2_EEvT2_20rocsparse_direction_NS_24const_host_device_scalarIT0_EES3_PKS3_PKT1_SC_S9_PKT3_PKT4_S7_PT5_21rocsparse_index_base_b
    .private_segment_fixed_size: 0
    .sgpr_count:     24
    .sgpr_spill_count: 0
    .symbol:         _ZN9rocsparseL20bsrxmvn_17_32_kernelILj30E21rocsparse_complex_numIdElldS2_S2_EEvT2_20rocsparse_direction_NS_24const_host_device_scalarIT0_EES3_PKS3_PKT1_SC_S9_PKT3_PKT4_S7_PT5_21rocsparse_index_base_b.kd
    .uniform_work_group_size: 1
    .uses_dynamic_stack: false
    .vgpr_count:     25
    .vgpr_spill_count: 0
    .wavefront_size: 32
    .workgroup_processor_mode: 1
  - .args:
      - .offset:         0
        .size:           8
        .value_kind:     by_value
      - .offset:         8
        .size:           4
        .value_kind:     by_value
      - .offset:         16
        .size:           16
        .value_kind:     by_value
      - .offset:         32
        .size:           8
        .value_kind:     by_value
      - .actual_access:  read_only
        .address_space:  global
        .offset:         40
        .size:           8
        .value_kind:     global_buffer
      - .actual_access:  read_only
        .address_space:  global
        .offset:         48
        .size:           8
        .value_kind:     global_buffer
      - .actual_access:  read_only
        .address_space:  global
        .offset:         56
        .size:           8
        .value_kind:     global_buffer
      - .actual_access:  read_only
        .address_space:  global
        .offset:         64
        .size:           8
        .value_kind:     global_buffer
      - .actual_access:  read_only
        .address_space:  global
        .offset:         72
        .size:           8
        .value_kind:     global_buffer
      - .actual_access:  read_only
        .address_space:  global
        .offset:         80
        .size:           8
        .value_kind:     global_buffer
      - .offset:         88
        .size:           16
        .value_kind:     by_value
      - .address_space:  global
        .offset:         104
        .size:           8
        .value_kind:     global_buffer
      - .offset:         112
        .size:           4
        .value_kind:     by_value
      - .offset:         116
        .size:           1
        .value_kind:     by_value
    .group_segment_fixed_size: 30752
    .kernarg_segment_align: 8
    .kernarg_segment_size: 120
    .language:       OpenCL C
    .language_version:
      - 2
      - 0
    .max_flat_workgroup_size: 961
    .name:           _ZN9rocsparseL20bsrxmvn_17_32_kernelILj31E21rocsparse_complex_numIdElldS2_S2_EEvT2_20rocsparse_direction_NS_24const_host_device_scalarIT0_EES3_PKS3_PKT1_SC_S9_PKT3_PKT4_S7_PT5_21rocsparse_index_base_b
    .private_segment_fixed_size: 0
    .sgpr_count:     24
    .sgpr_spill_count: 0
    .symbol:         _ZN9rocsparseL20bsrxmvn_17_32_kernelILj31E21rocsparse_complex_numIdElldS2_S2_EEvT2_20rocsparse_direction_NS_24const_host_device_scalarIT0_EES3_PKS3_PKT1_SC_S9_PKT3_PKT4_S7_PT5_21rocsparse_index_base_b.kd
    .uniform_work_group_size: 1
    .uses_dynamic_stack: false
    .vgpr_count:     25
    .vgpr_spill_count: 0
    .wavefront_size: 32
    .workgroup_processor_mode: 1
  - .args:
      - .offset:         0
        .size:           8
        .value_kind:     by_value
      - .offset:         8
        .size:           4
        .value_kind:     by_value
      - .offset:         16
        .size:           16
        .value_kind:     by_value
      - .offset:         32
        .size:           8
        .value_kind:     by_value
      - .actual_access:  read_only
        .address_space:  global
        .offset:         40
        .size:           8
        .value_kind:     global_buffer
      - .actual_access:  read_only
        .address_space:  global
        .offset:         48
        .size:           8
        .value_kind:     global_buffer
      - .actual_access:  read_only
        .address_space:  global
        .offset:         56
        .size:           8
        .value_kind:     global_buffer
      - .actual_access:  read_only
        .address_space:  global
        .offset:         64
        .size:           8
        .value_kind:     global_buffer
      - .actual_access:  read_only
        .address_space:  global
        .offset:         72
        .size:           8
        .value_kind:     global_buffer
      - .actual_access:  read_only
        .address_space:  global
        .offset:         80
        .size:           8
        .value_kind:     global_buffer
      - .offset:         88
        .size:           16
        .value_kind:     by_value
      - .address_space:  global
        .offset:         104
        .size:           8
        .value_kind:     global_buffer
      - .offset:         112
        .size:           4
        .value_kind:     by_value
      - .offset:         116
        .size:           1
        .value_kind:     by_value
    .group_segment_fixed_size: 32768
    .kernarg_segment_align: 8
    .kernarg_segment_size: 120
    .language:       OpenCL C
    .language_version:
      - 2
      - 0
    .max_flat_workgroup_size: 1024
    .name:           _ZN9rocsparseL20bsrxmvn_17_32_kernelILj32E21rocsparse_complex_numIdElldS2_S2_EEvT2_20rocsparse_direction_NS_24const_host_device_scalarIT0_EES3_PKS3_PKT1_SC_S9_PKT3_PKT4_S7_PT5_21rocsparse_index_base_b
    .private_segment_fixed_size: 0
    .sgpr_count:     26
    .sgpr_spill_count: 0
    .symbol:         _ZN9rocsparseL20bsrxmvn_17_32_kernelILj32E21rocsparse_complex_numIdElldS2_S2_EEvT2_20rocsparse_direction_NS_24const_host_device_scalarIT0_EES3_PKS3_PKT1_SC_S9_PKT3_PKT4_S7_PT5_21rocsparse_index_base_b.kd
    .uniform_work_group_size: 1
    .uses_dynamic_stack: false
    .vgpr_count:     26
    .vgpr_spill_count: 0
    .wavefront_size: 32
    .workgroup_processor_mode: 1
  - .args:
      - .offset:         0
        .size:           4
        .value_kind:     by_value
      - .offset:         4
        .size:           4
        .value_kind:     by_value
      - .offset:         8
        .size:           8
        .value_kind:     by_value
      - .offset:         16
        .size:           4
        .value_kind:     by_value
      - .actual_access:  read_only
        .address_space:  global
        .offset:         24
        .size:           8
        .value_kind:     global_buffer
      - .actual_access:  read_only
        .address_space:  global
        .offset:         32
        .size:           8
        .value_kind:     global_buffer
      - .actual_access:  read_only
        .address_space:  global
        .offset:         40
        .size:           8
        .value_kind:     global_buffer
      - .actual_access:  read_only
        .address_space:  global
        .offset:         48
        .size:           8
        .value_kind:     global_buffer
      - .actual_access:  read_only
        .address_space:  global
        .offset:         56
        .size:           8
        .value_kind:     global_buffer
      - .actual_access:  read_only
        .address_space:  global
        .offset:         64
        .size:           8
        .value_kind:     global_buffer
      - .offset:         72
        .size:           8
        .value_kind:     by_value
      - .address_space:  global
        .offset:         80
        .size:           8
        .value_kind:     global_buffer
      - .offset:         88
        .size:           4
        .value_kind:     by_value
      - .offset:         92
        .size:           1
        .value_kind:     by_value
    .group_segment_fixed_size: 2312
    .kernarg_segment_align: 8
    .kernarg_segment_size: 96
    .language:       OpenCL C
    .language_version:
      - 2
      - 0
    .max_flat_workgroup_size: 289
    .name:           _ZN9rocsparseL20bsrxmvn_17_32_kernelILj17EdiifddEEvT2_20rocsparse_direction_NS_24const_host_device_scalarIT0_EES1_PKS1_PKT1_SA_S7_PKT3_PKT4_S5_PT5_21rocsparse_index_base_b
    .private_segment_fixed_size: 0
    .sgpr_count:     18
    .sgpr_spill_count: 0
    .symbol:         _ZN9rocsparseL20bsrxmvn_17_32_kernelILj17EdiifddEEvT2_20rocsparse_direction_NS_24const_host_device_scalarIT0_EES1_PKS1_PKT1_SA_S7_PKT3_PKT4_S5_PT5_21rocsparse_index_base_b.kd
    .uniform_work_group_size: 1
    .uses_dynamic_stack: false
    .vgpr_count:     16
    .vgpr_spill_count: 0
    .wavefront_size: 32
    .workgroup_processor_mode: 1
  - .args:
      - .offset:         0
        .size:           4
        .value_kind:     by_value
      - .offset:         4
        .size:           4
        .value_kind:     by_value
      - .offset:         8
        .size:           8
        .value_kind:     by_value
      - .offset:         16
        .size:           4
        .value_kind:     by_value
      - .actual_access:  read_only
        .address_space:  global
        .offset:         24
        .size:           8
        .value_kind:     global_buffer
      - .actual_access:  read_only
        .address_space:  global
        .offset:         32
        .size:           8
        .value_kind:     global_buffer
      - .actual_access:  read_only
        .address_space:  global
        .offset:         40
        .size:           8
        .value_kind:     global_buffer
      - .actual_access:  read_only
        .address_space:  global
        .offset:         48
        .size:           8
        .value_kind:     global_buffer
      - .actual_access:  read_only
        .address_space:  global
        .offset:         56
        .size:           8
        .value_kind:     global_buffer
      - .actual_access:  read_only
        .address_space:  global
        .offset:         64
        .size:           8
        .value_kind:     global_buffer
      - .offset:         72
        .size:           8
        .value_kind:     by_value
      - .address_space:  global
        .offset:         80
        .size:           8
        .value_kind:     global_buffer
      - .offset:         88
        .size:           4
        .value_kind:     by_value
      - .offset:         92
        .size:           1
        .value_kind:     by_value
    .group_segment_fixed_size: 2592
    .kernarg_segment_align: 8
    .kernarg_segment_size: 96
    .language:       OpenCL C
    .language_version:
      - 2
      - 0
    .max_flat_workgroup_size: 324
    .name:           _ZN9rocsparseL20bsrxmvn_17_32_kernelILj18EdiifddEEvT2_20rocsparse_direction_NS_24const_host_device_scalarIT0_EES1_PKS1_PKT1_SA_S7_PKT3_PKT4_S5_PT5_21rocsparse_index_base_b
    .private_segment_fixed_size: 0
    .sgpr_count:     18
    .sgpr_spill_count: 0
    .symbol:         _ZN9rocsparseL20bsrxmvn_17_32_kernelILj18EdiifddEEvT2_20rocsparse_direction_NS_24const_host_device_scalarIT0_EES1_PKS1_PKT1_SA_S7_PKT3_PKT4_S5_PT5_21rocsparse_index_base_b.kd
    .uniform_work_group_size: 1
    .uses_dynamic_stack: false
    .vgpr_count:     16
    .vgpr_spill_count: 0
    .wavefront_size: 32
    .workgroup_processor_mode: 1
  - .args:
      - .offset:         0
        .size:           4
        .value_kind:     by_value
      - .offset:         4
        .size:           4
        .value_kind:     by_value
      - .offset:         8
        .size:           8
        .value_kind:     by_value
      - .offset:         16
        .size:           4
        .value_kind:     by_value
      - .actual_access:  read_only
        .address_space:  global
        .offset:         24
        .size:           8
        .value_kind:     global_buffer
      - .actual_access:  read_only
        .address_space:  global
        .offset:         32
        .size:           8
        .value_kind:     global_buffer
      - .actual_access:  read_only
        .address_space:  global
        .offset:         40
        .size:           8
        .value_kind:     global_buffer
      - .actual_access:  read_only
        .address_space:  global
        .offset:         48
        .size:           8
        .value_kind:     global_buffer
      - .actual_access:  read_only
        .address_space:  global
        .offset:         56
        .size:           8
        .value_kind:     global_buffer
      - .actual_access:  read_only
        .address_space:  global
        .offset:         64
        .size:           8
        .value_kind:     global_buffer
      - .offset:         72
        .size:           8
        .value_kind:     by_value
      - .address_space:  global
        .offset:         80
        .size:           8
        .value_kind:     global_buffer
      - .offset:         88
        .size:           4
        .value_kind:     by_value
      - .offset:         92
        .size:           1
        .value_kind:     by_value
    .group_segment_fixed_size: 2888
    .kernarg_segment_align: 8
    .kernarg_segment_size: 96
    .language:       OpenCL C
    .language_version:
      - 2
      - 0
    .max_flat_workgroup_size: 361
    .name:           _ZN9rocsparseL20bsrxmvn_17_32_kernelILj19EdiifddEEvT2_20rocsparse_direction_NS_24const_host_device_scalarIT0_EES1_PKS1_PKT1_SA_S7_PKT3_PKT4_S5_PT5_21rocsparse_index_base_b
    .private_segment_fixed_size: 0
    .sgpr_count:     18
    .sgpr_spill_count: 0
    .symbol:         _ZN9rocsparseL20bsrxmvn_17_32_kernelILj19EdiifddEEvT2_20rocsparse_direction_NS_24const_host_device_scalarIT0_EES1_PKS1_PKT1_SA_S7_PKT3_PKT4_S5_PT5_21rocsparse_index_base_b.kd
    .uniform_work_group_size: 1
    .uses_dynamic_stack: false
    .vgpr_count:     16
    .vgpr_spill_count: 0
    .wavefront_size: 32
    .workgroup_processor_mode: 1
  - .args:
      - .offset:         0
        .size:           4
        .value_kind:     by_value
      - .offset:         4
        .size:           4
        .value_kind:     by_value
      - .offset:         8
        .size:           8
        .value_kind:     by_value
      - .offset:         16
        .size:           4
        .value_kind:     by_value
      - .actual_access:  read_only
        .address_space:  global
        .offset:         24
        .size:           8
        .value_kind:     global_buffer
      - .actual_access:  read_only
        .address_space:  global
        .offset:         32
        .size:           8
        .value_kind:     global_buffer
      - .actual_access:  read_only
        .address_space:  global
        .offset:         40
        .size:           8
        .value_kind:     global_buffer
      - .actual_access:  read_only
        .address_space:  global
        .offset:         48
        .size:           8
        .value_kind:     global_buffer
      - .actual_access:  read_only
        .address_space:  global
        .offset:         56
        .size:           8
        .value_kind:     global_buffer
      - .actual_access:  read_only
        .address_space:  global
        .offset:         64
        .size:           8
        .value_kind:     global_buffer
      - .offset:         72
        .size:           8
        .value_kind:     by_value
      - .address_space:  global
        .offset:         80
        .size:           8
        .value_kind:     global_buffer
      - .offset:         88
        .size:           4
        .value_kind:     by_value
      - .offset:         92
        .size:           1
        .value_kind:     by_value
    .group_segment_fixed_size: 3200
    .kernarg_segment_align: 8
    .kernarg_segment_size: 96
    .language:       OpenCL C
    .language_version:
      - 2
      - 0
    .max_flat_workgroup_size: 400
    .name:           _ZN9rocsparseL20bsrxmvn_17_32_kernelILj20EdiifddEEvT2_20rocsparse_direction_NS_24const_host_device_scalarIT0_EES1_PKS1_PKT1_SA_S7_PKT3_PKT4_S5_PT5_21rocsparse_index_base_b
    .private_segment_fixed_size: 0
    .sgpr_count:     18
    .sgpr_spill_count: 0
    .symbol:         _ZN9rocsparseL20bsrxmvn_17_32_kernelILj20EdiifddEEvT2_20rocsparse_direction_NS_24const_host_device_scalarIT0_EES1_PKS1_PKT1_SA_S7_PKT3_PKT4_S5_PT5_21rocsparse_index_base_b.kd
    .uniform_work_group_size: 1
    .uses_dynamic_stack: false
    .vgpr_count:     16
    .vgpr_spill_count: 0
    .wavefront_size: 32
    .workgroup_processor_mode: 1
  - .args:
      - .offset:         0
        .size:           4
        .value_kind:     by_value
      - .offset:         4
        .size:           4
        .value_kind:     by_value
      - .offset:         8
        .size:           8
        .value_kind:     by_value
      - .offset:         16
        .size:           4
        .value_kind:     by_value
      - .actual_access:  read_only
        .address_space:  global
        .offset:         24
        .size:           8
        .value_kind:     global_buffer
      - .actual_access:  read_only
        .address_space:  global
        .offset:         32
        .size:           8
        .value_kind:     global_buffer
      - .actual_access:  read_only
        .address_space:  global
        .offset:         40
        .size:           8
        .value_kind:     global_buffer
      - .actual_access:  read_only
        .address_space:  global
        .offset:         48
        .size:           8
        .value_kind:     global_buffer
      - .actual_access:  read_only
        .address_space:  global
        .offset:         56
        .size:           8
        .value_kind:     global_buffer
      - .actual_access:  read_only
        .address_space:  global
        .offset:         64
        .size:           8
        .value_kind:     global_buffer
      - .offset:         72
        .size:           8
        .value_kind:     by_value
      - .address_space:  global
        .offset:         80
        .size:           8
        .value_kind:     global_buffer
      - .offset:         88
        .size:           4
        .value_kind:     by_value
      - .offset:         92
        .size:           1
        .value_kind:     by_value
    .group_segment_fixed_size: 3528
    .kernarg_segment_align: 8
    .kernarg_segment_size: 96
    .language:       OpenCL C
    .language_version:
      - 2
      - 0
    .max_flat_workgroup_size: 441
    .name:           _ZN9rocsparseL20bsrxmvn_17_32_kernelILj21EdiifddEEvT2_20rocsparse_direction_NS_24const_host_device_scalarIT0_EES1_PKS1_PKT1_SA_S7_PKT3_PKT4_S5_PT5_21rocsparse_index_base_b
    .private_segment_fixed_size: 0
    .sgpr_count:     18
    .sgpr_spill_count: 0
    .symbol:         _ZN9rocsparseL20bsrxmvn_17_32_kernelILj21EdiifddEEvT2_20rocsparse_direction_NS_24const_host_device_scalarIT0_EES1_PKS1_PKT1_SA_S7_PKT3_PKT4_S5_PT5_21rocsparse_index_base_b.kd
    .uniform_work_group_size: 1
    .uses_dynamic_stack: false
    .vgpr_count:     16
    .vgpr_spill_count: 0
    .wavefront_size: 32
    .workgroup_processor_mode: 1
  - .args:
      - .offset:         0
        .size:           4
        .value_kind:     by_value
      - .offset:         4
        .size:           4
        .value_kind:     by_value
      - .offset:         8
        .size:           8
        .value_kind:     by_value
      - .offset:         16
        .size:           4
        .value_kind:     by_value
      - .actual_access:  read_only
        .address_space:  global
        .offset:         24
        .size:           8
        .value_kind:     global_buffer
      - .actual_access:  read_only
        .address_space:  global
        .offset:         32
        .size:           8
        .value_kind:     global_buffer
      - .actual_access:  read_only
        .address_space:  global
        .offset:         40
        .size:           8
        .value_kind:     global_buffer
      - .actual_access:  read_only
        .address_space:  global
        .offset:         48
        .size:           8
        .value_kind:     global_buffer
      - .actual_access:  read_only
        .address_space:  global
        .offset:         56
        .size:           8
        .value_kind:     global_buffer
      - .actual_access:  read_only
        .address_space:  global
        .offset:         64
        .size:           8
        .value_kind:     global_buffer
      - .offset:         72
        .size:           8
        .value_kind:     by_value
      - .address_space:  global
        .offset:         80
        .size:           8
        .value_kind:     global_buffer
      - .offset:         88
        .size:           4
        .value_kind:     by_value
      - .offset:         92
        .size:           1
        .value_kind:     by_value
    .group_segment_fixed_size: 3872
    .kernarg_segment_align: 8
    .kernarg_segment_size: 96
    .language:       OpenCL C
    .language_version:
      - 2
      - 0
    .max_flat_workgroup_size: 484
    .name:           _ZN9rocsparseL20bsrxmvn_17_32_kernelILj22EdiifddEEvT2_20rocsparse_direction_NS_24const_host_device_scalarIT0_EES1_PKS1_PKT1_SA_S7_PKT3_PKT4_S5_PT5_21rocsparse_index_base_b
    .private_segment_fixed_size: 0
    .sgpr_count:     18
    .sgpr_spill_count: 0
    .symbol:         _ZN9rocsparseL20bsrxmvn_17_32_kernelILj22EdiifddEEvT2_20rocsparse_direction_NS_24const_host_device_scalarIT0_EES1_PKS1_PKT1_SA_S7_PKT3_PKT4_S5_PT5_21rocsparse_index_base_b.kd
    .uniform_work_group_size: 1
    .uses_dynamic_stack: false
    .vgpr_count:     16
    .vgpr_spill_count: 0
    .wavefront_size: 32
    .workgroup_processor_mode: 1
  - .args:
      - .offset:         0
        .size:           4
        .value_kind:     by_value
      - .offset:         4
        .size:           4
        .value_kind:     by_value
      - .offset:         8
        .size:           8
        .value_kind:     by_value
      - .offset:         16
        .size:           4
        .value_kind:     by_value
      - .actual_access:  read_only
        .address_space:  global
        .offset:         24
        .size:           8
        .value_kind:     global_buffer
      - .actual_access:  read_only
        .address_space:  global
        .offset:         32
        .size:           8
        .value_kind:     global_buffer
      - .actual_access:  read_only
        .address_space:  global
        .offset:         40
        .size:           8
        .value_kind:     global_buffer
      - .actual_access:  read_only
        .address_space:  global
        .offset:         48
        .size:           8
        .value_kind:     global_buffer
      - .actual_access:  read_only
        .address_space:  global
        .offset:         56
        .size:           8
        .value_kind:     global_buffer
      - .actual_access:  read_only
        .address_space:  global
        .offset:         64
        .size:           8
        .value_kind:     global_buffer
      - .offset:         72
        .size:           8
        .value_kind:     by_value
      - .address_space:  global
        .offset:         80
        .size:           8
        .value_kind:     global_buffer
      - .offset:         88
        .size:           4
        .value_kind:     by_value
      - .offset:         92
        .size:           1
        .value_kind:     by_value
    .group_segment_fixed_size: 4232
    .kernarg_segment_align: 8
    .kernarg_segment_size: 96
    .language:       OpenCL C
    .language_version:
      - 2
      - 0
    .max_flat_workgroup_size: 529
    .name:           _ZN9rocsparseL20bsrxmvn_17_32_kernelILj23EdiifddEEvT2_20rocsparse_direction_NS_24const_host_device_scalarIT0_EES1_PKS1_PKT1_SA_S7_PKT3_PKT4_S5_PT5_21rocsparse_index_base_b
    .private_segment_fixed_size: 0
    .sgpr_count:     18
    .sgpr_spill_count: 0
    .symbol:         _ZN9rocsparseL20bsrxmvn_17_32_kernelILj23EdiifddEEvT2_20rocsparse_direction_NS_24const_host_device_scalarIT0_EES1_PKS1_PKT1_SA_S7_PKT3_PKT4_S5_PT5_21rocsparse_index_base_b.kd
    .uniform_work_group_size: 1
    .uses_dynamic_stack: false
    .vgpr_count:     16
    .vgpr_spill_count: 0
    .wavefront_size: 32
    .workgroup_processor_mode: 1
  - .args:
      - .offset:         0
        .size:           4
        .value_kind:     by_value
      - .offset:         4
        .size:           4
        .value_kind:     by_value
      - .offset:         8
        .size:           8
        .value_kind:     by_value
      - .offset:         16
        .size:           4
        .value_kind:     by_value
      - .actual_access:  read_only
        .address_space:  global
        .offset:         24
        .size:           8
        .value_kind:     global_buffer
      - .actual_access:  read_only
        .address_space:  global
        .offset:         32
        .size:           8
        .value_kind:     global_buffer
      - .actual_access:  read_only
        .address_space:  global
        .offset:         40
        .size:           8
        .value_kind:     global_buffer
      - .actual_access:  read_only
        .address_space:  global
        .offset:         48
        .size:           8
        .value_kind:     global_buffer
      - .actual_access:  read_only
        .address_space:  global
        .offset:         56
        .size:           8
        .value_kind:     global_buffer
      - .actual_access:  read_only
        .address_space:  global
        .offset:         64
        .size:           8
        .value_kind:     global_buffer
      - .offset:         72
        .size:           8
        .value_kind:     by_value
      - .address_space:  global
        .offset:         80
        .size:           8
        .value_kind:     global_buffer
      - .offset:         88
        .size:           4
        .value_kind:     by_value
      - .offset:         92
        .size:           1
        .value_kind:     by_value
    .group_segment_fixed_size: 4608
    .kernarg_segment_align: 8
    .kernarg_segment_size: 96
    .language:       OpenCL C
    .language_version:
      - 2
      - 0
    .max_flat_workgroup_size: 576
    .name:           _ZN9rocsparseL20bsrxmvn_17_32_kernelILj24EdiifddEEvT2_20rocsparse_direction_NS_24const_host_device_scalarIT0_EES1_PKS1_PKT1_SA_S7_PKT3_PKT4_S5_PT5_21rocsparse_index_base_b
    .private_segment_fixed_size: 0
    .sgpr_count:     18
    .sgpr_spill_count: 0
    .symbol:         _ZN9rocsparseL20bsrxmvn_17_32_kernelILj24EdiifddEEvT2_20rocsparse_direction_NS_24const_host_device_scalarIT0_EES1_PKS1_PKT1_SA_S7_PKT3_PKT4_S5_PT5_21rocsparse_index_base_b.kd
    .uniform_work_group_size: 1
    .uses_dynamic_stack: false
    .vgpr_count:     16
    .vgpr_spill_count: 0
    .wavefront_size: 32
    .workgroup_processor_mode: 1
  - .args:
      - .offset:         0
        .size:           4
        .value_kind:     by_value
      - .offset:         4
        .size:           4
        .value_kind:     by_value
      - .offset:         8
        .size:           8
        .value_kind:     by_value
      - .offset:         16
        .size:           4
        .value_kind:     by_value
      - .actual_access:  read_only
        .address_space:  global
        .offset:         24
        .size:           8
        .value_kind:     global_buffer
      - .actual_access:  read_only
        .address_space:  global
        .offset:         32
        .size:           8
        .value_kind:     global_buffer
      - .actual_access:  read_only
        .address_space:  global
        .offset:         40
        .size:           8
        .value_kind:     global_buffer
      - .actual_access:  read_only
        .address_space:  global
        .offset:         48
        .size:           8
        .value_kind:     global_buffer
      - .actual_access:  read_only
        .address_space:  global
        .offset:         56
        .size:           8
        .value_kind:     global_buffer
      - .actual_access:  read_only
        .address_space:  global
        .offset:         64
        .size:           8
        .value_kind:     global_buffer
      - .offset:         72
        .size:           8
        .value_kind:     by_value
      - .address_space:  global
        .offset:         80
        .size:           8
        .value_kind:     global_buffer
      - .offset:         88
        .size:           4
        .value_kind:     by_value
      - .offset:         92
        .size:           1
        .value_kind:     by_value
    .group_segment_fixed_size: 5000
    .kernarg_segment_align: 8
    .kernarg_segment_size: 96
    .language:       OpenCL C
    .language_version:
      - 2
      - 0
    .max_flat_workgroup_size: 625
    .name:           _ZN9rocsparseL20bsrxmvn_17_32_kernelILj25EdiifddEEvT2_20rocsparse_direction_NS_24const_host_device_scalarIT0_EES1_PKS1_PKT1_SA_S7_PKT3_PKT4_S5_PT5_21rocsparse_index_base_b
    .private_segment_fixed_size: 0
    .sgpr_count:     18
    .sgpr_spill_count: 0
    .symbol:         _ZN9rocsparseL20bsrxmvn_17_32_kernelILj25EdiifddEEvT2_20rocsparse_direction_NS_24const_host_device_scalarIT0_EES1_PKS1_PKT1_SA_S7_PKT3_PKT4_S5_PT5_21rocsparse_index_base_b.kd
    .uniform_work_group_size: 1
    .uses_dynamic_stack: false
    .vgpr_count:     16
    .vgpr_spill_count: 0
    .wavefront_size: 32
    .workgroup_processor_mode: 1
  - .args:
      - .offset:         0
        .size:           4
        .value_kind:     by_value
      - .offset:         4
        .size:           4
        .value_kind:     by_value
      - .offset:         8
        .size:           8
        .value_kind:     by_value
      - .offset:         16
        .size:           4
        .value_kind:     by_value
      - .actual_access:  read_only
        .address_space:  global
        .offset:         24
        .size:           8
        .value_kind:     global_buffer
      - .actual_access:  read_only
        .address_space:  global
        .offset:         32
        .size:           8
        .value_kind:     global_buffer
      - .actual_access:  read_only
        .address_space:  global
        .offset:         40
        .size:           8
        .value_kind:     global_buffer
      - .actual_access:  read_only
        .address_space:  global
        .offset:         48
        .size:           8
        .value_kind:     global_buffer
      - .actual_access:  read_only
        .address_space:  global
        .offset:         56
        .size:           8
        .value_kind:     global_buffer
      - .actual_access:  read_only
        .address_space:  global
        .offset:         64
        .size:           8
        .value_kind:     global_buffer
      - .offset:         72
        .size:           8
        .value_kind:     by_value
      - .address_space:  global
        .offset:         80
        .size:           8
        .value_kind:     global_buffer
      - .offset:         88
        .size:           4
        .value_kind:     by_value
      - .offset:         92
        .size:           1
        .value_kind:     by_value
    .group_segment_fixed_size: 5408
    .kernarg_segment_align: 8
    .kernarg_segment_size: 96
    .language:       OpenCL C
    .language_version:
      - 2
      - 0
    .max_flat_workgroup_size: 676
    .name:           _ZN9rocsparseL20bsrxmvn_17_32_kernelILj26EdiifddEEvT2_20rocsparse_direction_NS_24const_host_device_scalarIT0_EES1_PKS1_PKT1_SA_S7_PKT3_PKT4_S5_PT5_21rocsparse_index_base_b
    .private_segment_fixed_size: 0
    .sgpr_count:     18
    .sgpr_spill_count: 0
    .symbol:         _ZN9rocsparseL20bsrxmvn_17_32_kernelILj26EdiifddEEvT2_20rocsparse_direction_NS_24const_host_device_scalarIT0_EES1_PKS1_PKT1_SA_S7_PKT3_PKT4_S5_PT5_21rocsparse_index_base_b.kd
    .uniform_work_group_size: 1
    .uses_dynamic_stack: false
    .vgpr_count:     16
    .vgpr_spill_count: 0
    .wavefront_size: 32
    .workgroup_processor_mode: 1
  - .args:
      - .offset:         0
        .size:           4
        .value_kind:     by_value
      - .offset:         4
        .size:           4
        .value_kind:     by_value
      - .offset:         8
        .size:           8
        .value_kind:     by_value
      - .offset:         16
        .size:           4
        .value_kind:     by_value
      - .actual_access:  read_only
        .address_space:  global
        .offset:         24
        .size:           8
        .value_kind:     global_buffer
      - .actual_access:  read_only
        .address_space:  global
        .offset:         32
        .size:           8
        .value_kind:     global_buffer
      - .actual_access:  read_only
        .address_space:  global
        .offset:         40
        .size:           8
        .value_kind:     global_buffer
      - .actual_access:  read_only
        .address_space:  global
        .offset:         48
        .size:           8
        .value_kind:     global_buffer
      - .actual_access:  read_only
        .address_space:  global
        .offset:         56
        .size:           8
        .value_kind:     global_buffer
      - .actual_access:  read_only
        .address_space:  global
        .offset:         64
        .size:           8
        .value_kind:     global_buffer
      - .offset:         72
        .size:           8
        .value_kind:     by_value
      - .address_space:  global
        .offset:         80
        .size:           8
        .value_kind:     global_buffer
      - .offset:         88
        .size:           4
        .value_kind:     by_value
      - .offset:         92
        .size:           1
        .value_kind:     by_value
    .group_segment_fixed_size: 5832
    .kernarg_segment_align: 8
    .kernarg_segment_size: 96
    .language:       OpenCL C
    .language_version:
      - 2
      - 0
    .max_flat_workgroup_size: 729
    .name:           _ZN9rocsparseL20bsrxmvn_17_32_kernelILj27EdiifddEEvT2_20rocsparse_direction_NS_24const_host_device_scalarIT0_EES1_PKS1_PKT1_SA_S7_PKT3_PKT4_S5_PT5_21rocsparse_index_base_b
    .private_segment_fixed_size: 0
    .sgpr_count:     18
    .sgpr_spill_count: 0
    .symbol:         _ZN9rocsparseL20bsrxmvn_17_32_kernelILj27EdiifddEEvT2_20rocsparse_direction_NS_24const_host_device_scalarIT0_EES1_PKS1_PKT1_SA_S7_PKT3_PKT4_S5_PT5_21rocsparse_index_base_b.kd
    .uniform_work_group_size: 1
    .uses_dynamic_stack: false
    .vgpr_count:     16
    .vgpr_spill_count: 0
    .wavefront_size: 32
    .workgroup_processor_mode: 1
  - .args:
      - .offset:         0
        .size:           4
        .value_kind:     by_value
      - .offset:         4
        .size:           4
        .value_kind:     by_value
      - .offset:         8
        .size:           8
        .value_kind:     by_value
      - .offset:         16
        .size:           4
        .value_kind:     by_value
      - .actual_access:  read_only
        .address_space:  global
        .offset:         24
        .size:           8
        .value_kind:     global_buffer
      - .actual_access:  read_only
        .address_space:  global
        .offset:         32
        .size:           8
        .value_kind:     global_buffer
      - .actual_access:  read_only
        .address_space:  global
        .offset:         40
        .size:           8
        .value_kind:     global_buffer
      - .actual_access:  read_only
        .address_space:  global
        .offset:         48
        .size:           8
        .value_kind:     global_buffer
      - .actual_access:  read_only
        .address_space:  global
        .offset:         56
        .size:           8
        .value_kind:     global_buffer
      - .actual_access:  read_only
        .address_space:  global
        .offset:         64
        .size:           8
        .value_kind:     global_buffer
      - .offset:         72
        .size:           8
        .value_kind:     by_value
      - .address_space:  global
        .offset:         80
        .size:           8
        .value_kind:     global_buffer
      - .offset:         88
        .size:           4
        .value_kind:     by_value
      - .offset:         92
        .size:           1
        .value_kind:     by_value
    .group_segment_fixed_size: 6272
    .kernarg_segment_align: 8
    .kernarg_segment_size: 96
    .language:       OpenCL C
    .language_version:
      - 2
      - 0
    .max_flat_workgroup_size: 784
    .name:           _ZN9rocsparseL20bsrxmvn_17_32_kernelILj28EdiifddEEvT2_20rocsparse_direction_NS_24const_host_device_scalarIT0_EES1_PKS1_PKT1_SA_S7_PKT3_PKT4_S5_PT5_21rocsparse_index_base_b
    .private_segment_fixed_size: 0
    .sgpr_count:     18
    .sgpr_spill_count: 0
    .symbol:         _ZN9rocsparseL20bsrxmvn_17_32_kernelILj28EdiifddEEvT2_20rocsparse_direction_NS_24const_host_device_scalarIT0_EES1_PKS1_PKT1_SA_S7_PKT3_PKT4_S5_PT5_21rocsparse_index_base_b.kd
    .uniform_work_group_size: 1
    .uses_dynamic_stack: false
    .vgpr_count:     16
    .vgpr_spill_count: 0
    .wavefront_size: 32
    .workgroup_processor_mode: 1
  - .args:
      - .offset:         0
        .size:           4
        .value_kind:     by_value
      - .offset:         4
        .size:           4
        .value_kind:     by_value
      - .offset:         8
        .size:           8
        .value_kind:     by_value
      - .offset:         16
        .size:           4
        .value_kind:     by_value
      - .actual_access:  read_only
        .address_space:  global
        .offset:         24
        .size:           8
        .value_kind:     global_buffer
      - .actual_access:  read_only
        .address_space:  global
        .offset:         32
        .size:           8
        .value_kind:     global_buffer
      - .actual_access:  read_only
        .address_space:  global
        .offset:         40
        .size:           8
        .value_kind:     global_buffer
      - .actual_access:  read_only
        .address_space:  global
        .offset:         48
        .size:           8
        .value_kind:     global_buffer
      - .actual_access:  read_only
        .address_space:  global
        .offset:         56
        .size:           8
        .value_kind:     global_buffer
      - .actual_access:  read_only
        .address_space:  global
        .offset:         64
        .size:           8
        .value_kind:     global_buffer
      - .offset:         72
        .size:           8
        .value_kind:     by_value
      - .address_space:  global
        .offset:         80
        .size:           8
        .value_kind:     global_buffer
      - .offset:         88
        .size:           4
        .value_kind:     by_value
      - .offset:         92
        .size:           1
        .value_kind:     by_value
    .group_segment_fixed_size: 6728
    .kernarg_segment_align: 8
    .kernarg_segment_size: 96
    .language:       OpenCL C
    .language_version:
      - 2
      - 0
    .max_flat_workgroup_size: 841
    .name:           _ZN9rocsparseL20bsrxmvn_17_32_kernelILj29EdiifddEEvT2_20rocsparse_direction_NS_24const_host_device_scalarIT0_EES1_PKS1_PKT1_SA_S7_PKT3_PKT4_S5_PT5_21rocsparse_index_base_b
    .private_segment_fixed_size: 0
    .sgpr_count:     18
    .sgpr_spill_count: 0
    .symbol:         _ZN9rocsparseL20bsrxmvn_17_32_kernelILj29EdiifddEEvT2_20rocsparse_direction_NS_24const_host_device_scalarIT0_EES1_PKS1_PKT1_SA_S7_PKT3_PKT4_S5_PT5_21rocsparse_index_base_b.kd
    .uniform_work_group_size: 1
    .uses_dynamic_stack: false
    .vgpr_count:     16
    .vgpr_spill_count: 0
    .wavefront_size: 32
    .workgroup_processor_mode: 1
  - .args:
      - .offset:         0
        .size:           4
        .value_kind:     by_value
      - .offset:         4
        .size:           4
        .value_kind:     by_value
      - .offset:         8
        .size:           8
        .value_kind:     by_value
      - .offset:         16
        .size:           4
        .value_kind:     by_value
      - .actual_access:  read_only
        .address_space:  global
        .offset:         24
        .size:           8
        .value_kind:     global_buffer
      - .actual_access:  read_only
        .address_space:  global
        .offset:         32
        .size:           8
        .value_kind:     global_buffer
      - .actual_access:  read_only
        .address_space:  global
        .offset:         40
        .size:           8
        .value_kind:     global_buffer
      - .actual_access:  read_only
        .address_space:  global
        .offset:         48
        .size:           8
        .value_kind:     global_buffer
      - .actual_access:  read_only
        .address_space:  global
        .offset:         56
        .size:           8
        .value_kind:     global_buffer
      - .actual_access:  read_only
        .address_space:  global
        .offset:         64
        .size:           8
        .value_kind:     global_buffer
      - .offset:         72
        .size:           8
        .value_kind:     by_value
      - .address_space:  global
        .offset:         80
        .size:           8
        .value_kind:     global_buffer
      - .offset:         88
        .size:           4
        .value_kind:     by_value
      - .offset:         92
        .size:           1
        .value_kind:     by_value
    .group_segment_fixed_size: 7200
    .kernarg_segment_align: 8
    .kernarg_segment_size: 96
    .language:       OpenCL C
    .language_version:
      - 2
      - 0
    .max_flat_workgroup_size: 900
    .name:           _ZN9rocsparseL20bsrxmvn_17_32_kernelILj30EdiifddEEvT2_20rocsparse_direction_NS_24const_host_device_scalarIT0_EES1_PKS1_PKT1_SA_S7_PKT3_PKT4_S5_PT5_21rocsparse_index_base_b
    .private_segment_fixed_size: 0
    .sgpr_count:     18
    .sgpr_spill_count: 0
    .symbol:         _ZN9rocsparseL20bsrxmvn_17_32_kernelILj30EdiifddEEvT2_20rocsparse_direction_NS_24const_host_device_scalarIT0_EES1_PKS1_PKT1_SA_S7_PKT3_PKT4_S5_PT5_21rocsparse_index_base_b.kd
    .uniform_work_group_size: 1
    .uses_dynamic_stack: false
    .vgpr_count:     16
    .vgpr_spill_count: 0
    .wavefront_size: 32
    .workgroup_processor_mode: 1
  - .args:
      - .offset:         0
        .size:           4
        .value_kind:     by_value
      - .offset:         4
        .size:           4
        .value_kind:     by_value
      - .offset:         8
        .size:           8
        .value_kind:     by_value
      - .offset:         16
        .size:           4
        .value_kind:     by_value
      - .actual_access:  read_only
        .address_space:  global
        .offset:         24
        .size:           8
        .value_kind:     global_buffer
      - .actual_access:  read_only
        .address_space:  global
        .offset:         32
        .size:           8
        .value_kind:     global_buffer
      - .actual_access:  read_only
        .address_space:  global
        .offset:         40
        .size:           8
        .value_kind:     global_buffer
      - .actual_access:  read_only
        .address_space:  global
        .offset:         48
        .size:           8
        .value_kind:     global_buffer
      - .actual_access:  read_only
        .address_space:  global
        .offset:         56
        .size:           8
        .value_kind:     global_buffer
      - .actual_access:  read_only
        .address_space:  global
        .offset:         64
        .size:           8
        .value_kind:     global_buffer
      - .offset:         72
        .size:           8
        .value_kind:     by_value
      - .address_space:  global
        .offset:         80
        .size:           8
        .value_kind:     global_buffer
      - .offset:         88
        .size:           4
        .value_kind:     by_value
      - .offset:         92
        .size:           1
        .value_kind:     by_value
    .group_segment_fixed_size: 7688
    .kernarg_segment_align: 8
    .kernarg_segment_size: 96
    .language:       OpenCL C
    .language_version:
      - 2
      - 0
    .max_flat_workgroup_size: 961
    .name:           _ZN9rocsparseL20bsrxmvn_17_32_kernelILj31EdiifddEEvT2_20rocsparse_direction_NS_24const_host_device_scalarIT0_EES1_PKS1_PKT1_SA_S7_PKT3_PKT4_S5_PT5_21rocsparse_index_base_b
    .private_segment_fixed_size: 0
    .sgpr_count:     18
    .sgpr_spill_count: 0
    .symbol:         _ZN9rocsparseL20bsrxmvn_17_32_kernelILj31EdiifddEEvT2_20rocsparse_direction_NS_24const_host_device_scalarIT0_EES1_PKS1_PKT1_SA_S7_PKT3_PKT4_S5_PT5_21rocsparse_index_base_b.kd
    .uniform_work_group_size: 1
    .uses_dynamic_stack: false
    .vgpr_count:     16
    .vgpr_spill_count: 0
    .wavefront_size: 32
    .workgroup_processor_mode: 1
  - .args:
      - .offset:         0
        .size:           4
        .value_kind:     by_value
      - .offset:         4
        .size:           4
        .value_kind:     by_value
      - .offset:         8
        .size:           8
        .value_kind:     by_value
      - .offset:         16
        .size:           4
        .value_kind:     by_value
      - .actual_access:  read_only
        .address_space:  global
        .offset:         24
        .size:           8
        .value_kind:     global_buffer
      - .actual_access:  read_only
        .address_space:  global
        .offset:         32
        .size:           8
        .value_kind:     global_buffer
      - .actual_access:  read_only
        .address_space:  global
        .offset:         40
        .size:           8
        .value_kind:     global_buffer
      - .actual_access:  read_only
        .address_space:  global
        .offset:         48
        .size:           8
        .value_kind:     global_buffer
      - .actual_access:  read_only
        .address_space:  global
        .offset:         56
        .size:           8
        .value_kind:     global_buffer
      - .actual_access:  read_only
        .address_space:  global
        .offset:         64
        .size:           8
        .value_kind:     global_buffer
      - .offset:         72
        .size:           8
        .value_kind:     by_value
      - .address_space:  global
        .offset:         80
        .size:           8
        .value_kind:     global_buffer
      - .offset:         88
        .size:           4
        .value_kind:     by_value
      - .offset:         92
        .size:           1
        .value_kind:     by_value
    .group_segment_fixed_size: 8192
    .kernarg_segment_align: 8
    .kernarg_segment_size: 96
    .language:       OpenCL C
    .language_version:
      - 2
      - 0
    .max_flat_workgroup_size: 1024
    .name:           _ZN9rocsparseL20bsrxmvn_17_32_kernelILj32EdiifddEEvT2_20rocsparse_direction_NS_24const_host_device_scalarIT0_EES1_PKS1_PKT1_SA_S7_PKT3_PKT4_S5_PT5_21rocsparse_index_base_b
    .private_segment_fixed_size: 0
    .sgpr_count:     20
    .sgpr_spill_count: 0
    .symbol:         _ZN9rocsparseL20bsrxmvn_17_32_kernelILj32EdiifddEEvT2_20rocsparse_direction_NS_24const_host_device_scalarIT0_EES1_PKS1_PKT1_SA_S7_PKT3_PKT4_S5_PT5_21rocsparse_index_base_b.kd
    .uniform_work_group_size: 1
    .uses_dynamic_stack: false
    .vgpr_count:     15
    .vgpr_spill_count: 0
    .wavefront_size: 32
    .workgroup_processor_mode: 1
  - .args:
      - .offset:         0
        .size:           4
        .value_kind:     by_value
      - .offset:         4
        .size:           4
        .value_kind:     by_value
      - .offset:         8
        .size:           8
        .value_kind:     by_value
      - .offset:         16
        .size:           4
        .value_kind:     by_value
      - .actual_access:  read_only
        .address_space:  global
        .offset:         24
        .size:           8
        .value_kind:     global_buffer
      - .actual_access:  read_only
        .address_space:  global
        .offset:         32
        .size:           8
        .value_kind:     global_buffer
      - .actual_access:  read_only
        .address_space:  global
        .offset:         40
        .size:           8
        .value_kind:     global_buffer
      - .actual_access:  read_only
        .address_space:  global
        .offset:         48
        .size:           8
        .value_kind:     global_buffer
      - .actual_access:  read_only
        .address_space:  global
        .offset:         56
        .size:           8
        .value_kind:     global_buffer
      - .actual_access:  read_only
        .address_space:  global
        .offset:         64
        .size:           8
        .value_kind:     global_buffer
      - .offset:         72
        .size:           8
        .value_kind:     by_value
      - .address_space:  global
        .offset:         80
        .size:           8
        .value_kind:     global_buffer
      - .offset:         88
        .size:           4
        .value_kind:     by_value
      - .offset:         92
        .size:           1
        .value_kind:     by_value
    .group_segment_fixed_size: 2312
    .kernarg_segment_align: 8
    .kernarg_segment_size: 96
    .language:       OpenCL C
    .language_version:
      - 2
      - 0
    .max_flat_workgroup_size: 289
    .name:           _ZN9rocsparseL20bsrxmvn_17_32_kernelILj17EdlifddEEvT2_20rocsparse_direction_NS_24const_host_device_scalarIT0_EES1_PKS1_PKT1_SA_S7_PKT3_PKT4_S5_PT5_21rocsparse_index_base_b
    .private_segment_fixed_size: 0
    .sgpr_count:     22
    .sgpr_spill_count: 0
    .symbol:         _ZN9rocsparseL20bsrxmvn_17_32_kernelILj17EdlifddEEvT2_20rocsparse_direction_NS_24const_host_device_scalarIT0_EES1_PKS1_PKT1_SA_S7_PKT3_PKT4_S5_PT5_21rocsparse_index_base_b.kd
    .uniform_work_group_size: 1
    .uses_dynamic_stack: false
    .vgpr_count:     18
    .vgpr_spill_count: 0
    .wavefront_size: 32
    .workgroup_processor_mode: 1
  - .args:
      - .offset:         0
        .size:           4
        .value_kind:     by_value
      - .offset:         4
        .size:           4
        .value_kind:     by_value
      - .offset:         8
        .size:           8
        .value_kind:     by_value
      - .offset:         16
        .size:           4
        .value_kind:     by_value
      - .actual_access:  read_only
        .address_space:  global
        .offset:         24
        .size:           8
        .value_kind:     global_buffer
      - .actual_access:  read_only
        .address_space:  global
        .offset:         32
        .size:           8
        .value_kind:     global_buffer
      - .actual_access:  read_only
        .address_space:  global
        .offset:         40
        .size:           8
        .value_kind:     global_buffer
      - .actual_access:  read_only
        .address_space:  global
        .offset:         48
        .size:           8
        .value_kind:     global_buffer
      - .actual_access:  read_only
        .address_space:  global
        .offset:         56
        .size:           8
        .value_kind:     global_buffer
      - .actual_access:  read_only
        .address_space:  global
        .offset:         64
        .size:           8
        .value_kind:     global_buffer
      - .offset:         72
        .size:           8
        .value_kind:     by_value
      - .address_space:  global
        .offset:         80
        .size:           8
        .value_kind:     global_buffer
      - .offset:         88
        .size:           4
        .value_kind:     by_value
      - .offset:         92
        .size:           1
        .value_kind:     by_value
    .group_segment_fixed_size: 2592
    .kernarg_segment_align: 8
    .kernarg_segment_size: 96
    .language:       OpenCL C
    .language_version:
      - 2
      - 0
    .max_flat_workgroup_size: 324
    .name:           _ZN9rocsparseL20bsrxmvn_17_32_kernelILj18EdlifddEEvT2_20rocsparse_direction_NS_24const_host_device_scalarIT0_EES1_PKS1_PKT1_SA_S7_PKT3_PKT4_S5_PT5_21rocsparse_index_base_b
    .private_segment_fixed_size: 0
    .sgpr_count:     22
    .sgpr_spill_count: 0
    .symbol:         _ZN9rocsparseL20bsrxmvn_17_32_kernelILj18EdlifddEEvT2_20rocsparse_direction_NS_24const_host_device_scalarIT0_EES1_PKS1_PKT1_SA_S7_PKT3_PKT4_S5_PT5_21rocsparse_index_base_b.kd
    .uniform_work_group_size: 1
    .uses_dynamic_stack: false
    .vgpr_count:     18
    .vgpr_spill_count: 0
    .wavefront_size: 32
    .workgroup_processor_mode: 1
  - .args:
      - .offset:         0
        .size:           4
        .value_kind:     by_value
      - .offset:         4
        .size:           4
        .value_kind:     by_value
      - .offset:         8
        .size:           8
        .value_kind:     by_value
      - .offset:         16
        .size:           4
        .value_kind:     by_value
      - .actual_access:  read_only
        .address_space:  global
        .offset:         24
        .size:           8
        .value_kind:     global_buffer
      - .actual_access:  read_only
        .address_space:  global
        .offset:         32
        .size:           8
        .value_kind:     global_buffer
      - .actual_access:  read_only
        .address_space:  global
        .offset:         40
        .size:           8
        .value_kind:     global_buffer
      - .actual_access:  read_only
        .address_space:  global
        .offset:         48
        .size:           8
        .value_kind:     global_buffer
      - .actual_access:  read_only
        .address_space:  global
        .offset:         56
        .size:           8
        .value_kind:     global_buffer
      - .actual_access:  read_only
        .address_space:  global
        .offset:         64
        .size:           8
        .value_kind:     global_buffer
      - .offset:         72
        .size:           8
        .value_kind:     by_value
      - .address_space:  global
        .offset:         80
        .size:           8
        .value_kind:     global_buffer
      - .offset:         88
        .size:           4
        .value_kind:     by_value
      - .offset:         92
        .size:           1
        .value_kind:     by_value
    .group_segment_fixed_size: 2888
    .kernarg_segment_align: 8
    .kernarg_segment_size: 96
    .language:       OpenCL C
    .language_version:
      - 2
      - 0
    .max_flat_workgroup_size: 361
    .name:           _ZN9rocsparseL20bsrxmvn_17_32_kernelILj19EdlifddEEvT2_20rocsparse_direction_NS_24const_host_device_scalarIT0_EES1_PKS1_PKT1_SA_S7_PKT3_PKT4_S5_PT5_21rocsparse_index_base_b
    .private_segment_fixed_size: 0
    .sgpr_count:     22
    .sgpr_spill_count: 0
    .symbol:         _ZN9rocsparseL20bsrxmvn_17_32_kernelILj19EdlifddEEvT2_20rocsparse_direction_NS_24const_host_device_scalarIT0_EES1_PKS1_PKT1_SA_S7_PKT3_PKT4_S5_PT5_21rocsparse_index_base_b.kd
    .uniform_work_group_size: 1
    .uses_dynamic_stack: false
    .vgpr_count:     18
    .vgpr_spill_count: 0
    .wavefront_size: 32
    .workgroup_processor_mode: 1
  - .args:
      - .offset:         0
        .size:           4
        .value_kind:     by_value
      - .offset:         4
        .size:           4
        .value_kind:     by_value
      - .offset:         8
        .size:           8
        .value_kind:     by_value
      - .offset:         16
        .size:           4
        .value_kind:     by_value
      - .actual_access:  read_only
        .address_space:  global
        .offset:         24
        .size:           8
        .value_kind:     global_buffer
      - .actual_access:  read_only
        .address_space:  global
        .offset:         32
        .size:           8
        .value_kind:     global_buffer
      - .actual_access:  read_only
        .address_space:  global
        .offset:         40
        .size:           8
        .value_kind:     global_buffer
      - .actual_access:  read_only
        .address_space:  global
        .offset:         48
        .size:           8
        .value_kind:     global_buffer
      - .actual_access:  read_only
        .address_space:  global
        .offset:         56
        .size:           8
        .value_kind:     global_buffer
      - .actual_access:  read_only
        .address_space:  global
        .offset:         64
        .size:           8
        .value_kind:     global_buffer
      - .offset:         72
        .size:           8
        .value_kind:     by_value
      - .address_space:  global
        .offset:         80
        .size:           8
        .value_kind:     global_buffer
      - .offset:         88
        .size:           4
        .value_kind:     by_value
      - .offset:         92
        .size:           1
        .value_kind:     by_value
    .group_segment_fixed_size: 3200
    .kernarg_segment_align: 8
    .kernarg_segment_size: 96
    .language:       OpenCL C
    .language_version:
      - 2
      - 0
    .max_flat_workgroup_size: 400
    .name:           _ZN9rocsparseL20bsrxmvn_17_32_kernelILj20EdlifddEEvT2_20rocsparse_direction_NS_24const_host_device_scalarIT0_EES1_PKS1_PKT1_SA_S7_PKT3_PKT4_S5_PT5_21rocsparse_index_base_b
    .private_segment_fixed_size: 0
    .sgpr_count:     22
    .sgpr_spill_count: 0
    .symbol:         _ZN9rocsparseL20bsrxmvn_17_32_kernelILj20EdlifddEEvT2_20rocsparse_direction_NS_24const_host_device_scalarIT0_EES1_PKS1_PKT1_SA_S7_PKT3_PKT4_S5_PT5_21rocsparse_index_base_b.kd
    .uniform_work_group_size: 1
    .uses_dynamic_stack: false
    .vgpr_count:     18
    .vgpr_spill_count: 0
    .wavefront_size: 32
    .workgroup_processor_mode: 1
  - .args:
      - .offset:         0
        .size:           4
        .value_kind:     by_value
      - .offset:         4
        .size:           4
        .value_kind:     by_value
      - .offset:         8
        .size:           8
        .value_kind:     by_value
      - .offset:         16
        .size:           4
        .value_kind:     by_value
      - .actual_access:  read_only
        .address_space:  global
        .offset:         24
        .size:           8
        .value_kind:     global_buffer
      - .actual_access:  read_only
        .address_space:  global
        .offset:         32
        .size:           8
        .value_kind:     global_buffer
      - .actual_access:  read_only
        .address_space:  global
        .offset:         40
        .size:           8
        .value_kind:     global_buffer
      - .actual_access:  read_only
        .address_space:  global
        .offset:         48
        .size:           8
        .value_kind:     global_buffer
      - .actual_access:  read_only
        .address_space:  global
        .offset:         56
        .size:           8
        .value_kind:     global_buffer
      - .actual_access:  read_only
        .address_space:  global
        .offset:         64
        .size:           8
        .value_kind:     global_buffer
      - .offset:         72
        .size:           8
        .value_kind:     by_value
      - .address_space:  global
        .offset:         80
        .size:           8
        .value_kind:     global_buffer
      - .offset:         88
        .size:           4
        .value_kind:     by_value
      - .offset:         92
        .size:           1
        .value_kind:     by_value
    .group_segment_fixed_size: 3528
    .kernarg_segment_align: 8
    .kernarg_segment_size: 96
    .language:       OpenCL C
    .language_version:
      - 2
      - 0
    .max_flat_workgroup_size: 441
    .name:           _ZN9rocsparseL20bsrxmvn_17_32_kernelILj21EdlifddEEvT2_20rocsparse_direction_NS_24const_host_device_scalarIT0_EES1_PKS1_PKT1_SA_S7_PKT3_PKT4_S5_PT5_21rocsparse_index_base_b
    .private_segment_fixed_size: 0
    .sgpr_count:     22
    .sgpr_spill_count: 0
    .symbol:         _ZN9rocsparseL20bsrxmvn_17_32_kernelILj21EdlifddEEvT2_20rocsparse_direction_NS_24const_host_device_scalarIT0_EES1_PKS1_PKT1_SA_S7_PKT3_PKT4_S5_PT5_21rocsparse_index_base_b.kd
    .uniform_work_group_size: 1
    .uses_dynamic_stack: false
    .vgpr_count:     18
    .vgpr_spill_count: 0
    .wavefront_size: 32
    .workgroup_processor_mode: 1
  - .args:
      - .offset:         0
        .size:           4
        .value_kind:     by_value
      - .offset:         4
        .size:           4
        .value_kind:     by_value
      - .offset:         8
        .size:           8
        .value_kind:     by_value
      - .offset:         16
        .size:           4
        .value_kind:     by_value
      - .actual_access:  read_only
        .address_space:  global
        .offset:         24
        .size:           8
        .value_kind:     global_buffer
      - .actual_access:  read_only
        .address_space:  global
        .offset:         32
        .size:           8
        .value_kind:     global_buffer
      - .actual_access:  read_only
        .address_space:  global
        .offset:         40
        .size:           8
        .value_kind:     global_buffer
      - .actual_access:  read_only
        .address_space:  global
        .offset:         48
        .size:           8
        .value_kind:     global_buffer
      - .actual_access:  read_only
        .address_space:  global
        .offset:         56
        .size:           8
        .value_kind:     global_buffer
      - .actual_access:  read_only
        .address_space:  global
        .offset:         64
        .size:           8
        .value_kind:     global_buffer
      - .offset:         72
        .size:           8
        .value_kind:     by_value
      - .address_space:  global
        .offset:         80
        .size:           8
        .value_kind:     global_buffer
      - .offset:         88
        .size:           4
        .value_kind:     by_value
      - .offset:         92
        .size:           1
        .value_kind:     by_value
    .group_segment_fixed_size: 3872
    .kernarg_segment_align: 8
    .kernarg_segment_size: 96
    .language:       OpenCL C
    .language_version:
      - 2
      - 0
    .max_flat_workgroup_size: 484
    .name:           _ZN9rocsparseL20bsrxmvn_17_32_kernelILj22EdlifddEEvT2_20rocsparse_direction_NS_24const_host_device_scalarIT0_EES1_PKS1_PKT1_SA_S7_PKT3_PKT4_S5_PT5_21rocsparse_index_base_b
    .private_segment_fixed_size: 0
    .sgpr_count:     22
    .sgpr_spill_count: 0
    .symbol:         _ZN9rocsparseL20bsrxmvn_17_32_kernelILj22EdlifddEEvT2_20rocsparse_direction_NS_24const_host_device_scalarIT0_EES1_PKS1_PKT1_SA_S7_PKT3_PKT4_S5_PT5_21rocsparse_index_base_b.kd
    .uniform_work_group_size: 1
    .uses_dynamic_stack: false
    .vgpr_count:     18
    .vgpr_spill_count: 0
    .wavefront_size: 32
    .workgroup_processor_mode: 1
  - .args:
      - .offset:         0
        .size:           4
        .value_kind:     by_value
      - .offset:         4
        .size:           4
        .value_kind:     by_value
      - .offset:         8
        .size:           8
        .value_kind:     by_value
      - .offset:         16
        .size:           4
        .value_kind:     by_value
      - .actual_access:  read_only
        .address_space:  global
        .offset:         24
        .size:           8
        .value_kind:     global_buffer
      - .actual_access:  read_only
        .address_space:  global
        .offset:         32
        .size:           8
        .value_kind:     global_buffer
      - .actual_access:  read_only
        .address_space:  global
        .offset:         40
        .size:           8
        .value_kind:     global_buffer
      - .actual_access:  read_only
        .address_space:  global
        .offset:         48
        .size:           8
        .value_kind:     global_buffer
      - .actual_access:  read_only
        .address_space:  global
        .offset:         56
        .size:           8
        .value_kind:     global_buffer
      - .actual_access:  read_only
        .address_space:  global
        .offset:         64
        .size:           8
        .value_kind:     global_buffer
      - .offset:         72
        .size:           8
        .value_kind:     by_value
      - .address_space:  global
        .offset:         80
        .size:           8
        .value_kind:     global_buffer
      - .offset:         88
        .size:           4
        .value_kind:     by_value
      - .offset:         92
        .size:           1
        .value_kind:     by_value
    .group_segment_fixed_size: 4232
    .kernarg_segment_align: 8
    .kernarg_segment_size: 96
    .language:       OpenCL C
    .language_version:
      - 2
      - 0
    .max_flat_workgroup_size: 529
    .name:           _ZN9rocsparseL20bsrxmvn_17_32_kernelILj23EdlifddEEvT2_20rocsparse_direction_NS_24const_host_device_scalarIT0_EES1_PKS1_PKT1_SA_S7_PKT3_PKT4_S5_PT5_21rocsparse_index_base_b
    .private_segment_fixed_size: 0
    .sgpr_count:     22
    .sgpr_spill_count: 0
    .symbol:         _ZN9rocsparseL20bsrxmvn_17_32_kernelILj23EdlifddEEvT2_20rocsparse_direction_NS_24const_host_device_scalarIT0_EES1_PKS1_PKT1_SA_S7_PKT3_PKT4_S5_PT5_21rocsparse_index_base_b.kd
    .uniform_work_group_size: 1
    .uses_dynamic_stack: false
    .vgpr_count:     18
    .vgpr_spill_count: 0
    .wavefront_size: 32
    .workgroup_processor_mode: 1
  - .args:
      - .offset:         0
        .size:           4
        .value_kind:     by_value
      - .offset:         4
        .size:           4
        .value_kind:     by_value
      - .offset:         8
        .size:           8
        .value_kind:     by_value
      - .offset:         16
        .size:           4
        .value_kind:     by_value
      - .actual_access:  read_only
        .address_space:  global
        .offset:         24
        .size:           8
        .value_kind:     global_buffer
      - .actual_access:  read_only
        .address_space:  global
        .offset:         32
        .size:           8
        .value_kind:     global_buffer
      - .actual_access:  read_only
        .address_space:  global
        .offset:         40
        .size:           8
        .value_kind:     global_buffer
      - .actual_access:  read_only
        .address_space:  global
        .offset:         48
        .size:           8
        .value_kind:     global_buffer
      - .actual_access:  read_only
        .address_space:  global
        .offset:         56
        .size:           8
        .value_kind:     global_buffer
      - .actual_access:  read_only
        .address_space:  global
        .offset:         64
        .size:           8
        .value_kind:     global_buffer
      - .offset:         72
        .size:           8
        .value_kind:     by_value
      - .address_space:  global
        .offset:         80
        .size:           8
        .value_kind:     global_buffer
      - .offset:         88
        .size:           4
        .value_kind:     by_value
      - .offset:         92
        .size:           1
        .value_kind:     by_value
    .group_segment_fixed_size: 4608
    .kernarg_segment_align: 8
    .kernarg_segment_size: 96
    .language:       OpenCL C
    .language_version:
      - 2
      - 0
    .max_flat_workgroup_size: 576
    .name:           _ZN9rocsparseL20bsrxmvn_17_32_kernelILj24EdlifddEEvT2_20rocsparse_direction_NS_24const_host_device_scalarIT0_EES1_PKS1_PKT1_SA_S7_PKT3_PKT4_S5_PT5_21rocsparse_index_base_b
    .private_segment_fixed_size: 0
    .sgpr_count:     22
    .sgpr_spill_count: 0
    .symbol:         _ZN9rocsparseL20bsrxmvn_17_32_kernelILj24EdlifddEEvT2_20rocsparse_direction_NS_24const_host_device_scalarIT0_EES1_PKS1_PKT1_SA_S7_PKT3_PKT4_S5_PT5_21rocsparse_index_base_b.kd
    .uniform_work_group_size: 1
    .uses_dynamic_stack: false
    .vgpr_count:     18
    .vgpr_spill_count: 0
    .wavefront_size: 32
    .workgroup_processor_mode: 1
  - .args:
      - .offset:         0
        .size:           4
        .value_kind:     by_value
      - .offset:         4
        .size:           4
        .value_kind:     by_value
      - .offset:         8
        .size:           8
        .value_kind:     by_value
      - .offset:         16
        .size:           4
        .value_kind:     by_value
      - .actual_access:  read_only
        .address_space:  global
        .offset:         24
        .size:           8
        .value_kind:     global_buffer
      - .actual_access:  read_only
        .address_space:  global
        .offset:         32
        .size:           8
        .value_kind:     global_buffer
      - .actual_access:  read_only
        .address_space:  global
        .offset:         40
        .size:           8
        .value_kind:     global_buffer
      - .actual_access:  read_only
        .address_space:  global
        .offset:         48
        .size:           8
        .value_kind:     global_buffer
      - .actual_access:  read_only
        .address_space:  global
        .offset:         56
        .size:           8
        .value_kind:     global_buffer
      - .actual_access:  read_only
        .address_space:  global
        .offset:         64
        .size:           8
        .value_kind:     global_buffer
      - .offset:         72
        .size:           8
        .value_kind:     by_value
      - .address_space:  global
        .offset:         80
        .size:           8
        .value_kind:     global_buffer
      - .offset:         88
        .size:           4
        .value_kind:     by_value
      - .offset:         92
        .size:           1
        .value_kind:     by_value
    .group_segment_fixed_size: 5000
    .kernarg_segment_align: 8
    .kernarg_segment_size: 96
    .language:       OpenCL C
    .language_version:
      - 2
      - 0
    .max_flat_workgroup_size: 625
    .name:           _ZN9rocsparseL20bsrxmvn_17_32_kernelILj25EdlifddEEvT2_20rocsparse_direction_NS_24const_host_device_scalarIT0_EES1_PKS1_PKT1_SA_S7_PKT3_PKT4_S5_PT5_21rocsparse_index_base_b
    .private_segment_fixed_size: 0
    .sgpr_count:     22
    .sgpr_spill_count: 0
    .symbol:         _ZN9rocsparseL20bsrxmvn_17_32_kernelILj25EdlifddEEvT2_20rocsparse_direction_NS_24const_host_device_scalarIT0_EES1_PKS1_PKT1_SA_S7_PKT3_PKT4_S5_PT5_21rocsparse_index_base_b.kd
    .uniform_work_group_size: 1
    .uses_dynamic_stack: false
    .vgpr_count:     18
    .vgpr_spill_count: 0
    .wavefront_size: 32
    .workgroup_processor_mode: 1
  - .args:
      - .offset:         0
        .size:           4
        .value_kind:     by_value
      - .offset:         4
        .size:           4
        .value_kind:     by_value
      - .offset:         8
        .size:           8
        .value_kind:     by_value
      - .offset:         16
        .size:           4
        .value_kind:     by_value
      - .actual_access:  read_only
        .address_space:  global
        .offset:         24
        .size:           8
        .value_kind:     global_buffer
      - .actual_access:  read_only
        .address_space:  global
        .offset:         32
        .size:           8
        .value_kind:     global_buffer
      - .actual_access:  read_only
        .address_space:  global
        .offset:         40
        .size:           8
        .value_kind:     global_buffer
      - .actual_access:  read_only
        .address_space:  global
        .offset:         48
        .size:           8
        .value_kind:     global_buffer
      - .actual_access:  read_only
        .address_space:  global
        .offset:         56
        .size:           8
        .value_kind:     global_buffer
      - .actual_access:  read_only
        .address_space:  global
        .offset:         64
        .size:           8
        .value_kind:     global_buffer
      - .offset:         72
        .size:           8
        .value_kind:     by_value
      - .address_space:  global
        .offset:         80
        .size:           8
        .value_kind:     global_buffer
      - .offset:         88
        .size:           4
        .value_kind:     by_value
      - .offset:         92
        .size:           1
        .value_kind:     by_value
    .group_segment_fixed_size: 5408
    .kernarg_segment_align: 8
    .kernarg_segment_size: 96
    .language:       OpenCL C
    .language_version:
      - 2
      - 0
    .max_flat_workgroup_size: 676
    .name:           _ZN9rocsparseL20bsrxmvn_17_32_kernelILj26EdlifddEEvT2_20rocsparse_direction_NS_24const_host_device_scalarIT0_EES1_PKS1_PKT1_SA_S7_PKT3_PKT4_S5_PT5_21rocsparse_index_base_b
    .private_segment_fixed_size: 0
    .sgpr_count:     22
    .sgpr_spill_count: 0
    .symbol:         _ZN9rocsparseL20bsrxmvn_17_32_kernelILj26EdlifddEEvT2_20rocsparse_direction_NS_24const_host_device_scalarIT0_EES1_PKS1_PKT1_SA_S7_PKT3_PKT4_S5_PT5_21rocsparse_index_base_b.kd
    .uniform_work_group_size: 1
    .uses_dynamic_stack: false
    .vgpr_count:     18
    .vgpr_spill_count: 0
    .wavefront_size: 32
    .workgroup_processor_mode: 1
  - .args:
      - .offset:         0
        .size:           4
        .value_kind:     by_value
      - .offset:         4
        .size:           4
        .value_kind:     by_value
      - .offset:         8
        .size:           8
        .value_kind:     by_value
      - .offset:         16
        .size:           4
        .value_kind:     by_value
      - .actual_access:  read_only
        .address_space:  global
        .offset:         24
        .size:           8
        .value_kind:     global_buffer
      - .actual_access:  read_only
        .address_space:  global
        .offset:         32
        .size:           8
        .value_kind:     global_buffer
      - .actual_access:  read_only
        .address_space:  global
        .offset:         40
        .size:           8
        .value_kind:     global_buffer
      - .actual_access:  read_only
        .address_space:  global
        .offset:         48
        .size:           8
        .value_kind:     global_buffer
      - .actual_access:  read_only
        .address_space:  global
        .offset:         56
        .size:           8
        .value_kind:     global_buffer
      - .actual_access:  read_only
        .address_space:  global
        .offset:         64
        .size:           8
        .value_kind:     global_buffer
      - .offset:         72
        .size:           8
        .value_kind:     by_value
      - .address_space:  global
        .offset:         80
        .size:           8
        .value_kind:     global_buffer
      - .offset:         88
        .size:           4
        .value_kind:     by_value
      - .offset:         92
        .size:           1
        .value_kind:     by_value
    .group_segment_fixed_size: 5832
    .kernarg_segment_align: 8
    .kernarg_segment_size: 96
    .language:       OpenCL C
    .language_version:
      - 2
      - 0
    .max_flat_workgroup_size: 729
    .name:           _ZN9rocsparseL20bsrxmvn_17_32_kernelILj27EdlifddEEvT2_20rocsparse_direction_NS_24const_host_device_scalarIT0_EES1_PKS1_PKT1_SA_S7_PKT3_PKT4_S5_PT5_21rocsparse_index_base_b
    .private_segment_fixed_size: 0
    .sgpr_count:     22
    .sgpr_spill_count: 0
    .symbol:         _ZN9rocsparseL20bsrxmvn_17_32_kernelILj27EdlifddEEvT2_20rocsparse_direction_NS_24const_host_device_scalarIT0_EES1_PKS1_PKT1_SA_S7_PKT3_PKT4_S5_PT5_21rocsparse_index_base_b.kd
    .uniform_work_group_size: 1
    .uses_dynamic_stack: false
    .vgpr_count:     18
    .vgpr_spill_count: 0
    .wavefront_size: 32
    .workgroup_processor_mode: 1
  - .args:
      - .offset:         0
        .size:           4
        .value_kind:     by_value
      - .offset:         4
        .size:           4
        .value_kind:     by_value
      - .offset:         8
        .size:           8
        .value_kind:     by_value
      - .offset:         16
        .size:           4
        .value_kind:     by_value
      - .actual_access:  read_only
        .address_space:  global
        .offset:         24
        .size:           8
        .value_kind:     global_buffer
      - .actual_access:  read_only
        .address_space:  global
        .offset:         32
        .size:           8
        .value_kind:     global_buffer
      - .actual_access:  read_only
        .address_space:  global
        .offset:         40
        .size:           8
        .value_kind:     global_buffer
      - .actual_access:  read_only
        .address_space:  global
        .offset:         48
        .size:           8
        .value_kind:     global_buffer
      - .actual_access:  read_only
        .address_space:  global
        .offset:         56
        .size:           8
        .value_kind:     global_buffer
      - .actual_access:  read_only
        .address_space:  global
        .offset:         64
        .size:           8
        .value_kind:     global_buffer
      - .offset:         72
        .size:           8
        .value_kind:     by_value
      - .address_space:  global
        .offset:         80
        .size:           8
        .value_kind:     global_buffer
      - .offset:         88
        .size:           4
        .value_kind:     by_value
      - .offset:         92
        .size:           1
        .value_kind:     by_value
    .group_segment_fixed_size: 6272
    .kernarg_segment_align: 8
    .kernarg_segment_size: 96
    .language:       OpenCL C
    .language_version:
      - 2
      - 0
    .max_flat_workgroup_size: 784
    .name:           _ZN9rocsparseL20bsrxmvn_17_32_kernelILj28EdlifddEEvT2_20rocsparse_direction_NS_24const_host_device_scalarIT0_EES1_PKS1_PKT1_SA_S7_PKT3_PKT4_S5_PT5_21rocsparse_index_base_b
    .private_segment_fixed_size: 0
    .sgpr_count:     22
    .sgpr_spill_count: 0
    .symbol:         _ZN9rocsparseL20bsrxmvn_17_32_kernelILj28EdlifddEEvT2_20rocsparse_direction_NS_24const_host_device_scalarIT0_EES1_PKS1_PKT1_SA_S7_PKT3_PKT4_S5_PT5_21rocsparse_index_base_b.kd
    .uniform_work_group_size: 1
    .uses_dynamic_stack: false
    .vgpr_count:     18
    .vgpr_spill_count: 0
    .wavefront_size: 32
    .workgroup_processor_mode: 1
  - .args:
      - .offset:         0
        .size:           4
        .value_kind:     by_value
      - .offset:         4
        .size:           4
        .value_kind:     by_value
      - .offset:         8
        .size:           8
        .value_kind:     by_value
      - .offset:         16
        .size:           4
        .value_kind:     by_value
      - .actual_access:  read_only
        .address_space:  global
        .offset:         24
        .size:           8
        .value_kind:     global_buffer
      - .actual_access:  read_only
        .address_space:  global
        .offset:         32
        .size:           8
        .value_kind:     global_buffer
      - .actual_access:  read_only
        .address_space:  global
        .offset:         40
        .size:           8
        .value_kind:     global_buffer
      - .actual_access:  read_only
        .address_space:  global
        .offset:         48
        .size:           8
        .value_kind:     global_buffer
      - .actual_access:  read_only
        .address_space:  global
        .offset:         56
        .size:           8
        .value_kind:     global_buffer
      - .actual_access:  read_only
        .address_space:  global
        .offset:         64
        .size:           8
        .value_kind:     global_buffer
      - .offset:         72
        .size:           8
        .value_kind:     by_value
      - .address_space:  global
        .offset:         80
        .size:           8
        .value_kind:     global_buffer
      - .offset:         88
        .size:           4
        .value_kind:     by_value
      - .offset:         92
        .size:           1
        .value_kind:     by_value
    .group_segment_fixed_size: 6728
    .kernarg_segment_align: 8
    .kernarg_segment_size: 96
    .language:       OpenCL C
    .language_version:
      - 2
      - 0
    .max_flat_workgroup_size: 841
    .name:           _ZN9rocsparseL20bsrxmvn_17_32_kernelILj29EdlifddEEvT2_20rocsparse_direction_NS_24const_host_device_scalarIT0_EES1_PKS1_PKT1_SA_S7_PKT3_PKT4_S5_PT5_21rocsparse_index_base_b
    .private_segment_fixed_size: 0
    .sgpr_count:     22
    .sgpr_spill_count: 0
    .symbol:         _ZN9rocsparseL20bsrxmvn_17_32_kernelILj29EdlifddEEvT2_20rocsparse_direction_NS_24const_host_device_scalarIT0_EES1_PKS1_PKT1_SA_S7_PKT3_PKT4_S5_PT5_21rocsparse_index_base_b.kd
    .uniform_work_group_size: 1
    .uses_dynamic_stack: false
    .vgpr_count:     18
    .vgpr_spill_count: 0
    .wavefront_size: 32
    .workgroup_processor_mode: 1
  - .args:
      - .offset:         0
        .size:           4
        .value_kind:     by_value
      - .offset:         4
        .size:           4
        .value_kind:     by_value
      - .offset:         8
        .size:           8
        .value_kind:     by_value
      - .offset:         16
        .size:           4
        .value_kind:     by_value
      - .actual_access:  read_only
        .address_space:  global
        .offset:         24
        .size:           8
        .value_kind:     global_buffer
      - .actual_access:  read_only
        .address_space:  global
        .offset:         32
        .size:           8
        .value_kind:     global_buffer
      - .actual_access:  read_only
        .address_space:  global
        .offset:         40
        .size:           8
        .value_kind:     global_buffer
      - .actual_access:  read_only
        .address_space:  global
        .offset:         48
        .size:           8
        .value_kind:     global_buffer
      - .actual_access:  read_only
        .address_space:  global
        .offset:         56
        .size:           8
        .value_kind:     global_buffer
      - .actual_access:  read_only
        .address_space:  global
        .offset:         64
        .size:           8
        .value_kind:     global_buffer
      - .offset:         72
        .size:           8
        .value_kind:     by_value
      - .address_space:  global
        .offset:         80
        .size:           8
        .value_kind:     global_buffer
      - .offset:         88
        .size:           4
        .value_kind:     by_value
      - .offset:         92
        .size:           1
        .value_kind:     by_value
    .group_segment_fixed_size: 7200
    .kernarg_segment_align: 8
    .kernarg_segment_size: 96
    .language:       OpenCL C
    .language_version:
      - 2
      - 0
    .max_flat_workgroup_size: 900
    .name:           _ZN9rocsparseL20bsrxmvn_17_32_kernelILj30EdlifddEEvT2_20rocsparse_direction_NS_24const_host_device_scalarIT0_EES1_PKS1_PKT1_SA_S7_PKT3_PKT4_S5_PT5_21rocsparse_index_base_b
    .private_segment_fixed_size: 0
    .sgpr_count:     22
    .sgpr_spill_count: 0
    .symbol:         _ZN9rocsparseL20bsrxmvn_17_32_kernelILj30EdlifddEEvT2_20rocsparse_direction_NS_24const_host_device_scalarIT0_EES1_PKS1_PKT1_SA_S7_PKT3_PKT4_S5_PT5_21rocsparse_index_base_b.kd
    .uniform_work_group_size: 1
    .uses_dynamic_stack: false
    .vgpr_count:     18
    .vgpr_spill_count: 0
    .wavefront_size: 32
    .workgroup_processor_mode: 1
  - .args:
      - .offset:         0
        .size:           4
        .value_kind:     by_value
      - .offset:         4
        .size:           4
        .value_kind:     by_value
      - .offset:         8
        .size:           8
        .value_kind:     by_value
      - .offset:         16
        .size:           4
        .value_kind:     by_value
      - .actual_access:  read_only
        .address_space:  global
        .offset:         24
        .size:           8
        .value_kind:     global_buffer
      - .actual_access:  read_only
        .address_space:  global
        .offset:         32
        .size:           8
        .value_kind:     global_buffer
      - .actual_access:  read_only
        .address_space:  global
        .offset:         40
        .size:           8
        .value_kind:     global_buffer
      - .actual_access:  read_only
        .address_space:  global
        .offset:         48
        .size:           8
        .value_kind:     global_buffer
      - .actual_access:  read_only
        .address_space:  global
        .offset:         56
        .size:           8
        .value_kind:     global_buffer
      - .actual_access:  read_only
        .address_space:  global
        .offset:         64
        .size:           8
        .value_kind:     global_buffer
      - .offset:         72
        .size:           8
        .value_kind:     by_value
      - .address_space:  global
        .offset:         80
        .size:           8
        .value_kind:     global_buffer
      - .offset:         88
        .size:           4
        .value_kind:     by_value
      - .offset:         92
        .size:           1
        .value_kind:     by_value
    .group_segment_fixed_size: 7688
    .kernarg_segment_align: 8
    .kernarg_segment_size: 96
    .language:       OpenCL C
    .language_version:
      - 2
      - 0
    .max_flat_workgroup_size: 961
    .name:           _ZN9rocsparseL20bsrxmvn_17_32_kernelILj31EdlifddEEvT2_20rocsparse_direction_NS_24const_host_device_scalarIT0_EES1_PKS1_PKT1_SA_S7_PKT3_PKT4_S5_PT5_21rocsparse_index_base_b
    .private_segment_fixed_size: 0
    .sgpr_count:     22
    .sgpr_spill_count: 0
    .symbol:         _ZN9rocsparseL20bsrxmvn_17_32_kernelILj31EdlifddEEvT2_20rocsparse_direction_NS_24const_host_device_scalarIT0_EES1_PKS1_PKT1_SA_S7_PKT3_PKT4_S5_PT5_21rocsparse_index_base_b.kd
    .uniform_work_group_size: 1
    .uses_dynamic_stack: false
    .vgpr_count:     18
    .vgpr_spill_count: 0
    .wavefront_size: 32
    .workgroup_processor_mode: 1
  - .args:
      - .offset:         0
        .size:           4
        .value_kind:     by_value
      - .offset:         4
        .size:           4
        .value_kind:     by_value
      - .offset:         8
        .size:           8
        .value_kind:     by_value
      - .offset:         16
        .size:           4
        .value_kind:     by_value
      - .actual_access:  read_only
        .address_space:  global
        .offset:         24
        .size:           8
        .value_kind:     global_buffer
      - .actual_access:  read_only
        .address_space:  global
        .offset:         32
        .size:           8
        .value_kind:     global_buffer
      - .actual_access:  read_only
        .address_space:  global
        .offset:         40
        .size:           8
        .value_kind:     global_buffer
      - .actual_access:  read_only
        .address_space:  global
        .offset:         48
        .size:           8
        .value_kind:     global_buffer
      - .actual_access:  read_only
        .address_space:  global
        .offset:         56
        .size:           8
        .value_kind:     global_buffer
      - .actual_access:  read_only
        .address_space:  global
        .offset:         64
        .size:           8
        .value_kind:     global_buffer
      - .offset:         72
        .size:           8
        .value_kind:     by_value
      - .address_space:  global
        .offset:         80
        .size:           8
        .value_kind:     global_buffer
      - .offset:         88
        .size:           4
        .value_kind:     by_value
      - .offset:         92
        .size:           1
        .value_kind:     by_value
    .group_segment_fixed_size: 8192
    .kernarg_segment_align: 8
    .kernarg_segment_size: 96
    .language:       OpenCL C
    .language_version:
      - 2
      - 0
    .max_flat_workgroup_size: 1024
    .name:           _ZN9rocsparseL20bsrxmvn_17_32_kernelILj32EdlifddEEvT2_20rocsparse_direction_NS_24const_host_device_scalarIT0_EES1_PKS1_PKT1_SA_S7_PKT3_PKT4_S5_PT5_21rocsparse_index_base_b
    .private_segment_fixed_size: 0
    .sgpr_count:     28
    .sgpr_spill_count: 0
    .symbol:         _ZN9rocsparseL20bsrxmvn_17_32_kernelILj32EdlifddEEvT2_20rocsparse_direction_NS_24const_host_device_scalarIT0_EES1_PKS1_PKT1_SA_S7_PKT3_PKT4_S5_PT5_21rocsparse_index_base_b.kd
    .uniform_work_group_size: 1
    .uses_dynamic_stack: false
    .vgpr_count:     15
    .vgpr_spill_count: 0
    .wavefront_size: 32
    .workgroup_processor_mode: 1
  - .args:
      - .offset:         0
        .size:           8
        .value_kind:     by_value
      - .offset:         8
        .size:           4
        .value_kind:     by_value
      - .offset:         16
        .size:           8
        .value_kind:     by_value
      - .offset:         24
        .size:           8
        .value_kind:     by_value
      - .actual_access:  read_only
        .address_space:  global
        .offset:         32
        .size:           8
        .value_kind:     global_buffer
      - .actual_access:  read_only
        .address_space:  global
        .offset:         40
        .size:           8
        .value_kind:     global_buffer
      - .actual_access:  read_only
        .address_space:  global
        .offset:         48
        .size:           8
        .value_kind:     global_buffer
      - .actual_access:  read_only
        .address_space:  global
        .offset:         56
        .size:           8
        .value_kind:     global_buffer
      - .actual_access:  read_only
        .address_space:  global
        .offset:         64
        .size:           8
        .value_kind:     global_buffer
      - .actual_access:  read_only
        .address_space:  global
        .offset:         72
        .size:           8
        .value_kind:     global_buffer
      - .offset:         80
        .size:           8
        .value_kind:     by_value
      - .address_space:  global
        .offset:         88
        .size:           8
        .value_kind:     global_buffer
      - .offset:         96
        .size:           4
        .value_kind:     by_value
      - .offset:         100
        .size:           1
        .value_kind:     by_value
    .group_segment_fixed_size: 2312
    .kernarg_segment_align: 8
    .kernarg_segment_size: 104
    .language:       OpenCL C
    .language_version:
      - 2
      - 0
    .max_flat_workgroup_size: 289
    .name:           _ZN9rocsparseL20bsrxmvn_17_32_kernelILj17EdllfddEEvT2_20rocsparse_direction_NS_24const_host_device_scalarIT0_EES1_PKS1_PKT1_SA_S7_PKT3_PKT4_S5_PT5_21rocsparse_index_base_b
    .private_segment_fixed_size: 0
    .sgpr_count:     24
    .sgpr_spill_count: 0
    .symbol:         _ZN9rocsparseL20bsrxmvn_17_32_kernelILj17EdllfddEEvT2_20rocsparse_direction_NS_24const_host_device_scalarIT0_EES1_PKS1_PKT1_SA_S7_PKT3_PKT4_S5_PT5_21rocsparse_index_base_b.kd
    .uniform_work_group_size: 1
    .uses_dynamic_stack: false
    .vgpr_count:     21
    .vgpr_spill_count: 0
    .wavefront_size: 32
    .workgroup_processor_mode: 1
  - .args:
      - .offset:         0
        .size:           8
        .value_kind:     by_value
      - .offset:         8
        .size:           4
        .value_kind:     by_value
      - .offset:         16
        .size:           8
        .value_kind:     by_value
      - .offset:         24
        .size:           8
        .value_kind:     by_value
      - .actual_access:  read_only
        .address_space:  global
        .offset:         32
        .size:           8
        .value_kind:     global_buffer
      - .actual_access:  read_only
        .address_space:  global
        .offset:         40
        .size:           8
        .value_kind:     global_buffer
      - .actual_access:  read_only
        .address_space:  global
        .offset:         48
        .size:           8
        .value_kind:     global_buffer
      - .actual_access:  read_only
        .address_space:  global
        .offset:         56
        .size:           8
        .value_kind:     global_buffer
      - .actual_access:  read_only
        .address_space:  global
        .offset:         64
        .size:           8
        .value_kind:     global_buffer
      - .actual_access:  read_only
        .address_space:  global
        .offset:         72
        .size:           8
        .value_kind:     global_buffer
      - .offset:         80
        .size:           8
        .value_kind:     by_value
      - .address_space:  global
        .offset:         88
        .size:           8
        .value_kind:     global_buffer
      - .offset:         96
        .size:           4
        .value_kind:     by_value
      - .offset:         100
        .size:           1
        .value_kind:     by_value
    .group_segment_fixed_size: 2592
    .kernarg_segment_align: 8
    .kernarg_segment_size: 104
    .language:       OpenCL C
    .language_version:
      - 2
      - 0
    .max_flat_workgroup_size: 324
    .name:           _ZN9rocsparseL20bsrxmvn_17_32_kernelILj18EdllfddEEvT2_20rocsparse_direction_NS_24const_host_device_scalarIT0_EES1_PKS1_PKT1_SA_S7_PKT3_PKT4_S5_PT5_21rocsparse_index_base_b
    .private_segment_fixed_size: 0
    .sgpr_count:     24
    .sgpr_spill_count: 0
    .symbol:         _ZN9rocsparseL20bsrxmvn_17_32_kernelILj18EdllfddEEvT2_20rocsparse_direction_NS_24const_host_device_scalarIT0_EES1_PKS1_PKT1_SA_S7_PKT3_PKT4_S5_PT5_21rocsparse_index_base_b.kd
    .uniform_work_group_size: 1
    .uses_dynamic_stack: false
    .vgpr_count:     21
    .vgpr_spill_count: 0
    .wavefront_size: 32
    .workgroup_processor_mode: 1
  - .args:
      - .offset:         0
        .size:           8
        .value_kind:     by_value
      - .offset:         8
        .size:           4
        .value_kind:     by_value
      - .offset:         16
        .size:           8
        .value_kind:     by_value
      - .offset:         24
        .size:           8
        .value_kind:     by_value
      - .actual_access:  read_only
        .address_space:  global
        .offset:         32
        .size:           8
        .value_kind:     global_buffer
      - .actual_access:  read_only
        .address_space:  global
        .offset:         40
        .size:           8
        .value_kind:     global_buffer
      - .actual_access:  read_only
        .address_space:  global
        .offset:         48
        .size:           8
        .value_kind:     global_buffer
      - .actual_access:  read_only
        .address_space:  global
        .offset:         56
        .size:           8
        .value_kind:     global_buffer
      - .actual_access:  read_only
        .address_space:  global
        .offset:         64
        .size:           8
        .value_kind:     global_buffer
      - .actual_access:  read_only
        .address_space:  global
        .offset:         72
        .size:           8
        .value_kind:     global_buffer
      - .offset:         80
        .size:           8
        .value_kind:     by_value
      - .address_space:  global
        .offset:         88
        .size:           8
        .value_kind:     global_buffer
      - .offset:         96
        .size:           4
        .value_kind:     by_value
      - .offset:         100
        .size:           1
        .value_kind:     by_value
    .group_segment_fixed_size: 2888
    .kernarg_segment_align: 8
    .kernarg_segment_size: 104
    .language:       OpenCL C
    .language_version:
      - 2
      - 0
    .max_flat_workgroup_size: 361
    .name:           _ZN9rocsparseL20bsrxmvn_17_32_kernelILj19EdllfddEEvT2_20rocsparse_direction_NS_24const_host_device_scalarIT0_EES1_PKS1_PKT1_SA_S7_PKT3_PKT4_S5_PT5_21rocsparse_index_base_b
    .private_segment_fixed_size: 0
    .sgpr_count:     24
    .sgpr_spill_count: 0
    .symbol:         _ZN9rocsparseL20bsrxmvn_17_32_kernelILj19EdllfddEEvT2_20rocsparse_direction_NS_24const_host_device_scalarIT0_EES1_PKS1_PKT1_SA_S7_PKT3_PKT4_S5_PT5_21rocsparse_index_base_b.kd
    .uniform_work_group_size: 1
    .uses_dynamic_stack: false
    .vgpr_count:     21
    .vgpr_spill_count: 0
    .wavefront_size: 32
    .workgroup_processor_mode: 1
  - .args:
      - .offset:         0
        .size:           8
        .value_kind:     by_value
      - .offset:         8
        .size:           4
        .value_kind:     by_value
      - .offset:         16
        .size:           8
        .value_kind:     by_value
      - .offset:         24
        .size:           8
        .value_kind:     by_value
      - .actual_access:  read_only
        .address_space:  global
        .offset:         32
        .size:           8
        .value_kind:     global_buffer
      - .actual_access:  read_only
        .address_space:  global
        .offset:         40
        .size:           8
        .value_kind:     global_buffer
      - .actual_access:  read_only
        .address_space:  global
        .offset:         48
        .size:           8
        .value_kind:     global_buffer
      - .actual_access:  read_only
        .address_space:  global
        .offset:         56
        .size:           8
        .value_kind:     global_buffer
      - .actual_access:  read_only
        .address_space:  global
        .offset:         64
        .size:           8
        .value_kind:     global_buffer
      - .actual_access:  read_only
        .address_space:  global
        .offset:         72
        .size:           8
        .value_kind:     global_buffer
      - .offset:         80
        .size:           8
        .value_kind:     by_value
      - .address_space:  global
        .offset:         88
        .size:           8
        .value_kind:     global_buffer
      - .offset:         96
        .size:           4
        .value_kind:     by_value
      - .offset:         100
        .size:           1
        .value_kind:     by_value
    .group_segment_fixed_size: 3200
    .kernarg_segment_align: 8
    .kernarg_segment_size: 104
    .language:       OpenCL C
    .language_version:
      - 2
      - 0
    .max_flat_workgroup_size: 400
    .name:           _ZN9rocsparseL20bsrxmvn_17_32_kernelILj20EdllfddEEvT2_20rocsparse_direction_NS_24const_host_device_scalarIT0_EES1_PKS1_PKT1_SA_S7_PKT3_PKT4_S5_PT5_21rocsparse_index_base_b
    .private_segment_fixed_size: 0
    .sgpr_count:     24
    .sgpr_spill_count: 0
    .symbol:         _ZN9rocsparseL20bsrxmvn_17_32_kernelILj20EdllfddEEvT2_20rocsparse_direction_NS_24const_host_device_scalarIT0_EES1_PKS1_PKT1_SA_S7_PKT3_PKT4_S5_PT5_21rocsparse_index_base_b.kd
    .uniform_work_group_size: 1
    .uses_dynamic_stack: false
    .vgpr_count:     21
    .vgpr_spill_count: 0
    .wavefront_size: 32
    .workgroup_processor_mode: 1
  - .args:
      - .offset:         0
        .size:           8
        .value_kind:     by_value
      - .offset:         8
        .size:           4
        .value_kind:     by_value
      - .offset:         16
        .size:           8
        .value_kind:     by_value
      - .offset:         24
        .size:           8
        .value_kind:     by_value
      - .actual_access:  read_only
        .address_space:  global
        .offset:         32
        .size:           8
        .value_kind:     global_buffer
      - .actual_access:  read_only
        .address_space:  global
        .offset:         40
        .size:           8
        .value_kind:     global_buffer
      - .actual_access:  read_only
        .address_space:  global
        .offset:         48
        .size:           8
        .value_kind:     global_buffer
      - .actual_access:  read_only
        .address_space:  global
        .offset:         56
        .size:           8
        .value_kind:     global_buffer
      - .actual_access:  read_only
        .address_space:  global
        .offset:         64
        .size:           8
        .value_kind:     global_buffer
      - .actual_access:  read_only
        .address_space:  global
        .offset:         72
        .size:           8
        .value_kind:     global_buffer
      - .offset:         80
        .size:           8
        .value_kind:     by_value
      - .address_space:  global
        .offset:         88
        .size:           8
        .value_kind:     global_buffer
      - .offset:         96
        .size:           4
        .value_kind:     by_value
      - .offset:         100
        .size:           1
        .value_kind:     by_value
    .group_segment_fixed_size: 3528
    .kernarg_segment_align: 8
    .kernarg_segment_size: 104
    .language:       OpenCL C
    .language_version:
      - 2
      - 0
    .max_flat_workgroup_size: 441
    .name:           _ZN9rocsparseL20bsrxmvn_17_32_kernelILj21EdllfddEEvT2_20rocsparse_direction_NS_24const_host_device_scalarIT0_EES1_PKS1_PKT1_SA_S7_PKT3_PKT4_S5_PT5_21rocsparse_index_base_b
    .private_segment_fixed_size: 0
    .sgpr_count:     24
    .sgpr_spill_count: 0
    .symbol:         _ZN9rocsparseL20bsrxmvn_17_32_kernelILj21EdllfddEEvT2_20rocsparse_direction_NS_24const_host_device_scalarIT0_EES1_PKS1_PKT1_SA_S7_PKT3_PKT4_S5_PT5_21rocsparse_index_base_b.kd
    .uniform_work_group_size: 1
    .uses_dynamic_stack: false
    .vgpr_count:     21
    .vgpr_spill_count: 0
    .wavefront_size: 32
    .workgroup_processor_mode: 1
  - .args:
      - .offset:         0
        .size:           8
        .value_kind:     by_value
      - .offset:         8
        .size:           4
        .value_kind:     by_value
      - .offset:         16
        .size:           8
        .value_kind:     by_value
      - .offset:         24
        .size:           8
        .value_kind:     by_value
      - .actual_access:  read_only
        .address_space:  global
        .offset:         32
        .size:           8
        .value_kind:     global_buffer
      - .actual_access:  read_only
        .address_space:  global
        .offset:         40
        .size:           8
        .value_kind:     global_buffer
      - .actual_access:  read_only
        .address_space:  global
        .offset:         48
        .size:           8
        .value_kind:     global_buffer
      - .actual_access:  read_only
        .address_space:  global
        .offset:         56
        .size:           8
        .value_kind:     global_buffer
      - .actual_access:  read_only
        .address_space:  global
        .offset:         64
        .size:           8
        .value_kind:     global_buffer
      - .actual_access:  read_only
        .address_space:  global
        .offset:         72
        .size:           8
        .value_kind:     global_buffer
      - .offset:         80
        .size:           8
        .value_kind:     by_value
      - .address_space:  global
        .offset:         88
        .size:           8
        .value_kind:     global_buffer
      - .offset:         96
        .size:           4
        .value_kind:     by_value
      - .offset:         100
        .size:           1
        .value_kind:     by_value
    .group_segment_fixed_size: 3872
    .kernarg_segment_align: 8
    .kernarg_segment_size: 104
    .language:       OpenCL C
    .language_version:
      - 2
      - 0
    .max_flat_workgroup_size: 484
    .name:           _ZN9rocsparseL20bsrxmvn_17_32_kernelILj22EdllfddEEvT2_20rocsparse_direction_NS_24const_host_device_scalarIT0_EES1_PKS1_PKT1_SA_S7_PKT3_PKT4_S5_PT5_21rocsparse_index_base_b
    .private_segment_fixed_size: 0
    .sgpr_count:     24
    .sgpr_spill_count: 0
    .symbol:         _ZN9rocsparseL20bsrxmvn_17_32_kernelILj22EdllfddEEvT2_20rocsparse_direction_NS_24const_host_device_scalarIT0_EES1_PKS1_PKT1_SA_S7_PKT3_PKT4_S5_PT5_21rocsparse_index_base_b.kd
    .uniform_work_group_size: 1
    .uses_dynamic_stack: false
    .vgpr_count:     21
    .vgpr_spill_count: 0
    .wavefront_size: 32
    .workgroup_processor_mode: 1
  - .args:
      - .offset:         0
        .size:           8
        .value_kind:     by_value
      - .offset:         8
        .size:           4
        .value_kind:     by_value
      - .offset:         16
        .size:           8
        .value_kind:     by_value
      - .offset:         24
        .size:           8
        .value_kind:     by_value
      - .actual_access:  read_only
        .address_space:  global
        .offset:         32
        .size:           8
        .value_kind:     global_buffer
      - .actual_access:  read_only
        .address_space:  global
        .offset:         40
        .size:           8
        .value_kind:     global_buffer
      - .actual_access:  read_only
        .address_space:  global
        .offset:         48
        .size:           8
        .value_kind:     global_buffer
      - .actual_access:  read_only
        .address_space:  global
        .offset:         56
        .size:           8
        .value_kind:     global_buffer
      - .actual_access:  read_only
        .address_space:  global
        .offset:         64
        .size:           8
        .value_kind:     global_buffer
      - .actual_access:  read_only
        .address_space:  global
        .offset:         72
        .size:           8
        .value_kind:     global_buffer
      - .offset:         80
        .size:           8
        .value_kind:     by_value
      - .address_space:  global
        .offset:         88
        .size:           8
        .value_kind:     global_buffer
      - .offset:         96
        .size:           4
        .value_kind:     by_value
      - .offset:         100
        .size:           1
        .value_kind:     by_value
    .group_segment_fixed_size: 4232
    .kernarg_segment_align: 8
    .kernarg_segment_size: 104
    .language:       OpenCL C
    .language_version:
      - 2
      - 0
    .max_flat_workgroup_size: 529
    .name:           _ZN9rocsparseL20bsrxmvn_17_32_kernelILj23EdllfddEEvT2_20rocsparse_direction_NS_24const_host_device_scalarIT0_EES1_PKS1_PKT1_SA_S7_PKT3_PKT4_S5_PT5_21rocsparse_index_base_b
    .private_segment_fixed_size: 0
    .sgpr_count:     22
    .sgpr_spill_count: 0
    .symbol:         _ZN9rocsparseL20bsrxmvn_17_32_kernelILj23EdllfddEEvT2_20rocsparse_direction_NS_24const_host_device_scalarIT0_EES1_PKS1_PKT1_SA_S7_PKT3_PKT4_S5_PT5_21rocsparse_index_base_b.kd
    .uniform_work_group_size: 1
    .uses_dynamic_stack: false
    .vgpr_count:     21
    .vgpr_spill_count: 0
    .wavefront_size: 32
    .workgroup_processor_mode: 1
  - .args:
      - .offset:         0
        .size:           8
        .value_kind:     by_value
      - .offset:         8
        .size:           4
        .value_kind:     by_value
      - .offset:         16
        .size:           8
        .value_kind:     by_value
      - .offset:         24
        .size:           8
        .value_kind:     by_value
      - .actual_access:  read_only
        .address_space:  global
        .offset:         32
        .size:           8
        .value_kind:     global_buffer
      - .actual_access:  read_only
        .address_space:  global
        .offset:         40
        .size:           8
        .value_kind:     global_buffer
      - .actual_access:  read_only
        .address_space:  global
        .offset:         48
        .size:           8
        .value_kind:     global_buffer
      - .actual_access:  read_only
        .address_space:  global
        .offset:         56
        .size:           8
        .value_kind:     global_buffer
      - .actual_access:  read_only
        .address_space:  global
        .offset:         64
        .size:           8
        .value_kind:     global_buffer
      - .actual_access:  read_only
        .address_space:  global
        .offset:         72
        .size:           8
        .value_kind:     global_buffer
      - .offset:         80
        .size:           8
        .value_kind:     by_value
      - .address_space:  global
        .offset:         88
        .size:           8
        .value_kind:     global_buffer
      - .offset:         96
        .size:           4
        .value_kind:     by_value
      - .offset:         100
        .size:           1
        .value_kind:     by_value
    .group_segment_fixed_size: 4608
    .kernarg_segment_align: 8
    .kernarg_segment_size: 104
    .language:       OpenCL C
    .language_version:
      - 2
      - 0
    .max_flat_workgroup_size: 576
    .name:           _ZN9rocsparseL20bsrxmvn_17_32_kernelILj24EdllfddEEvT2_20rocsparse_direction_NS_24const_host_device_scalarIT0_EES1_PKS1_PKT1_SA_S7_PKT3_PKT4_S5_PT5_21rocsparse_index_base_b
    .private_segment_fixed_size: 0
    .sgpr_count:     22
    .sgpr_spill_count: 0
    .symbol:         _ZN9rocsparseL20bsrxmvn_17_32_kernelILj24EdllfddEEvT2_20rocsparse_direction_NS_24const_host_device_scalarIT0_EES1_PKS1_PKT1_SA_S7_PKT3_PKT4_S5_PT5_21rocsparse_index_base_b.kd
    .uniform_work_group_size: 1
    .uses_dynamic_stack: false
    .vgpr_count:     21
    .vgpr_spill_count: 0
    .wavefront_size: 32
    .workgroup_processor_mode: 1
  - .args:
      - .offset:         0
        .size:           8
        .value_kind:     by_value
      - .offset:         8
        .size:           4
        .value_kind:     by_value
      - .offset:         16
        .size:           8
        .value_kind:     by_value
      - .offset:         24
        .size:           8
        .value_kind:     by_value
      - .actual_access:  read_only
        .address_space:  global
        .offset:         32
        .size:           8
        .value_kind:     global_buffer
      - .actual_access:  read_only
        .address_space:  global
        .offset:         40
        .size:           8
        .value_kind:     global_buffer
      - .actual_access:  read_only
        .address_space:  global
        .offset:         48
        .size:           8
        .value_kind:     global_buffer
      - .actual_access:  read_only
        .address_space:  global
        .offset:         56
        .size:           8
        .value_kind:     global_buffer
      - .actual_access:  read_only
        .address_space:  global
        .offset:         64
        .size:           8
        .value_kind:     global_buffer
      - .actual_access:  read_only
        .address_space:  global
        .offset:         72
        .size:           8
        .value_kind:     global_buffer
      - .offset:         80
        .size:           8
        .value_kind:     by_value
      - .address_space:  global
        .offset:         88
        .size:           8
        .value_kind:     global_buffer
      - .offset:         96
        .size:           4
        .value_kind:     by_value
      - .offset:         100
        .size:           1
        .value_kind:     by_value
    .group_segment_fixed_size: 5000
    .kernarg_segment_align: 8
    .kernarg_segment_size: 104
    .language:       OpenCL C
    .language_version:
      - 2
      - 0
    .max_flat_workgroup_size: 625
    .name:           _ZN9rocsparseL20bsrxmvn_17_32_kernelILj25EdllfddEEvT2_20rocsparse_direction_NS_24const_host_device_scalarIT0_EES1_PKS1_PKT1_SA_S7_PKT3_PKT4_S5_PT5_21rocsparse_index_base_b
    .private_segment_fixed_size: 0
    .sgpr_count:     22
    .sgpr_spill_count: 0
    .symbol:         _ZN9rocsparseL20bsrxmvn_17_32_kernelILj25EdllfddEEvT2_20rocsparse_direction_NS_24const_host_device_scalarIT0_EES1_PKS1_PKT1_SA_S7_PKT3_PKT4_S5_PT5_21rocsparse_index_base_b.kd
    .uniform_work_group_size: 1
    .uses_dynamic_stack: false
    .vgpr_count:     21
    .vgpr_spill_count: 0
    .wavefront_size: 32
    .workgroup_processor_mode: 1
  - .args:
      - .offset:         0
        .size:           8
        .value_kind:     by_value
      - .offset:         8
        .size:           4
        .value_kind:     by_value
      - .offset:         16
        .size:           8
        .value_kind:     by_value
      - .offset:         24
        .size:           8
        .value_kind:     by_value
      - .actual_access:  read_only
        .address_space:  global
        .offset:         32
        .size:           8
        .value_kind:     global_buffer
      - .actual_access:  read_only
        .address_space:  global
        .offset:         40
        .size:           8
        .value_kind:     global_buffer
      - .actual_access:  read_only
        .address_space:  global
        .offset:         48
        .size:           8
        .value_kind:     global_buffer
      - .actual_access:  read_only
        .address_space:  global
        .offset:         56
        .size:           8
        .value_kind:     global_buffer
      - .actual_access:  read_only
        .address_space:  global
        .offset:         64
        .size:           8
        .value_kind:     global_buffer
      - .actual_access:  read_only
        .address_space:  global
        .offset:         72
        .size:           8
        .value_kind:     global_buffer
      - .offset:         80
        .size:           8
        .value_kind:     by_value
      - .address_space:  global
        .offset:         88
        .size:           8
        .value_kind:     global_buffer
      - .offset:         96
        .size:           4
        .value_kind:     by_value
      - .offset:         100
        .size:           1
        .value_kind:     by_value
    .group_segment_fixed_size: 5408
    .kernarg_segment_align: 8
    .kernarg_segment_size: 104
    .language:       OpenCL C
    .language_version:
      - 2
      - 0
    .max_flat_workgroup_size: 676
    .name:           _ZN9rocsparseL20bsrxmvn_17_32_kernelILj26EdllfddEEvT2_20rocsparse_direction_NS_24const_host_device_scalarIT0_EES1_PKS1_PKT1_SA_S7_PKT3_PKT4_S5_PT5_21rocsparse_index_base_b
    .private_segment_fixed_size: 0
    .sgpr_count:     22
    .sgpr_spill_count: 0
    .symbol:         _ZN9rocsparseL20bsrxmvn_17_32_kernelILj26EdllfddEEvT2_20rocsparse_direction_NS_24const_host_device_scalarIT0_EES1_PKS1_PKT1_SA_S7_PKT3_PKT4_S5_PT5_21rocsparse_index_base_b.kd
    .uniform_work_group_size: 1
    .uses_dynamic_stack: false
    .vgpr_count:     21
    .vgpr_spill_count: 0
    .wavefront_size: 32
    .workgroup_processor_mode: 1
  - .args:
      - .offset:         0
        .size:           8
        .value_kind:     by_value
      - .offset:         8
        .size:           4
        .value_kind:     by_value
      - .offset:         16
        .size:           8
        .value_kind:     by_value
      - .offset:         24
        .size:           8
        .value_kind:     by_value
      - .actual_access:  read_only
        .address_space:  global
        .offset:         32
        .size:           8
        .value_kind:     global_buffer
      - .actual_access:  read_only
        .address_space:  global
        .offset:         40
        .size:           8
        .value_kind:     global_buffer
      - .actual_access:  read_only
        .address_space:  global
        .offset:         48
        .size:           8
        .value_kind:     global_buffer
      - .actual_access:  read_only
        .address_space:  global
        .offset:         56
        .size:           8
        .value_kind:     global_buffer
      - .actual_access:  read_only
        .address_space:  global
        .offset:         64
        .size:           8
        .value_kind:     global_buffer
      - .actual_access:  read_only
        .address_space:  global
        .offset:         72
        .size:           8
        .value_kind:     global_buffer
      - .offset:         80
        .size:           8
        .value_kind:     by_value
      - .address_space:  global
        .offset:         88
        .size:           8
        .value_kind:     global_buffer
      - .offset:         96
        .size:           4
        .value_kind:     by_value
      - .offset:         100
        .size:           1
        .value_kind:     by_value
    .group_segment_fixed_size: 5832
    .kernarg_segment_align: 8
    .kernarg_segment_size: 104
    .language:       OpenCL C
    .language_version:
      - 2
      - 0
    .max_flat_workgroup_size: 729
    .name:           _ZN9rocsparseL20bsrxmvn_17_32_kernelILj27EdllfddEEvT2_20rocsparse_direction_NS_24const_host_device_scalarIT0_EES1_PKS1_PKT1_SA_S7_PKT3_PKT4_S5_PT5_21rocsparse_index_base_b
    .private_segment_fixed_size: 0
    .sgpr_count:     22
    .sgpr_spill_count: 0
    .symbol:         _ZN9rocsparseL20bsrxmvn_17_32_kernelILj27EdllfddEEvT2_20rocsparse_direction_NS_24const_host_device_scalarIT0_EES1_PKS1_PKT1_SA_S7_PKT3_PKT4_S5_PT5_21rocsparse_index_base_b.kd
    .uniform_work_group_size: 1
    .uses_dynamic_stack: false
    .vgpr_count:     21
    .vgpr_spill_count: 0
    .wavefront_size: 32
    .workgroup_processor_mode: 1
  - .args:
      - .offset:         0
        .size:           8
        .value_kind:     by_value
      - .offset:         8
        .size:           4
        .value_kind:     by_value
      - .offset:         16
        .size:           8
        .value_kind:     by_value
      - .offset:         24
        .size:           8
        .value_kind:     by_value
      - .actual_access:  read_only
        .address_space:  global
        .offset:         32
        .size:           8
        .value_kind:     global_buffer
      - .actual_access:  read_only
        .address_space:  global
        .offset:         40
        .size:           8
        .value_kind:     global_buffer
      - .actual_access:  read_only
        .address_space:  global
        .offset:         48
        .size:           8
        .value_kind:     global_buffer
      - .actual_access:  read_only
        .address_space:  global
        .offset:         56
        .size:           8
        .value_kind:     global_buffer
      - .actual_access:  read_only
        .address_space:  global
        .offset:         64
        .size:           8
        .value_kind:     global_buffer
      - .actual_access:  read_only
        .address_space:  global
        .offset:         72
        .size:           8
        .value_kind:     global_buffer
      - .offset:         80
        .size:           8
        .value_kind:     by_value
      - .address_space:  global
        .offset:         88
        .size:           8
        .value_kind:     global_buffer
      - .offset:         96
        .size:           4
        .value_kind:     by_value
      - .offset:         100
        .size:           1
        .value_kind:     by_value
    .group_segment_fixed_size: 6272
    .kernarg_segment_align: 8
    .kernarg_segment_size: 104
    .language:       OpenCL C
    .language_version:
      - 2
      - 0
    .max_flat_workgroup_size: 784
    .name:           _ZN9rocsparseL20bsrxmvn_17_32_kernelILj28EdllfddEEvT2_20rocsparse_direction_NS_24const_host_device_scalarIT0_EES1_PKS1_PKT1_SA_S7_PKT3_PKT4_S5_PT5_21rocsparse_index_base_b
    .private_segment_fixed_size: 0
    .sgpr_count:     22
    .sgpr_spill_count: 0
    .symbol:         _ZN9rocsparseL20bsrxmvn_17_32_kernelILj28EdllfddEEvT2_20rocsparse_direction_NS_24const_host_device_scalarIT0_EES1_PKS1_PKT1_SA_S7_PKT3_PKT4_S5_PT5_21rocsparse_index_base_b.kd
    .uniform_work_group_size: 1
    .uses_dynamic_stack: false
    .vgpr_count:     21
    .vgpr_spill_count: 0
    .wavefront_size: 32
    .workgroup_processor_mode: 1
  - .args:
      - .offset:         0
        .size:           8
        .value_kind:     by_value
      - .offset:         8
        .size:           4
        .value_kind:     by_value
      - .offset:         16
        .size:           8
        .value_kind:     by_value
      - .offset:         24
        .size:           8
        .value_kind:     by_value
      - .actual_access:  read_only
        .address_space:  global
        .offset:         32
        .size:           8
        .value_kind:     global_buffer
      - .actual_access:  read_only
        .address_space:  global
        .offset:         40
        .size:           8
        .value_kind:     global_buffer
      - .actual_access:  read_only
        .address_space:  global
        .offset:         48
        .size:           8
        .value_kind:     global_buffer
      - .actual_access:  read_only
        .address_space:  global
        .offset:         56
        .size:           8
        .value_kind:     global_buffer
      - .actual_access:  read_only
        .address_space:  global
        .offset:         64
        .size:           8
        .value_kind:     global_buffer
      - .actual_access:  read_only
        .address_space:  global
        .offset:         72
        .size:           8
        .value_kind:     global_buffer
      - .offset:         80
        .size:           8
        .value_kind:     by_value
      - .address_space:  global
        .offset:         88
        .size:           8
        .value_kind:     global_buffer
      - .offset:         96
        .size:           4
        .value_kind:     by_value
      - .offset:         100
        .size:           1
        .value_kind:     by_value
    .group_segment_fixed_size: 6728
    .kernarg_segment_align: 8
    .kernarg_segment_size: 104
    .language:       OpenCL C
    .language_version:
      - 2
      - 0
    .max_flat_workgroup_size: 841
    .name:           _ZN9rocsparseL20bsrxmvn_17_32_kernelILj29EdllfddEEvT2_20rocsparse_direction_NS_24const_host_device_scalarIT0_EES1_PKS1_PKT1_SA_S7_PKT3_PKT4_S5_PT5_21rocsparse_index_base_b
    .private_segment_fixed_size: 0
    .sgpr_count:     22
    .sgpr_spill_count: 0
    .symbol:         _ZN9rocsparseL20bsrxmvn_17_32_kernelILj29EdllfddEEvT2_20rocsparse_direction_NS_24const_host_device_scalarIT0_EES1_PKS1_PKT1_SA_S7_PKT3_PKT4_S5_PT5_21rocsparse_index_base_b.kd
    .uniform_work_group_size: 1
    .uses_dynamic_stack: false
    .vgpr_count:     21
    .vgpr_spill_count: 0
    .wavefront_size: 32
    .workgroup_processor_mode: 1
  - .args:
      - .offset:         0
        .size:           8
        .value_kind:     by_value
      - .offset:         8
        .size:           4
        .value_kind:     by_value
      - .offset:         16
        .size:           8
        .value_kind:     by_value
      - .offset:         24
        .size:           8
        .value_kind:     by_value
      - .actual_access:  read_only
        .address_space:  global
        .offset:         32
        .size:           8
        .value_kind:     global_buffer
      - .actual_access:  read_only
        .address_space:  global
        .offset:         40
        .size:           8
        .value_kind:     global_buffer
      - .actual_access:  read_only
        .address_space:  global
        .offset:         48
        .size:           8
        .value_kind:     global_buffer
      - .actual_access:  read_only
        .address_space:  global
        .offset:         56
        .size:           8
        .value_kind:     global_buffer
      - .actual_access:  read_only
        .address_space:  global
        .offset:         64
        .size:           8
        .value_kind:     global_buffer
      - .actual_access:  read_only
        .address_space:  global
        .offset:         72
        .size:           8
        .value_kind:     global_buffer
      - .offset:         80
        .size:           8
        .value_kind:     by_value
      - .address_space:  global
        .offset:         88
        .size:           8
        .value_kind:     global_buffer
      - .offset:         96
        .size:           4
        .value_kind:     by_value
      - .offset:         100
        .size:           1
        .value_kind:     by_value
    .group_segment_fixed_size: 7200
    .kernarg_segment_align: 8
    .kernarg_segment_size: 104
    .language:       OpenCL C
    .language_version:
      - 2
      - 0
    .max_flat_workgroup_size: 900
    .name:           _ZN9rocsparseL20bsrxmvn_17_32_kernelILj30EdllfddEEvT2_20rocsparse_direction_NS_24const_host_device_scalarIT0_EES1_PKS1_PKT1_SA_S7_PKT3_PKT4_S5_PT5_21rocsparse_index_base_b
    .private_segment_fixed_size: 0
    .sgpr_count:     22
    .sgpr_spill_count: 0
    .symbol:         _ZN9rocsparseL20bsrxmvn_17_32_kernelILj30EdllfddEEvT2_20rocsparse_direction_NS_24const_host_device_scalarIT0_EES1_PKS1_PKT1_SA_S7_PKT3_PKT4_S5_PT5_21rocsparse_index_base_b.kd
    .uniform_work_group_size: 1
    .uses_dynamic_stack: false
    .vgpr_count:     21
    .vgpr_spill_count: 0
    .wavefront_size: 32
    .workgroup_processor_mode: 1
  - .args:
      - .offset:         0
        .size:           8
        .value_kind:     by_value
      - .offset:         8
        .size:           4
        .value_kind:     by_value
      - .offset:         16
        .size:           8
        .value_kind:     by_value
      - .offset:         24
        .size:           8
        .value_kind:     by_value
      - .actual_access:  read_only
        .address_space:  global
        .offset:         32
        .size:           8
        .value_kind:     global_buffer
      - .actual_access:  read_only
        .address_space:  global
        .offset:         40
        .size:           8
        .value_kind:     global_buffer
      - .actual_access:  read_only
        .address_space:  global
        .offset:         48
        .size:           8
        .value_kind:     global_buffer
      - .actual_access:  read_only
        .address_space:  global
        .offset:         56
        .size:           8
        .value_kind:     global_buffer
      - .actual_access:  read_only
        .address_space:  global
        .offset:         64
        .size:           8
        .value_kind:     global_buffer
      - .actual_access:  read_only
        .address_space:  global
        .offset:         72
        .size:           8
        .value_kind:     global_buffer
      - .offset:         80
        .size:           8
        .value_kind:     by_value
      - .address_space:  global
        .offset:         88
        .size:           8
        .value_kind:     global_buffer
      - .offset:         96
        .size:           4
        .value_kind:     by_value
      - .offset:         100
        .size:           1
        .value_kind:     by_value
    .group_segment_fixed_size: 7688
    .kernarg_segment_align: 8
    .kernarg_segment_size: 104
    .language:       OpenCL C
    .language_version:
      - 2
      - 0
    .max_flat_workgroup_size: 961
    .name:           _ZN9rocsparseL20bsrxmvn_17_32_kernelILj31EdllfddEEvT2_20rocsparse_direction_NS_24const_host_device_scalarIT0_EES1_PKS1_PKT1_SA_S7_PKT3_PKT4_S5_PT5_21rocsparse_index_base_b
    .private_segment_fixed_size: 0
    .sgpr_count:     22
    .sgpr_spill_count: 0
    .symbol:         _ZN9rocsparseL20bsrxmvn_17_32_kernelILj31EdllfddEEvT2_20rocsparse_direction_NS_24const_host_device_scalarIT0_EES1_PKS1_PKT1_SA_S7_PKT3_PKT4_S5_PT5_21rocsparse_index_base_b.kd
    .uniform_work_group_size: 1
    .uses_dynamic_stack: false
    .vgpr_count:     21
    .vgpr_spill_count: 0
    .wavefront_size: 32
    .workgroup_processor_mode: 1
  - .args:
      - .offset:         0
        .size:           8
        .value_kind:     by_value
      - .offset:         8
        .size:           4
        .value_kind:     by_value
      - .offset:         16
        .size:           8
        .value_kind:     by_value
      - .offset:         24
        .size:           8
        .value_kind:     by_value
      - .actual_access:  read_only
        .address_space:  global
        .offset:         32
        .size:           8
        .value_kind:     global_buffer
      - .actual_access:  read_only
        .address_space:  global
        .offset:         40
        .size:           8
        .value_kind:     global_buffer
      - .actual_access:  read_only
        .address_space:  global
        .offset:         48
        .size:           8
        .value_kind:     global_buffer
      - .actual_access:  read_only
        .address_space:  global
        .offset:         56
        .size:           8
        .value_kind:     global_buffer
      - .actual_access:  read_only
        .address_space:  global
        .offset:         64
        .size:           8
        .value_kind:     global_buffer
      - .actual_access:  read_only
        .address_space:  global
        .offset:         72
        .size:           8
        .value_kind:     global_buffer
      - .offset:         80
        .size:           8
        .value_kind:     by_value
      - .address_space:  global
        .offset:         88
        .size:           8
        .value_kind:     global_buffer
      - .offset:         96
        .size:           4
        .value_kind:     by_value
      - .offset:         100
        .size:           1
        .value_kind:     by_value
    .group_segment_fixed_size: 8192
    .kernarg_segment_align: 8
    .kernarg_segment_size: 104
    .language:       OpenCL C
    .language_version:
      - 2
      - 0
    .max_flat_workgroup_size: 1024
    .name:           _ZN9rocsparseL20bsrxmvn_17_32_kernelILj32EdllfddEEvT2_20rocsparse_direction_NS_24const_host_device_scalarIT0_EES1_PKS1_PKT1_SA_S7_PKT3_PKT4_S5_PT5_21rocsparse_index_base_b
    .private_segment_fixed_size: 0
    .sgpr_count:     24
    .sgpr_spill_count: 0
    .symbol:         _ZN9rocsparseL20bsrxmvn_17_32_kernelILj32EdllfddEEvT2_20rocsparse_direction_NS_24const_host_device_scalarIT0_EES1_PKS1_PKT1_SA_S7_PKT3_PKT4_S5_PT5_21rocsparse_index_base_b.kd
    .uniform_work_group_size: 1
    .uses_dynamic_stack: false
    .vgpr_count:     16
    .vgpr_spill_count: 0
    .wavefront_size: 32
    .workgroup_processor_mode: 1
  - .args:
      - .offset:         0
        .size:           4
        .value_kind:     by_value
      - .offset:         4
        .size:           4
        .value_kind:     by_value
      - .offset:         8
        .size:           16
        .value_kind:     by_value
      - .offset:         24
        .size:           4
        .value_kind:     by_value
      - .actual_access:  read_only
        .address_space:  global
        .offset:         32
        .size:           8
        .value_kind:     global_buffer
      - .actual_access:  read_only
        .address_space:  global
        .offset:         40
        .size:           8
        .value_kind:     global_buffer
      - .actual_access:  read_only
        .address_space:  global
        .offset:         48
        .size:           8
        .value_kind:     global_buffer
      - .actual_access:  read_only
        .address_space:  global
        .offset:         56
        .size:           8
        .value_kind:     global_buffer
      - .actual_access:  read_only
        .address_space:  global
        .offset:         64
        .size:           8
        .value_kind:     global_buffer
      - .actual_access:  read_only
        .address_space:  global
        .offset:         72
        .size:           8
        .value_kind:     global_buffer
      - .offset:         80
        .size:           16
        .value_kind:     by_value
      - .address_space:  global
        .offset:         96
        .size:           8
        .value_kind:     global_buffer
      - .offset:         104
        .size:           4
        .value_kind:     by_value
      - .offset:         108
        .size:           1
        .value_kind:     by_value
    .group_segment_fixed_size: 9248
    .kernarg_segment_align: 8
    .kernarg_segment_size: 112
    .language:       OpenCL C
    .language_version:
      - 2
      - 0
    .max_flat_workgroup_size: 289
    .name:           _ZN9rocsparseL20bsrxmvn_17_32_kernelILj17E21rocsparse_complex_numIdEiiS1_IfES2_S2_EEvT2_20rocsparse_direction_NS_24const_host_device_scalarIT0_EES4_PKS4_PKT1_SD_SA_PKT3_PKT4_S8_PT5_21rocsparse_index_base_b
    .private_segment_fixed_size: 0
    .sgpr_count:     20
    .sgpr_spill_count: 0
    .symbol:         _ZN9rocsparseL20bsrxmvn_17_32_kernelILj17E21rocsparse_complex_numIdEiiS1_IfES2_S2_EEvT2_20rocsparse_direction_NS_24const_host_device_scalarIT0_EES4_PKS4_PKT1_SD_SA_PKT3_PKT4_S8_PT5_21rocsparse_index_base_b.kd
    .uniform_work_group_size: 1
    .uses_dynamic_stack: false
    .vgpr_count:     26
    .vgpr_spill_count: 0
    .wavefront_size: 32
    .workgroup_processor_mode: 1
  - .args:
      - .offset:         0
        .size:           4
        .value_kind:     by_value
      - .offset:         4
        .size:           4
        .value_kind:     by_value
      - .offset:         8
        .size:           16
        .value_kind:     by_value
      - .offset:         24
        .size:           4
        .value_kind:     by_value
      - .actual_access:  read_only
        .address_space:  global
        .offset:         32
        .size:           8
        .value_kind:     global_buffer
      - .actual_access:  read_only
        .address_space:  global
        .offset:         40
        .size:           8
        .value_kind:     global_buffer
      - .actual_access:  read_only
        .address_space:  global
        .offset:         48
        .size:           8
        .value_kind:     global_buffer
      - .actual_access:  read_only
        .address_space:  global
        .offset:         56
        .size:           8
        .value_kind:     global_buffer
      - .actual_access:  read_only
        .address_space:  global
        .offset:         64
        .size:           8
        .value_kind:     global_buffer
      - .actual_access:  read_only
        .address_space:  global
        .offset:         72
        .size:           8
        .value_kind:     global_buffer
      - .offset:         80
        .size:           16
        .value_kind:     by_value
      - .address_space:  global
        .offset:         96
        .size:           8
        .value_kind:     global_buffer
      - .offset:         104
        .size:           4
        .value_kind:     by_value
      - .offset:         108
        .size:           1
        .value_kind:     by_value
    .group_segment_fixed_size: 10368
    .kernarg_segment_align: 8
    .kernarg_segment_size: 112
    .language:       OpenCL C
    .language_version:
      - 2
      - 0
    .max_flat_workgroup_size: 324
    .name:           _ZN9rocsparseL20bsrxmvn_17_32_kernelILj18E21rocsparse_complex_numIdEiiS1_IfES2_S2_EEvT2_20rocsparse_direction_NS_24const_host_device_scalarIT0_EES4_PKS4_PKT1_SD_SA_PKT3_PKT4_S8_PT5_21rocsparse_index_base_b
    .private_segment_fixed_size: 0
    .sgpr_count:     20
    .sgpr_spill_count: 0
    .symbol:         _ZN9rocsparseL20bsrxmvn_17_32_kernelILj18E21rocsparse_complex_numIdEiiS1_IfES2_S2_EEvT2_20rocsparse_direction_NS_24const_host_device_scalarIT0_EES4_PKS4_PKT1_SD_SA_PKT3_PKT4_S8_PT5_21rocsparse_index_base_b.kd
    .uniform_work_group_size: 1
    .uses_dynamic_stack: false
    .vgpr_count:     26
    .vgpr_spill_count: 0
    .wavefront_size: 32
    .workgroup_processor_mode: 1
  - .args:
      - .offset:         0
        .size:           4
        .value_kind:     by_value
      - .offset:         4
        .size:           4
        .value_kind:     by_value
      - .offset:         8
        .size:           16
        .value_kind:     by_value
      - .offset:         24
        .size:           4
        .value_kind:     by_value
      - .actual_access:  read_only
        .address_space:  global
        .offset:         32
        .size:           8
        .value_kind:     global_buffer
      - .actual_access:  read_only
        .address_space:  global
        .offset:         40
        .size:           8
        .value_kind:     global_buffer
      - .actual_access:  read_only
        .address_space:  global
        .offset:         48
        .size:           8
        .value_kind:     global_buffer
      - .actual_access:  read_only
        .address_space:  global
        .offset:         56
        .size:           8
        .value_kind:     global_buffer
      - .actual_access:  read_only
        .address_space:  global
        .offset:         64
        .size:           8
        .value_kind:     global_buffer
      - .actual_access:  read_only
        .address_space:  global
        .offset:         72
        .size:           8
        .value_kind:     global_buffer
      - .offset:         80
        .size:           16
        .value_kind:     by_value
      - .address_space:  global
        .offset:         96
        .size:           8
        .value_kind:     global_buffer
      - .offset:         104
        .size:           4
        .value_kind:     by_value
      - .offset:         108
        .size:           1
        .value_kind:     by_value
    .group_segment_fixed_size: 11552
    .kernarg_segment_align: 8
    .kernarg_segment_size: 112
    .language:       OpenCL C
    .language_version:
      - 2
      - 0
    .max_flat_workgroup_size: 361
    .name:           _ZN9rocsparseL20bsrxmvn_17_32_kernelILj19E21rocsparse_complex_numIdEiiS1_IfES2_S2_EEvT2_20rocsparse_direction_NS_24const_host_device_scalarIT0_EES4_PKS4_PKT1_SD_SA_PKT3_PKT4_S8_PT5_21rocsparse_index_base_b
    .private_segment_fixed_size: 0
    .sgpr_count:     20
    .sgpr_spill_count: 0
    .symbol:         _ZN9rocsparseL20bsrxmvn_17_32_kernelILj19E21rocsparse_complex_numIdEiiS1_IfES2_S2_EEvT2_20rocsparse_direction_NS_24const_host_device_scalarIT0_EES4_PKS4_PKT1_SD_SA_PKT3_PKT4_S8_PT5_21rocsparse_index_base_b.kd
    .uniform_work_group_size: 1
    .uses_dynamic_stack: false
    .vgpr_count:     26
    .vgpr_spill_count: 0
    .wavefront_size: 32
    .workgroup_processor_mode: 1
  - .args:
      - .offset:         0
        .size:           4
        .value_kind:     by_value
      - .offset:         4
        .size:           4
        .value_kind:     by_value
      - .offset:         8
        .size:           16
        .value_kind:     by_value
      - .offset:         24
        .size:           4
        .value_kind:     by_value
      - .actual_access:  read_only
        .address_space:  global
        .offset:         32
        .size:           8
        .value_kind:     global_buffer
      - .actual_access:  read_only
        .address_space:  global
        .offset:         40
        .size:           8
        .value_kind:     global_buffer
      - .actual_access:  read_only
        .address_space:  global
        .offset:         48
        .size:           8
        .value_kind:     global_buffer
      - .actual_access:  read_only
        .address_space:  global
        .offset:         56
        .size:           8
        .value_kind:     global_buffer
      - .actual_access:  read_only
        .address_space:  global
        .offset:         64
        .size:           8
        .value_kind:     global_buffer
      - .actual_access:  read_only
        .address_space:  global
        .offset:         72
        .size:           8
        .value_kind:     global_buffer
      - .offset:         80
        .size:           16
        .value_kind:     by_value
      - .address_space:  global
        .offset:         96
        .size:           8
        .value_kind:     global_buffer
      - .offset:         104
        .size:           4
        .value_kind:     by_value
      - .offset:         108
        .size:           1
        .value_kind:     by_value
    .group_segment_fixed_size: 12800
    .kernarg_segment_align: 8
    .kernarg_segment_size: 112
    .language:       OpenCL C
    .language_version:
      - 2
      - 0
    .max_flat_workgroup_size: 400
    .name:           _ZN9rocsparseL20bsrxmvn_17_32_kernelILj20E21rocsparse_complex_numIdEiiS1_IfES2_S2_EEvT2_20rocsparse_direction_NS_24const_host_device_scalarIT0_EES4_PKS4_PKT1_SD_SA_PKT3_PKT4_S8_PT5_21rocsparse_index_base_b
    .private_segment_fixed_size: 0
    .sgpr_count:     20
    .sgpr_spill_count: 0
    .symbol:         _ZN9rocsparseL20bsrxmvn_17_32_kernelILj20E21rocsparse_complex_numIdEiiS1_IfES2_S2_EEvT2_20rocsparse_direction_NS_24const_host_device_scalarIT0_EES4_PKS4_PKT1_SD_SA_PKT3_PKT4_S8_PT5_21rocsparse_index_base_b.kd
    .uniform_work_group_size: 1
    .uses_dynamic_stack: false
    .vgpr_count:     26
    .vgpr_spill_count: 0
    .wavefront_size: 32
    .workgroup_processor_mode: 1
  - .args:
      - .offset:         0
        .size:           4
        .value_kind:     by_value
      - .offset:         4
        .size:           4
        .value_kind:     by_value
      - .offset:         8
        .size:           16
        .value_kind:     by_value
      - .offset:         24
        .size:           4
        .value_kind:     by_value
      - .actual_access:  read_only
        .address_space:  global
        .offset:         32
        .size:           8
        .value_kind:     global_buffer
      - .actual_access:  read_only
        .address_space:  global
        .offset:         40
        .size:           8
        .value_kind:     global_buffer
      - .actual_access:  read_only
        .address_space:  global
        .offset:         48
        .size:           8
        .value_kind:     global_buffer
      - .actual_access:  read_only
        .address_space:  global
        .offset:         56
        .size:           8
        .value_kind:     global_buffer
      - .actual_access:  read_only
        .address_space:  global
        .offset:         64
        .size:           8
        .value_kind:     global_buffer
      - .actual_access:  read_only
        .address_space:  global
        .offset:         72
        .size:           8
        .value_kind:     global_buffer
      - .offset:         80
        .size:           16
        .value_kind:     by_value
      - .address_space:  global
        .offset:         96
        .size:           8
        .value_kind:     global_buffer
      - .offset:         104
        .size:           4
        .value_kind:     by_value
      - .offset:         108
        .size:           1
        .value_kind:     by_value
    .group_segment_fixed_size: 14112
    .kernarg_segment_align: 8
    .kernarg_segment_size: 112
    .language:       OpenCL C
    .language_version:
      - 2
      - 0
    .max_flat_workgroup_size: 441
    .name:           _ZN9rocsparseL20bsrxmvn_17_32_kernelILj21E21rocsparse_complex_numIdEiiS1_IfES2_S2_EEvT2_20rocsparse_direction_NS_24const_host_device_scalarIT0_EES4_PKS4_PKT1_SD_SA_PKT3_PKT4_S8_PT5_21rocsparse_index_base_b
    .private_segment_fixed_size: 0
    .sgpr_count:     20
    .sgpr_spill_count: 0
    .symbol:         _ZN9rocsparseL20bsrxmvn_17_32_kernelILj21E21rocsparse_complex_numIdEiiS1_IfES2_S2_EEvT2_20rocsparse_direction_NS_24const_host_device_scalarIT0_EES4_PKS4_PKT1_SD_SA_PKT3_PKT4_S8_PT5_21rocsparse_index_base_b.kd
    .uniform_work_group_size: 1
    .uses_dynamic_stack: false
    .vgpr_count:     26
    .vgpr_spill_count: 0
    .wavefront_size: 32
    .workgroup_processor_mode: 1
  - .args:
      - .offset:         0
        .size:           4
        .value_kind:     by_value
      - .offset:         4
        .size:           4
        .value_kind:     by_value
      - .offset:         8
        .size:           16
        .value_kind:     by_value
      - .offset:         24
        .size:           4
        .value_kind:     by_value
      - .actual_access:  read_only
        .address_space:  global
        .offset:         32
        .size:           8
        .value_kind:     global_buffer
      - .actual_access:  read_only
        .address_space:  global
        .offset:         40
        .size:           8
        .value_kind:     global_buffer
      - .actual_access:  read_only
        .address_space:  global
        .offset:         48
        .size:           8
        .value_kind:     global_buffer
      - .actual_access:  read_only
        .address_space:  global
        .offset:         56
        .size:           8
        .value_kind:     global_buffer
      - .actual_access:  read_only
        .address_space:  global
        .offset:         64
        .size:           8
        .value_kind:     global_buffer
      - .actual_access:  read_only
        .address_space:  global
        .offset:         72
        .size:           8
        .value_kind:     global_buffer
      - .offset:         80
        .size:           16
        .value_kind:     by_value
      - .address_space:  global
        .offset:         96
        .size:           8
        .value_kind:     global_buffer
      - .offset:         104
        .size:           4
        .value_kind:     by_value
      - .offset:         108
        .size:           1
        .value_kind:     by_value
    .group_segment_fixed_size: 15488
    .kernarg_segment_align: 8
    .kernarg_segment_size: 112
    .language:       OpenCL C
    .language_version:
      - 2
      - 0
    .max_flat_workgroup_size: 484
    .name:           _ZN9rocsparseL20bsrxmvn_17_32_kernelILj22E21rocsparse_complex_numIdEiiS1_IfES2_S2_EEvT2_20rocsparse_direction_NS_24const_host_device_scalarIT0_EES4_PKS4_PKT1_SD_SA_PKT3_PKT4_S8_PT5_21rocsparse_index_base_b
    .private_segment_fixed_size: 0
    .sgpr_count:     20
    .sgpr_spill_count: 0
    .symbol:         _ZN9rocsparseL20bsrxmvn_17_32_kernelILj22E21rocsparse_complex_numIdEiiS1_IfES2_S2_EEvT2_20rocsparse_direction_NS_24const_host_device_scalarIT0_EES4_PKS4_PKT1_SD_SA_PKT3_PKT4_S8_PT5_21rocsparse_index_base_b.kd
    .uniform_work_group_size: 1
    .uses_dynamic_stack: false
    .vgpr_count:     26
    .vgpr_spill_count: 0
    .wavefront_size: 32
    .workgroup_processor_mode: 1
  - .args:
      - .offset:         0
        .size:           4
        .value_kind:     by_value
      - .offset:         4
        .size:           4
        .value_kind:     by_value
      - .offset:         8
        .size:           16
        .value_kind:     by_value
      - .offset:         24
        .size:           4
        .value_kind:     by_value
      - .actual_access:  read_only
        .address_space:  global
        .offset:         32
        .size:           8
        .value_kind:     global_buffer
      - .actual_access:  read_only
        .address_space:  global
        .offset:         40
        .size:           8
        .value_kind:     global_buffer
      - .actual_access:  read_only
        .address_space:  global
        .offset:         48
        .size:           8
        .value_kind:     global_buffer
      - .actual_access:  read_only
        .address_space:  global
        .offset:         56
        .size:           8
        .value_kind:     global_buffer
      - .actual_access:  read_only
        .address_space:  global
        .offset:         64
        .size:           8
        .value_kind:     global_buffer
      - .actual_access:  read_only
        .address_space:  global
        .offset:         72
        .size:           8
        .value_kind:     global_buffer
      - .offset:         80
        .size:           16
        .value_kind:     by_value
      - .address_space:  global
        .offset:         96
        .size:           8
        .value_kind:     global_buffer
      - .offset:         104
        .size:           4
        .value_kind:     by_value
      - .offset:         108
        .size:           1
        .value_kind:     by_value
    .group_segment_fixed_size: 16928
    .kernarg_segment_align: 8
    .kernarg_segment_size: 112
    .language:       OpenCL C
    .language_version:
      - 2
      - 0
    .max_flat_workgroup_size: 529
    .name:           _ZN9rocsparseL20bsrxmvn_17_32_kernelILj23E21rocsparse_complex_numIdEiiS1_IfES2_S2_EEvT2_20rocsparse_direction_NS_24const_host_device_scalarIT0_EES4_PKS4_PKT1_SD_SA_PKT3_PKT4_S8_PT5_21rocsparse_index_base_b
    .private_segment_fixed_size: 0
    .sgpr_count:     22
    .sgpr_spill_count: 0
    .symbol:         _ZN9rocsparseL20bsrxmvn_17_32_kernelILj23E21rocsparse_complex_numIdEiiS1_IfES2_S2_EEvT2_20rocsparse_direction_NS_24const_host_device_scalarIT0_EES4_PKS4_PKT1_SD_SA_PKT3_PKT4_S8_PT5_21rocsparse_index_base_b.kd
    .uniform_work_group_size: 1
    .uses_dynamic_stack: false
    .vgpr_count:     26
    .vgpr_spill_count: 0
    .wavefront_size: 32
    .workgroup_processor_mode: 1
  - .args:
      - .offset:         0
        .size:           4
        .value_kind:     by_value
      - .offset:         4
        .size:           4
        .value_kind:     by_value
      - .offset:         8
        .size:           16
        .value_kind:     by_value
      - .offset:         24
        .size:           4
        .value_kind:     by_value
      - .actual_access:  read_only
        .address_space:  global
        .offset:         32
        .size:           8
        .value_kind:     global_buffer
      - .actual_access:  read_only
        .address_space:  global
        .offset:         40
        .size:           8
        .value_kind:     global_buffer
      - .actual_access:  read_only
        .address_space:  global
        .offset:         48
        .size:           8
        .value_kind:     global_buffer
      - .actual_access:  read_only
        .address_space:  global
        .offset:         56
        .size:           8
        .value_kind:     global_buffer
      - .actual_access:  read_only
        .address_space:  global
        .offset:         64
        .size:           8
        .value_kind:     global_buffer
      - .actual_access:  read_only
        .address_space:  global
        .offset:         72
        .size:           8
        .value_kind:     global_buffer
      - .offset:         80
        .size:           16
        .value_kind:     by_value
      - .address_space:  global
        .offset:         96
        .size:           8
        .value_kind:     global_buffer
      - .offset:         104
        .size:           4
        .value_kind:     by_value
      - .offset:         108
        .size:           1
        .value_kind:     by_value
    .group_segment_fixed_size: 18432
    .kernarg_segment_align: 8
    .kernarg_segment_size: 112
    .language:       OpenCL C
    .language_version:
      - 2
      - 0
    .max_flat_workgroup_size: 576
    .name:           _ZN9rocsparseL20bsrxmvn_17_32_kernelILj24E21rocsparse_complex_numIdEiiS1_IfES2_S2_EEvT2_20rocsparse_direction_NS_24const_host_device_scalarIT0_EES4_PKS4_PKT1_SD_SA_PKT3_PKT4_S8_PT5_21rocsparse_index_base_b
    .private_segment_fixed_size: 0
    .sgpr_count:     22
    .sgpr_spill_count: 0
    .symbol:         _ZN9rocsparseL20bsrxmvn_17_32_kernelILj24E21rocsparse_complex_numIdEiiS1_IfES2_S2_EEvT2_20rocsparse_direction_NS_24const_host_device_scalarIT0_EES4_PKS4_PKT1_SD_SA_PKT3_PKT4_S8_PT5_21rocsparse_index_base_b.kd
    .uniform_work_group_size: 1
    .uses_dynamic_stack: false
    .vgpr_count:     26
    .vgpr_spill_count: 0
    .wavefront_size: 32
    .workgroup_processor_mode: 1
  - .args:
      - .offset:         0
        .size:           4
        .value_kind:     by_value
      - .offset:         4
        .size:           4
        .value_kind:     by_value
      - .offset:         8
        .size:           16
        .value_kind:     by_value
      - .offset:         24
        .size:           4
        .value_kind:     by_value
      - .actual_access:  read_only
        .address_space:  global
        .offset:         32
        .size:           8
        .value_kind:     global_buffer
      - .actual_access:  read_only
        .address_space:  global
        .offset:         40
        .size:           8
        .value_kind:     global_buffer
      - .actual_access:  read_only
        .address_space:  global
        .offset:         48
        .size:           8
        .value_kind:     global_buffer
      - .actual_access:  read_only
        .address_space:  global
        .offset:         56
        .size:           8
        .value_kind:     global_buffer
      - .actual_access:  read_only
        .address_space:  global
        .offset:         64
        .size:           8
        .value_kind:     global_buffer
      - .actual_access:  read_only
        .address_space:  global
        .offset:         72
        .size:           8
        .value_kind:     global_buffer
      - .offset:         80
        .size:           16
        .value_kind:     by_value
      - .address_space:  global
        .offset:         96
        .size:           8
        .value_kind:     global_buffer
      - .offset:         104
        .size:           4
        .value_kind:     by_value
      - .offset:         108
        .size:           1
        .value_kind:     by_value
    .group_segment_fixed_size: 20000
    .kernarg_segment_align: 8
    .kernarg_segment_size: 112
    .language:       OpenCL C
    .language_version:
      - 2
      - 0
    .max_flat_workgroup_size: 625
    .name:           _ZN9rocsparseL20bsrxmvn_17_32_kernelILj25E21rocsparse_complex_numIdEiiS1_IfES2_S2_EEvT2_20rocsparse_direction_NS_24const_host_device_scalarIT0_EES4_PKS4_PKT1_SD_SA_PKT3_PKT4_S8_PT5_21rocsparse_index_base_b
    .private_segment_fixed_size: 0
    .sgpr_count:     22
    .sgpr_spill_count: 0
    .symbol:         _ZN9rocsparseL20bsrxmvn_17_32_kernelILj25E21rocsparse_complex_numIdEiiS1_IfES2_S2_EEvT2_20rocsparse_direction_NS_24const_host_device_scalarIT0_EES4_PKS4_PKT1_SD_SA_PKT3_PKT4_S8_PT5_21rocsparse_index_base_b.kd
    .uniform_work_group_size: 1
    .uses_dynamic_stack: false
    .vgpr_count:     26
    .vgpr_spill_count: 0
    .wavefront_size: 32
    .workgroup_processor_mode: 1
  - .args:
      - .offset:         0
        .size:           4
        .value_kind:     by_value
      - .offset:         4
        .size:           4
        .value_kind:     by_value
      - .offset:         8
        .size:           16
        .value_kind:     by_value
      - .offset:         24
        .size:           4
        .value_kind:     by_value
      - .actual_access:  read_only
        .address_space:  global
        .offset:         32
        .size:           8
        .value_kind:     global_buffer
      - .actual_access:  read_only
        .address_space:  global
        .offset:         40
        .size:           8
        .value_kind:     global_buffer
      - .actual_access:  read_only
        .address_space:  global
        .offset:         48
        .size:           8
        .value_kind:     global_buffer
      - .actual_access:  read_only
        .address_space:  global
        .offset:         56
        .size:           8
        .value_kind:     global_buffer
      - .actual_access:  read_only
        .address_space:  global
        .offset:         64
        .size:           8
        .value_kind:     global_buffer
      - .actual_access:  read_only
        .address_space:  global
        .offset:         72
        .size:           8
        .value_kind:     global_buffer
      - .offset:         80
        .size:           16
        .value_kind:     by_value
      - .address_space:  global
        .offset:         96
        .size:           8
        .value_kind:     global_buffer
      - .offset:         104
        .size:           4
        .value_kind:     by_value
      - .offset:         108
        .size:           1
        .value_kind:     by_value
    .group_segment_fixed_size: 21632
    .kernarg_segment_align: 8
    .kernarg_segment_size: 112
    .language:       OpenCL C
    .language_version:
      - 2
      - 0
    .max_flat_workgroup_size: 676
    .name:           _ZN9rocsparseL20bsrxmvn_17_32_kernelILj26E21rocsparse_complex_numIdEiiS1_IfES2_S2_EEvT2_20rocsparse_direction_NS_24const_host_device_scalarIT0_EES4_PKS4_PKT1_SD_SA_PKT3_PKT4_S8_PT5_21rocsparse_index_base_b
    .private_segment_fixed_size: 0
    .sgpr_count:     22
    .sgpr_spill_count: 0
    .symbol:         _ZN9rocsparseL20bsrxmvn_17_32_kernelILj26E21rocsparse_complex_numIdEiiS1_IfES2_S2_EEvT2_20rocsparse_direction_NS_24const_host_device_scalarIT0_EES4_PKS4_PKT1_SD_SA_PKT3_PKT4_S8_PT5_21rocsparse_index_base_b.kd
    .uniform_work_group_size: 1
    .uses_dynamic_stack: false
    .vgpr_count:     26
    .vgpr_spill_count: 0
    .wavefront_size: 32
    .workgroup_processor_mode: 1
  - .args:
      - .offset:         0
        .size:           4
        .value_kind:     by_value
      - .offset:         4
        .size:           4
        .value_kind:     by_value
      - .offset:         8
        .size:           16
        .value_kind:     by_value
      - .offset:         24
        .size:           4
        .value_kind:     by_value
      - .actual_access:  read_only
        .address_space:  global
        .offset:         32
        .size:           8
        .value_kind:     global_buffer
      - .actual_access:  read_only
        .address_space:  global
        .offset:         40
        .size:           8
        .value_kind:     global_buffer
      - .actual_access:  read_only
        .address_space:  global
        .offset:         48
        .size:           8
        .value_kind:     global_buffer
      - .actual_access:  read_only
        .address_space:  global
        .offset:         56
        .size:           8
        .value_kind:     global_buffer
      - .actual_access:  read_only
        .address_space:  global
        .offset:         64
        .size:           8
        .value_kind:     global_buffer
      - .actual_access:  read_only
        .address_space:  global
        .offset:         72
        .size:           8
        .value_kind:     global_buffer
      - .offset:         80
        .size:           16
        .value_kind:     by_value
      - .address_space:  global
        .offset:         96
        .size:           8
        .value_kind:     global_buffer
      - .offset:         104
        .size:           4
        .value_kind:     by_value
      - .offset:         108
        .size:           1
        .value_kind:     by_value
    .group_segment_fixed_size: 23328
    .kernarg_segment_align: 8
    .kernarg_segment_size: 112
    .language:       OpenCL C
    .language_version:
      - 2
      - 0
    .max_flat_workgroup_size: 729
    .name:           _ZN9rocsparseL20bsrxmvn_17_32_kernelILj27E21rocsparse_complex_numIdEiiS1_IfES2_S2_EEvT2_20rocsparse_direction_NS_24const_host_device_scalarIT0_EES4_PKS4_PKT1_SD_SA_PKT3_PKT4_S8_PT5_21rocsparse_index_base_b
    .private_segment_fixed_size: 0
    .sgpr_count:     22
    .sgpr_spill_count: 0
    .symbol:         _ZN9rocsparseL20bsrxmvn_17_32_kernelILj27E21rocsparse_complex_numIdEiiS1_IfES2_S2_EEvT2_20rocsparse_direction_NS_24const_host_device_scalarIT0_EES4_PKS4_PKT1_SD_SA_PKT3_PKT4_S8_PT5_21rocsparse_index_base_b.kd
    .uniform_work_group_size: 1
    .uses_dynamic_stack: false
    .vgpr_count:     26
    .vgpr_spill_count: 0
    .wavefront_size: 32
    .workgroup_processor_mode: 1
  - .args:
      - .offset:         0
        .size:           4
        .value_kind:     by_value
      - .offset:         4
        .size:           4
        .value_kind:     by_value
      - .offset:         8
        .size:           16
        .value_kind:     by_value
      - .offset:         24
        .size:           4
        .value_kind:     by_value
      - .actual_access:  read_only
        .address_space:  global
        .offset:         32
        .size:           8
        .value_kind:     global_buffer
      - .actual_access:  read_only
        .address_space:  global
        .offset:         40
        .size:           8
        .value_kind:     global_buffer
      - .actual_access:  read_only
        .address_space:  global
        .offset:         48
        .size:           8
        .value_kind:     global_buffer
      - .actual_access:  read_only
        .address_space:  global
        .offset:         56
        .size:           8
        .value_kind:     global_buffer
      - .actual_access:  read_only
        .address_space:  global
        .offset:         64
        .size:           8
        .value_kind:     global_buffer
      - .actual_access:  read_only
        .address_space:  global
        .offset:         72
        .size:           8
        .value_kind:     global_buffer
      - .offset:         80
        .size:           16
        .value_kind:     by_value
      - .address_space:  global
        .offset:         96
        .size:           8
        .value_kind:     global_buffer
      - .offset:         104
        .size:           4
        .value_kind:     by_value
      - .offset:         108
        .size:           1
        .value_kind:     by_value
    .group_segment_fixed_size: 25088
    .kernarg_segment_align: 8
    .kernarg_segment_size: 112
    .language:       OpenCL C
    .language_version:
      - 2
      - 0
    .max_flat_workgroup_size: 784
    .name:           _ZN9rocsparseL20bsrxmvn_17_32_kernelILj28E21rocsparse_complex_numIdEiiS1_IfES2_S2_EEvT2_20rocsparse_direction_NS_24const_host_device_scalarIT0_EES4_PKS4_PKT1_SD_SA_PKT3_PKT4_S8_PT5_21rocsparse_index_base_b
    .private_segment_fixed_size: 0
    .sgpr_count:     22
    .sgpr_spill_count: 0
    .symbol:         _ZN9rocsparseL20bsrxmvn_17_32_kernelILj28E21rocsparse_complex_numIdEiiS1_IfES2_S2_EEvT2_20rocsparse_direction_NS_24const_host_device_scalarIT0_EES4_PKS4_PKT1_SD_SA_PKT3_PKT4_S8_PT5_21rocsparse_index_base_b.kd
    .uniform_work_group_size: 1
    .uses_dynamic_stack: false
    .vgpr_count:     26
    .vgpr_spill_count: 0
    .wavefront_size: 32
    .workgroup_processor_mode: 1
  - .args:
      - .offset:         0
        .size:           4
        .value_kind:     by_value
      - .offset:         4
        .size:           4
        .value_kind:     by_value
      - .offset:         8
        .size:           16
        .value_kind:     by_value
      - .offset:         24
        .size:           4
        .value_kind:     by_value
      - .actual_access:  read_only
        .address_space:  global
        .offset:         32
        .size:           8
        .value_kind:     global_buffer
      - .actual_access:  read_only
        .address_space:  global
        .offset:         40
        .size:           8
        .value_kind:     global_buffer
      - .actual_access:  read_only
        .address_space:  global
        .offset:         48
        .size:           8
        .value_kind:     global_buffer
      - .actual_access:  read_only
        .address_space:  global
        .offset:         56
        .size:           8
        .value_kind:     global_buffer
      - .actual_access:  read_only
        .address_space:  global
        .offset:         64
        .size:           8
        .value_kind:     global_buffer
      - .actual_access:  read_only
        .address_space:  global
        .offset:         72
        .size:           8
        .value_kind:     global_buffer
      - .offset:         80
        .size:           16
        .value_kind:     by_value
      - .address_space:  global
        .offset:         96
        .size:           8
        .value_kind:     global_buffer
      - .offset:         104
        .size:           4
        .value_kind:     by_value
      - .offset:         108
        .size:           1
        .value_kind:     by_value
    .group_segment_fixed_size: 26912
    .kernarg_segment_align: 8
    .kernarg_segment_size: 112
    .language:       OpenCL C
    .language_version:
      - 2
      - 0
    .max_flat_workgroup_size: 841
    .name:           _ZN9rocsparseL20bsrxmvn_17_32_kernelILj29E21rocsparse_complex_numIdEiiS1_IfES2_S2_EEvT2_20rocsparse_direction_NS_24const_host_device_scalarIT0_EES4_PKS4_PKT1_SD_SA_PKT3_PKT4_S8_PT5_21rocsparse_index_base_b
    .private_segment_fixed_size: 0
    .sgpr_count:     22
    .sgpr_spill_count: 0
    .symbol:         _ZN9rocsparseL20bsrxmvn_17_32_kernelILj29E21rocsparse_complex_numIdEiiS1_IfES2_S2_EEvT2_20rocsparse_direction_NS_24const_host_device_scalarIT0_EES4_PKS4_PKT1_SD_SA_PKT3_PKT4_S8_PT5_21rocsparse_index_base_b.kd
    .uniform_work_group_size: 1
    .uses_dynamic_stack: false
    .vgpr_count:     26
    .vgpr_spill_count: 0
    .wavefront_size: 32
    .workgroup_processor_mode: 1
  - .args:
      - .offset:         0
        .size:           4
        .value_kind:     by_value
      - .offset:         4
        .size:           4
        .value_kind:     by_value
      - .offset:         8
        .size:           16
        .value_kind:     by_value
      - .offset:         24
        .size:           4
        .value_kind:     by_value
      - .actual_access:  read_only
        .address_space:  global
        .offset:         32
        .size:           8
        .value_kind:     global_buffer
      - .actual_access:  read_only
        .address_space:  global
        .offset:         40
        .size:           8
        .value_kind:     global_buffer
      - .actual_access:  read_only
        .address_space:  global
        .offset:         48
        .size:           8
        .value_kind:     global_buffer
      - .actual_access:  read_only
        .address_space:  global
        .offset:         56
        .size:           8
        .value_kind:     global_buffer
      - .actual_access:  read_only
        .address_space:  global
        .offset:         64
        .size:           8
        .value_kind:     global_buffer
      - .actual_access:  read_only
        .address_space:  global
        .offset:         72
        .size:           8
        .value_kind:     global_buffer
      - .offset:         80
        .size:           16
        .value_kind:     by_value
      - .address_space:  global
        .offset:         96
        .size:           8
        .value_kind:     global_buffer
      - .offset:         104
        .size:           4
        .value_kind:     by_value
      - .offset:         108
        .size:           1
        .value_kind:     by_value
    .group_segment_fixed_size: 28800
    .kernarg_segment_align: 8
    .kernarg_segment_size: 112
    .language:       OpenCL C
    .language_version:
      - 2
      - 0
    .max_flat_workgroup_size: 900
    .name:           _ZN9rocsparseL20bsrxmvn_17_32_kernelILj30E21rocsparse_complex_numIdEiiS1_IfES2_S2_EEvT2_20rocsparse_direction_NS_24const_host_device_scalarIT0_EES4_PKS4_PKT1_SD_SA_PKT3_PKT4_S8_PT5_21rocsparse_index_base_b
    .private_segment_fixed_size: 0
    .sgpr_count:     22
    .sgpr_spill_count: 0
    .symbol:         _ZN9rocsparseL20bsrxmvn_17_32_kernelILj30E21rocsparse_complex_numIdEiiS1_IfES2_S2_EEvT2_20rocsparse_direction_NS_24const_host_device_scalarIT0_EES4_PKS4_PKT1_SD_SA_PKT3_PKT4_S8_PT5_21rocsparse_index_base_b.kd
    .uniform_work_group_size: 1
    .uses_dynamic_stack: false
    .vgpr_count:     26
    .vgpr_spill_count: 0
    .wavefront_size: 32
    .workgroup_processor_mode: 1
  - .args:
      - .offset:         0
        .size:           4
        .value_kind:     by_value
      - .offset:         4
        .size:           4
        .value_kind:     by_value
      - .offset:         8
        .size:           16
        .value_kind:     by_value
      - .offset:         24
        .size:           4
        .value_kind:     by_value
      - .actual_access:  read_only
        .address_space:  global
        .offset:         32
        .size:           8
        .value_kind:     global_buffer
      - .actual_access:  read_only
        .address_space:  global
        .offset:         40
        .size:           8
        .value_kind:     global_buffer
      - .actual_access:  read_only
        .address_space:  global
        .offset:         48
        .size:           8
        .value_kind:     global_buffer
      - .actual_access:  read_only
        .address_space:  global
        .offset:         56
        .size:           8
        .value_kind:     global_buffer
      - .actual_access:  read_only
        .address_space:  global
        .offset:         64
        .size:           8
        .value_kind:     global_buffer
      - .actual_access:  read_only
        .address_space:  global
        .offset:         72
        .size:           8
        .value_kind:     global_buffer
      - .offset:         80
        .size:           16
        .value_kind:     by_value
      - .address_space:  global
        .offset:         96
        .size:           8
        .value_kind:     global_buffer
      - .offset:         104
        .size:           4
        .value_kind:     by_value
      - .offset:         108
        .size:           1
        .value_kind:     by_value
    .group_segment_fixed_size: 30752
    .kernarg_segment_align: 8
    .kernarg_segment_size: 112
    .language:       OpenCL C
    .language_version:
      - 2
      - 0
    .max_flat_workgroup_size: 961
    .name:           _ZN9rocsparseL20bsrxmvn_17_32_kernelILj31E21rocsparse_complex_numIdEiiS1_IfES2_S2_EEvT2_20rocsparse_direction_NS_24const_host_device_scalarIT0_EES4_PKS4_PKT1_SD_SA_PKT3_PKT4_S8_PT5_21rocsparse_index_base_b
    .private_segment_fixed_size: 0
    .sgpr_count:     22
    .sgpr_spill_count: 0
    .symbol:         _ZN9rocsparseL20bsrxmvn_17_32_kernelILj31E21rocsparse_complex_numIdEiiS1_IfES2_S2_EEvT2_20rocsparse_direction_NS_24const_host_device_scalarIT0_EES4_PKS4_PKT1_SD_SA_PKT3_PKT4_S8_PT5_21rocsparse_index_base_b.kd
    .uniform_work_group_size: 1
    .uses_dynamic_stack: false
    .vgpr_count:     26
    .vgpr_spill_count: 0
    .wavefront_size: 32
    .workgroup_processor_mode: 1
  - .args:
      - .offset:         0
        .size:           4
        .value_kind:     by_value
      - .offset:         4
        .size:           4
        .value_kind:     by_value
      - .offset:         8
        .size:           16
        .value_kind:     by_value
      - .offset:         24
        .size:           4
        .value_kind:     by_value
      - .actual_access:  read_only
        .address_space:  global
        .offset:         32
        .size:           8
        .value_kind:     global_buffer
      - .actual_access:  read_only
        .address_space:  global
        .offset:         40
        .size:           8
        .value_kind:     global_buffer
      - .actual_access:  read_only
        .address_space:  global
        .offset:         48
        .size:           8
        .value_kind:     global_buffer
      - .actual_access:  read_only
        .address_space:  global
        .offset:         56
        .size:           8
        .value_kind:     global_buffer
      - .actual_access:  read_only
        .address_space:  global
        .offset:         64
        .size:           8
        .value_kind:     global_buffer
      - .actual_access:  read_only
        .address_space:  global
        .offset:         72
        .size:           8
        .value_kind:     global_buffer
      - .offset:         80
        .size:           16
        .value_kind:     by_value
      - .address_space:  global
        .offset:         96
        .size:           8
        .value_kind:     global_buffer
      - .offset:         104
        .size:           4
        .value_kind:     by_value
      - .offset:         108
        .size:           1
        .value_kind:     by_value
    .group_segment_fixed_size: 32768
    .kernarg_segment_align: 8
    .kernarg_segment_size: 112
    .language:       OpenCL C
    .language_version:
      - 2
      - 0
    .max_flat_workgroup_size: 1024
    .name:           _ZN9rocsparseL20bsrxmvn_17_32_kernelILj32E21rocsparse_complex_numIdEiiS1_IfES2_S2_EEvT2_20rocsparse_direction_NS_24const_host_device_scalarIT0_EES4_PKS4_PKT1_SD_SA_PKT3_PKT4_S8_PT5_21rocsparse_index_base_b
    .private_segment_fixed_size: 0
    .sgpr_count:     24
    .sgpr_spill_count: 0
    .symbol:         _ZN9rocsparseL20bsrxmvn_17_32_kernelILj32E21rocsparse_complex_numIdEiiS1_IfES2_S2_EEvT2_20rocsparse_direction_NS_24const_host_device_scalarIT0_EES4_PKS4_PKT1_SD_SA_PKT3_PKT4_S8_PT5_21rocsparse_index_base_b.kd
    .uniform_work_group_size: 1
    .uses_dynamic_stack: false
    .vgpr_count:     26
    .vgpr_spill_count: 0
    .wavefront_size: 32
    .workgroup_processor_mode: 1
  - .args:
      - .offset:         0
        .size:           4
        .value_kind:     by_value
      - .offset:         4
        .size:           4
        .value_kind:     by_value
      - .offset:         8
        .size:           16
        .value_kind:     by_value
      - .offset:         24
        .size:           4
        .value_kind:     by_value
      - .actual_access:  read_only
        .address_space:  global
        .offset:         32
        .size:           8
        .value_kind:     global_buffer
      - .actual_access:  read_only
        .address_space:  global
        .offset:         40
        .size:           8
        .value_kind:     global_buffer
      - .actual_access:  read_only
        .address_space:  global
        .offset:         48
        .size:           8
        .value_kind:     global_buffer
      - .actual_access:  read_only
        .address_space:  global
        .offset:         56
        .size:           8
        .value_kind:     global_buffer
      - .actual_access:  read_only
        .address_space:  global
        .offset:         64
        .size:           8
        .value_kind:     global_buffer
      - .actual_access:  read_only
        .address_space:  global
        .offset:         72
        .size:           8
        .value_kind:     global_buffer
      - .offset:         80
        .size:           16
        .value_kind:     by_value
      - .address_space:  global
        .offset:         96
        .size:           8
        .value_kind:     global_buffer
      - .offset:         104
        .size:           4
        .value_kind:     by_value
      - .offset:         108
        .size:           1
        .value_kind:     by_value
    .group_segment_fixed_size: 9248
    .kernarg_segment_align: 8
    .kernarg_segment_size: 112
    .language:       OpenCL C
    .language_version:
      - 2
      - 0
    .max_flat_workgroup_size: 289
    .name:           _ZN9rocsparseL20bsrxmvn_17_32_kernelILj17E21rocsparse_complex_numIdEliS1_IfES2_S2_EEvT2_20rocsparse_direction_NS_24const_host_device_scalarIT0_EES4_PKS4_PKT1_SD_SA_PKT3_PKT4_S8_PT5_21rocsparse_index_base_b
    .private_segment_fixed_size: 0
    .sgpr_count:     23
    .sgpr_spill_count: 0
    .symbol:         _ZN9rocsparseL20bsrxmvn_17_32_kernelILj17E21rocsparse_complex_numIdEliS1_IfES2_S2_EEvT2_20rocsparse_direction_NS_24const_host_device_scalarIT0_EES4_PKS4_PKT1_SD_SA_PKT3_PKT4_S8_PT5_21rocsparse_index_base_b.kd
    .uniform_work_group_size: 1
    .uses_dynamic_stack: false
    .vgpr_count:     28
    .vgpr_spill_count: 0
    .wavefront_size: 32
    .workgroup_processor_mode: 1
  - .args:
      - .offset:         0
        .size:           4
        .value_kind:     by_value
      - .offset:         4
        .size:           4
        .value_kind:     by_value
      - .offset:         8
        .size:           16
        .value_kind:     by_value
      - .offset:         24
        .size:           4
        .value_kind:     by_value
      - .actual_access:  read_only
        .address_space:  global
        .offset:         32
        .size:           8
        .value_kind:     global_buffer
      - .actual_access:  read_only
        .address_space:  global
        .offset:         40
        .size:           8
        .value_kind:     global_buffer
      - .actual_access:  read_only
        .address_space:  global
        .offset:         48
        .size:           8
        .value_kind:     global_buffer
      - .actual_access:  read_only
        .address_space:  global
        .offset:         56
        .size:           8
        .value_kind:     global_buffer
      - .actual_access:  read_only
        .address_space:  global
        .offset:         64
        .size:           8
        .value_kind:     global_buffer
      - .actual_access:  read_only
        .address_space:  global
        .offset:         72
        .size:           8
        .value_kind:     global_buffer
      - .offset:         80
        .size:           16
        .value_kind:     by_value
      - .address_space:  global
        .offset:         96
        .size:           8
        .value_kind:     global_buffer
      - .offset:         104
        .size:           4
        .value_kind:     by_value
      - .offset:         108
        .size:           1
        .value_kind:     by_value
    .group_segment_fixed_size: 10368
    .kernarg_segment_align: 8
    .kernarg_segment_size: 112
    .language:       OpenCL C
    .language_version:
      - 2
      - 0
    .max_flat_workgroup_size: 324
    .name:           _ZN9rocsparseL20bsrxmvn_17_32_kernelILj18E21rocsparse_complex_numIdEliS1_IfES2_S2_EEvT2_20rocsparse_direction_NS_24const_host_device_scalarIT0_EES4_PKS4_PKT1_SD_SA_PKT3_PKT4_S8_PT5_21rocsparse_index_base_b
    .private_segment_fixed_size: 0
    .sgpr_count:     23
    .sgpr_spill_count: 0
    .symbol:         _ZN9rocsparseL20bsrxmvn_17_32_kernelILj18E21rocsparse_complex_numIdEliS1_IfES2_S2_EEvT2_20rocsparse_direction_NS_24const_host_device_scalarIT0_EES4_PKS4_PKT1_SD_SA_PKT3_PKT4_S8_PT5_21rocsparse_index_base_b.kd
    .uniform_work_group_size: 1
    .uses_dynamic_stack: false
    .vgpr_count:     28
    .vgpr_spill_count: 0
    .wavefront_size: 32
    .workgroup_processor_mode: 1
  - .args:
      - .offset:         0
        .size:           4
        .value_kind:     by_value
      - .offset:         4
        .size:           4
        .value_kind:     by_value
      - .offset:         8
        .size:           16
        .value_kind:     by_value
      - .offset:         24
        .size:           4
        .value_kind:     by_value
      - .actual_access:  read_only
        .address_space:  global
        .offset:         32
        .size:           8
        .value_kind:     global_buffer
      - .actual_access:  read_only
        .address_space:  global
        .offset:         40
        .size:           8
        .value_kind:     global_buffer
      - .actual_access:  read_only
        .address_space:  global
        .offset:         48
        .size:           8
        .value_kind:     global_buffer
      - .actual_access:  read_only
        .address_space:  global
        .offset:         56
        .size:           8
        .value_kind:     global_buffer
      - .actual_access:  read_only
        .address_space:  global
        .offset:         64
        .size:           8
        .value_kind:     global_buffer
      - .actual_access:  read_only
        .address_space:  global
        .offset:         72
        .size:           8
        .value_kind:     global_buffer
      - .offset:         80
        .size:           16
        .value_kind:     by_value
      - .address_space:  global
        .offset:         96
        .size:           8
        .value_kind:     global_buffer
      - .offset:         104
        .size:           4
        .value_kind:     by_value
      - .offset:         108
        .size:           1
        .value_kind:     by_value
    .group_segment_fixed_size: 11552
    .kernarg_segment_align: 8
    .kernarg_segment_size: 112
    .language:       OpenCL C
    .language_version:
      - 2
      - 0
    .max_flat_workgroup_size: 361
    .name:           _ZN9rocsparseL20bsrxmvn_17_32_kernelILj19E21rocsparse_complex_numIdEliS1_IfES2_S2_EEvT2_20rocsparse_direction_NS_24const_host_device_scalarIT0_EES4_PKS4_PKT1_SD_SA_PKT3_PKT4_S8_PT5_21rocsparse_index_base_b
    .private_segment_fixed_size: 0
    .sgpr_count:     23
    .sgpr_spill_count: 0
    .symbol:         _ZN9rocsparseL20bsrxmvn_17_32_kernelILj19E21rocsparse_complex_numIdEliS1_IfES2_S2_EEvT2_20rocsparse_direction_NS_24const_host_device_scalarIT0_EES4_PKS4_PKT1_SD_SA_PKT3_PKT4_S8_PT5_21rocsparse_index_base_b.kd
    .uniform_work_group_size: 1
    .uses_dynamic_stack: false
    .vgpr_count:     28
    .vgpr_spill_count: 0
    .wavefront_size: 32
    .workgroup_processor_mode: 1
  - .args:
      - .offset:         0
        .size:           4
        .value_kind:     by_value
      - .offset:         4
        .size:           4
        .value_kind:     by_value
      - .offset:         8
        .size:           16
        .value_kind:     by_value
      - .offset:         24
        .size:           4
        .value_kind:     by_value
      - .actual_access:  read_only
        .address_space:  global
        .offset:         32
        .size:           8
        .value_kind:     global_buffer
      - .actual_access:  read_only
        .address_space:  global
        .offset:         40
        .size:           8
        .value_kind:     global_buffer
      - .actual_access:  read_only
        .address_space:  global
        .offset:         48
        .size:           8
        .value_kind:     global_buffer
      - .actual_access:  read_only
        .address_space:  global
        .offset:         56
        .size:           8
        .value_kind:     global_buffer
      - .actual_access:  read_only
        .address_space:  global
        .offset:         64
        .size:           8
        .value_kind:     global_buffer
      - .actual_access:  read_only
        .address_space:  global
        .offset:         72
        .size:           8
        .value_kind:     global_buffer
      - .offset:         80
        .size:           16
        .value_kind:     by_value
      - .address_space:  global
        .offset:         96
        .size:           8
        .value_kind:     global_buffer
      - .offset:         104
        .size:           4
        .value_kind:     by_value
      - .offset:         108
        .size:           1
        .value_kind:     by_value
    .group_segment_fixed_size: 12800
    .kernarg_segment_align: 8
    .kernarg_segment_size: 112
    .language:       OpenCL C
    .language_version:
      - 2
      - 0
    .max_flat_workgroup_size: 400
    .name:           _ZN9rocsparseL20bsrxmvn_17_32_kernelILj20E21rocsparse_complex_numIdEliS1_IfES2_S2_EEvT2_20rocsparse_direction_NS_24const_host_device_scalarIT0_EES4_PKS4_PKT1_SD_SA_PKT3_PKT4_S8_PT5_21rocsparse_index_base_b
    .private_segment_fixed_size: 0
    .sgpr_count:     23
    .sgpr_spill_count: 0
    .symbol:         _ZN9rocsparseL20bsrxmvn_17_32_kernelILj20E21rocsparse_complex_numIdEliS1_IfES2_S2_EEvT2_20rocsparse_direction_NS_24const_host_device_scalarIT0_EES4_PKS4_PKT1_SD_SA_PKT3_PKT4_S8_PT5_21rocsparse_index_base_b.kd
    .uniform_work_group_size: 1
    .uses_dynamic_stack: false
    .vgpr_count:     28
    .vgpr_spill_count: 0
    .wavefront_size: 32
    .workgroup_processor_mode: 1
  - .args:
      - .offset:         0
        .size:           4
        .value_kind:     by_value
      - .offset:         4
        .size:           4
        .value_kind:     by_value
      - .offset:         8
        .size:           16
        .value_kind:     by_value
      - .offset:         24
        .size:           4
        .value_kind:     by_value
      - .actual_access:  read_only
        .address_space:  global
        .offset:         32
        .size:           8
        .value_kind:     global_buffer
      - .actual_access:  read_only
        .address_space:  global
        .offset:         40
        .size:           8
        .value_kind:     global_buffer
      - .actual_access:  read_only
        .address_space:  global
        .offset:         48
        .size:           8
        .value_kind:     global_buffer
      - .actual_access:  read_only
        .address_space:  global
        .offset:         56
        .size:           8
        .value_kind:     global_buffer
      - .actual_access:  read_only
        .address_space:  global
        .offset:         64
        .size:           8
        .value_kind:     global_buffer
      - .actual_access:  read_only
        .address_space:  global
        .offset:         72
        .size:           8
        .value_kind:     global_buffer
      - .offset:         80
        .size:           16
        .value_kind:     by_value
      - .address_space:  global
        .offset:         96
        .size:           8
        .value_kind:     global_buffer
      - .offset:         104
        .size:           4
        .value_kind:     by_value
      - .offset:         108
        .size:           1
        .value_kind:     by_value
    .group_segment_fixed_size: 14112
    .kernarg_segment_align: 8
    .kernarg_segment_size: 112
    .language:       OpenCL C
    .language_version:
      - 2
      - 0
    .max_flat_workgroup_size: 441
    .name:           _ZN9rocsparseL20bsrxmvn_17_32_kernelILj21E21rocsparse_complex_numIdEliS1_IfES2_S2_EEvT2_20rocsparse_direction_NS_24const_host_device_scalarIT0_EES4_PKS4_PKT1_SD_SA_PKT3_PKT4_S8_PT5_21rocsparse_index_base_b
    .private_segment_fixed_size: 0
    .sgpr_count:     23
    .sgpr_spill_count: 0
    .symbol:         _ZN9rocsparseL20bsrxmvn_17_32_kernelILj21E21rocsparse_complex_numIdEliS1_IfES2_S2_EEvT2_20rocsparse_direction_NS_24const_host_device_scalarIT0_EES4_PKS4_PKT1_SD_SA_PKT3_PKT4_S8_PT5_21rocsparse_index_base_b.kd
    .uniform_work_group_size: 1
    .uses_dynamic_stack: false
    .vgpr_count:     28
    .vgpr_spill_count: 0
    .wavefront_size: 32
    .workgroup_processor_mode: 1
  - .args:
      - .offset:         0
        .size:           4
        .value_kind:     by_value
      - .offset:         4
        .size:           4
        .value_kind:     by_value
      - .offset:         8
        .size:           16
        .value_kind:     by_value
      - .offset:         24
        .size:           4
        .value_kind:     by_value
      - .actual_access:  read_only
        .address_space:  global
        .offset:         32
        .size:           8
        .value_kind:     global_buffer
      - .actual_access:  read_only
        .address_space:  global
        .offset:         40
        .size:           8
        .value_kind:     global_buffer
      - .actual_access:  read_only
        .address_space:  global
        .offset:         48
        .size:           8
        .value_kind:     global_buffer
      - .actual_access:  read_only
        .address_space:  global
        .offset:         56
        .size:           8
        .value_kind:     global_buffer
      - .actual_access:  read_only
        .address_space:  global
        .offset:         64
        .size:           8
        .value_kind:     global_buffer
      - .actual_access:  read_only
        .address_space:  global
        .offset:         72
        .size:           8
        .value_kind:     global_buffer
      - .offset:         80
        .size:           16
        .value_kind:     by_value
      - .address_space:  global
        .offset:         96
        .size:           8
        .value_kind:     global_buffer
      - .offset:         104
        .size:           4
        .value_kind:     by_value
      - .offset:         108
        .size:           1
        .value_kind:     by_value
    .group_segment_fixed_size: 15488
    .kernarg_segment_align: 8
    .kernarg_segment_size: 112
    .language:       OpenCL C
    .language_version:
      - 2
      - 0
    .max_flat_workgroup_size: 484
    .name:           _ZN9rocsparseL20bsrxmvn_17_32_kernelILj22E21rocsparse_complex_numIdEliS1_IfES2_S2_EEvT2_20rocsparse_direction_NS_24const_host_device_scalarIT0_EES4_PKS4_PKT1_SD_SA_PKT3_PKT4_S8_PT5_21rocsparse_index_base_b
    .private_segment_fixed_size: 0
    .sgpr_count:     23
    .sgpr_spill_count: 0
    .symbol:         _ZN9rocsparseL20bsrxmvn_17_32_kernelILj22E21rocsparse_complex_numIdEliS1_IfES2_S2_EEvT2_20rocsparse_direction_NS_24const_host_device_scalarIT0_EES4_PKS4_PKT1_SD_SA_PKT3_PKT4_S8_PT5_21rocsparse_index_base_b.kd
    .uniform_work_group_size: 1
    .uses_dynamic_stack: false
    .vgpr_count:     28
    .vgpr_spill_count: 0
    .wavefront_size: 32
    .workgroup_processor_mode: 1
  - .args:
      - .offset:         0
        .size:           4
        .value_kind:     by_value
      - .offset:         4
        .size:           4
        .value_kind:     by_value
      - .offset:         8
        .size:           16
        .value_kind:     by_value
      - .offset:         24
        .size:           4
        .value_kind:     by_value
      - .actual_access:  read_only
        .address_space:  global
        .offset:         32
        .size:           8
        .value_kind:     global_buffer
      - .actual_access:  read_only
        .address_space:  global
        .offset:         40
        .size:           8
        .value_kind:     global_buffer
      - .actual_access:  read_only
        .address_space:  global
        .offset:         48
        .size:           8
        .value_kind:     global_buffer
      - .actual_access:  read_only
        .address_space:  global
        .offset:         56
        .size:           8
        .value_kind:     global_buffer
      - .actual_access:  read_only
        .address_space:  global
        .offset:         64
        .size:           8
        .value_kind:     global_buffer
      - .actual_access:  read_only
        .address_space:  global
        .offset:         72
        .size:           8
        .value_kind:     global_buffer
      - .offset:         80
        .size:           16
        .value_kind:     by_value
      - .address_space:  global
        .offset:         96
        .size:           8
        .value_kind:     global_buffer
      - .offset:         104
        .size:           4
        .value_kind:     by_value
      - .offset:         108
        .size:           1
        .value_kind:     by_value
    .group_segment_fixed_size: 16928
    .kernarg_segment_align: 8
    .kernarg_segment_size: 112
    .language:       OpenCL C
    .language_version:
      - 2
      - 0
    .max_flat_workgroup_size: 529
    .name:           _ZN9rocsparseL20bsrxmvn_17_32_kernelILj23E21rocsparse_complex_numIdEliS1_IfES2_S2_EEvT2_20rocsparse_direction_NS_24const_host_device_scalarIT0_EES4_PKS4_PKT1_SD_SA_PKT3_PKT4_S8_PT5_21rocsparse_index_base_b
    .private_segment_fixed_size: 0
    .sgpr_count:     24
    .sgpr_spill_count: 0
    .symbol:         _ZN9rocsparseL20bsrxmvn_17_32_kernelILj23E21rocsparse_complex_numIdEliS1_IfES2_S2_EEvT2_20rocsparse_direction_NS_24const_host_device_scalarIT0_EES4_PKS4_PKT1_SD_SA_PKT3_PKT4_S8_PT5_21rocsparse_index_base_b.kd
    .uniform_work_group_size: 1
    .uses_dynamic_stack: false
    .vgpr_count:     26
    .vgpr_spill_count: 0
    .wavefront_size: 32
    .workgroup_processor_mode: 1
  - .args:
      - .offset:         0
        .size:           4
        .value_kind:     by_value
      - .offset:         4
        .size:           4
        .value_kind:     by_value
      - .offset:         8
        .size:           16
        .value_kind:     by_value
      - .offset:         24
        .size:           4
        .value_kind:     by_value
      - .actual_access:  read_only
        .address_space:  global
        .offset:         32
        .size:           8
        .value_kind:     global_buffer
      - .actual_access:  read_only
        .address_space:  global
        .offset:         40
        .size:           8
        .value_kind:     global_buffer
      - .actual_access:  read_only
        .address_space:  global
        .offset:         48
        .size:           8
        .value_kind:     global_buffer
      - .actual_access:  read_only
        .address_space:  global
        .offset:         56
        .size:           8
        .value_kind:     global_buffer
      - .actual_access:  read_only
        .address_space:  global
        .offset:         64
        .size:           8
        .value_kind:     global_buffer
      - .actual_access:  read_only
        .address_space:  global
        .offset:         72
        .size:           8
        .value_kind:     global_buffer
      - .offset:         80
        .size:           16
        .value_kind:     by_value
      - .address_space:  global
        .offset:         96
        .size:           8
        .value_kind:     global_buffer
      - .offset:         104
        .size:           4
        .value_kind:     by_value
      - .offset:         108
        .size:           1
        .value_kind:     by_value
    .group_segment_fixed_size: 18432
    .kernarg_segment_align: 8
    .kernarg_segment_size: 112
    .language:       OpenCL C
    .language_version:
      - 2
      - 0
    .max_flat_workgroup_size: 576
    .name:           _ZN9rocsparseL20bsrxmvn_17_32_kernelILj24E21rocsparse_complex_numIdEliS1_IfES2_S2_EEvT2_20rocsparse_direction_NS_24const_host_device_scalarIT0_EES4_PKS4_PKT1_SD_SA_PKT3_PKT4_S8_PT5_21rocsparse_index_base_b
    .private_segment_fixed_size: 0
    .sgpr_count:     24
    .sgpr_spill_count: 0
    .symbol:         _ZN9rocsparseL20bsrxmvn_17_32_kernelILj24E21rocsparse_complex_numIdEliS1_IfES2_S2_EEvT2_20rocsparse_direction_NS_24const_host_device_scalarIT0_EES4_PKS4_PKT1_SD_SA_PKT3_PKT4_S8_PT5_21rocsparse_index_base_b.kd
    .uniform_work_group_size: 1
    .uses_dynamic_stack: false
    .vgpr_count:     26
    .vgpr_spill_count: 0
    .wavefront_size: 32
    .workgroup_processor_mode: 1
  - .args:
      - .offset:         0
        .size:           4
        .value_kind:     by_value
      - .offset:         4
        .size:           4
        .value_kind:     by_value
      - .offset:         8
        .size:           16
        .value_kind:     by_value
      - .offset:         24
        .size:           4
        .value_kind:     by_value
      - .actual_access:  read_only
        .address_space:  global
        .offset:         32
        .size:           8
        .value_kind:     global_buffer
      - .actual_access:  read_only
        .address_space:  global
        .offset:         40
        .size:           8
        .value_kind:     global_buffer
      - .actual_access:  read_only
        .address_space:  global
        .offset:         48
        .size:           8
        .value_kind:     global_buffer
      - .actual_access:  read_only
        .address_space:  global
        .offset:         56
        .size:           8
        .value_kind:     global_buffer
      - .actual_access:  read_only
        .address_space:  global
        .offset:         64
        .size:           8
        .value_kind:     global_buffer
      - .actual_access:  read_only
        .address_space:  global
        .offset:         72
        .size:           8
        .value_kind:     global_buffer
      - .offset:         80
        .size:           16
        .value_kind:     by_value
      - .address_space:  global
        .offset:         96
        .size:           8
        .value_kind:     global_buffer
      - .offset:         104
        .size:           4
        .value_kind:     by_value
      - .offset:         108
        .size:           1
        .value_kind:     by_value
    .group_segment_fixed_size: 20000
    .kernarg_segment_align: 8
    .kernarg_segment_size: 112
    .language:       OpenCL C
    .language_version:
      - 2
      - 0
    .max_flat_workgroup_size: 625
    .name:           _ZN9rocsparseL20bsrxmvn_17_32_kernelILj25E21rocsparse_complex_numIdEliS1_IfES2_S2_EEvT2_20rocsparse_direction_NS_24const_host_device_scalarIT0_EES4_PKS4_PKT1_SD_SA_PKT3_PKT4_S8_PT5_21rocsparse_index_base_b
    .private_segment_fixed_size: 0
    .sgpr_count:     24
    .sgpr_spill_count: 0
    .symbol:         _ZN9rocsparseL20bsrxmvn_17_32_kernelILj25E21rocsparse_complex_numIdEliS1_IfES2_S2_EEvT2_20rocsparse_direction_NS_24const_host_device_scalarIT0_EES4_PKS4_PKT1_SD_SA_PKT3_PKT4_S8_PT5_21rocsparse_index_base_b.kd
    .uniform_work_group_size: 1
    .uses_dynamic_stack: false
    .vgpr_count:     26
    .vgpr_spill_count: 0
    .wavefront_size: 32
    .workgroup_processor_mode: 1
  - .args:
      - .offset:         0
        .size:           4
        .value_kind:     by_value
      - .offset:         4
        .size:           4
        .value_kind:     by_value
      - .offset:         8
        .size:           16
        .value_kind:     by_value
      - .offset:         24
        .size:           4
        .value_kind:     by_value
      - .actual_access:  read_only
        .address_space:  global
        .offset:         32
        .size:           8
        .value_kind:     global_buffer
      - .actual_access:  read_only
        .address_space:  global
        .offset:         40
        .size:           8
        .value_kind:     global_buffer
      - .actual_access:  read_only
        .address_space:  global
        .offset:         48
        .size:           8
        .value_kind:     global_buffer
      - .actual_access:  read_only
        .address_space:  global
        .offset:         56
        .size:           8
        .value_kind:     global_buffer
      - .actual_access:  read_only
        .address_space:  global
        .offset:         64
        .size:           8
        .value_kind:     global_buffer
      - .actual_access:  read_only
        .address_space:  global
        .offset:         72
        .size:           8
        .value_kind:     global_buffer
      - .offset:         80
        .size:           16
        .value_kind:     by_value
      - .address_space:  global
        .offset:         96
        .size:           8
        .value_kind:     global_buffer
      - .offset:         104
        .size:           4
        .value_kind:     by_value
      - .offset:         108
        .size:           1
        .value_kind:     by_value
    .group_segment_fixed_size: 21632
    .kernarg_segment_align: 8
    .kernarg_segment_size: 112
    .language:       OpenCL C
    .language_version:
      - 2
      - 0
    .max_flat_workgroup_size: 676
    .name:           _ZN9rocsparseL20bsrxmvn_17_32_kernelILj26E21rocsparse_complex_numIdEliS1_IfES2_S2_EEvT2_20rocsparse_direction_NS_24const_host_device_scalarIT0_EES4_PKS4_PKT1_SD_SA_PKT3_PKT4_S8_PT5_21rocsparse_index_base_b
    .private_segment_fixed_size: 0
    .sgpr_count:     24
    .sgpr_spill_count: 0
    .symbol:         _ZN9rocsparseL20bsrxmvn_17_32_kernelILj26E21rocsparse_complex_numIdEliS1_IfES2_S2_EEvT2_20rocsparse_direction_NS_24const_host_device_scalarIT0_EES4_PKS4_PKT1_SD_SA_PKT3_PKT4_S8_PT5_21rocsparse_index_base_b.kd
    .uniform_work_group_size: 1
    .uses_dynamic_stack: false
    .vgpr_count:     26
    .vgpr_spill_count: 0
    .wavefront_size: 32
    .workgroup_processor_mode: 1
  - .args:
      - .offset:         0
        .size:           4
        .value_kind:     by_value
      - .offset:         4
        .size:           4
        .value_kind:     by_value
      - .offset:         8
        .size:           16
        .value_kind:     by_value
      - .offset:         24
        .size:           4
        .value_kind:     by_value
      - .actual_access:  read_only
        .address_space:  global
        .offset:         32
        .size:           8
        .value_kind:     global_buffer
      - .actual_access:  read_only
        .address_space:  global
        .offset:         40
        .size:           8
        .value_kind:     global_buffer
      - .actual_access:  read_only
        .address_space:  global
        .offset:         48
        .size:           8
        .value_kind:     global_buffer
      - .actual_access:  read_only
        .address_space:  global
        .offset:         56
        .size:           8
        .value_kind:     global_buffer
      - .actual_access:  read_only
        .address_space:  global
        .offset:         64
        .size:           8
        .value_kind:     global_buffer
      - .actual_access:  read_only
        .address_space:  global
        .offset:         72
        .size:           8
        .value_kind:     global_buffer
      - .offset:         80
        .size:           16
        .value_kind:     by_value
      - .address_space:  global
        .offset:         96
        .size:           8
        .value_kind:     global_buffer
      - .offset:         104
        .size:           4
        .value_kind:     by_value
      - .offset:         108
        .size:           1
        .value_kind:     by_value
    .group_segment_fixed_size: 23328
    .kernarg_segment_align: 8
    .kernarg_segment_size: 112
    .language:       OpenCL C
    .language_version:
      - 2
      - 0
    .max_flat_workgroup_size: 729
    .name:           _ZN9rocsparseL20bsrxmvn_17_32_kernelILj27E21rocsparse_complex_numIdEliS1_IfES2_S2_EEvT2_20rocsparse_direction_NS_24const_host_device_scalarIT0_EES4_PKS4_PKT1_SD_SA_PKT3_PKT4_S8_PT5_21rocsparse_index_base_b
    .private_segment_fixed_size: 0
    .sgpr_count:     24
    .sgpr_spill_count: 0
    .symbol:         _ZN9rocsparseL20bsrxmvn_17_32_kernelILj27E21rocsparse_complex_numIdEliS1_IfES2_S2_EEvT2_20rocsparse_direction_NS_24const_host_device_scalarIT0_EES4_PKS4_PKT1_SD_SA_PKT3_PKT4_S8_PT5_21rocsparse_index_base_b.kd
    .uniform_work_group_size: 1
    .uses_dynamic_stack: false
    .vgpr_count:     26
    .vgpr_spill_count: 0
    .wavefront_size: 32
    .workgroup_processor_mode: 1
  - .args:
      - .offset:         0
        .size:           4
        .value_kind:     by_value
      - .offset:         4
        .size:           4
        .value_kind:     by_value
      - .offset:         8
        .size:           16
        .value_kind:     by_value
      - .offset:         24
        .size:           4
        .value_kind:     by_value
      - .actual_access:  read_only
        .address_space:  global
        .offset:         32
        .size:           8
        .value_kind:     global_buffer
      - .actual_access:  read_only
        .address_space:  global
        .offset:         40
        .size:           8
        .value_kind:     global_buffer
      - .actual_access:  read_only
        .address_space:  global
        .offset:         48
        .size:           8
        .value_kind:     global_buffer
      - .actual_access:  read_only
        .address_space:  global
        .offset:         56
        .size:           8
        .value_kind:     global_buffer
      - .actual_access:  read_only
        .address_space:  global
        .offset:         64
        .size:           8
        .value_kind:     global_buffer
      - .actual_access:  read_only
        .address_space:  global
        .offset:         72
        .size:           8
        .value_kind:     global_buffer
      - .offset:         80
        .size:           16
        .value_kind:     by_value
      - .address_space:  global
        .offset:         96
        .size:           8
        .value_kind:     global_buffer
      - .offset:         104
        .size:           4
        .value_kind:     by_value
      - .offset:         108
        .size:           1
        .value_kind:     by_value
    .group_segment_fixed_size: 25088
    .kernarg_segment_align: 8
    .kernarg_segment_size: 112
    .language:       OpenCL C
    .language_version:
      - 2
      - 0
    .max_flat_workgroup_size: 784
    .name:           _ZN9rocsparseL20bsrxmvn_17_32_kernelILj28E21rocsparse_complex_numIdEliS1_IfES2_S2_EEvT2_20rocsparse_direction_NS_24const_host_device_scalarIT0_EES4_PKS4_PKT1_SD_SA_PKT3_PKT4_S8_PT5_21rocsparse_index_base_b
    .private_segment_fixed_size: 0
    .sgpr_count:     24
    .sgpr_spill_count: 0
    .symbol:         _ZN9rocsparseL20bsrxmvn_17_32_kernelILj28E21rocsparse_complex_numIdEliS1_IfES2_S2_EEvT2_20rocsparse_direction_NS_24const_host_device_scalarIT0_EES4_PKS4_PKT1_SD_SA_PKT3_PKT4_S8_PT5_21rocsparse_index_base_b.kd
    .uniform_work_group_size: 1
    .uses_dynamic_stack: false
    .vgpr_count:     26
    .vgpr_spill_count: 0
    .wavefront_size: 32
    .workgroup_processor_mode: 1
  - .args:
      - .offset:         0
        .size:           4
        .value_kind:     by_value
      - .offset:         4
        .size:           4
        .value_kind:     by_value
      - .offset:         8
        .size:           16
        .value_kind:     by_value
      - .offset:         24
        .size:           4
        .value_kind:     by_value
      - .actual_access:  read_only
        .address_space:  global
        .offset:         32
        .size:           8
        .value_kind:     global_buffer
      - .actual_access:  read_only
        .address_space:  global
        .offset:         40
        .size:           8
        .value_kind:     global_buffer
      - .actual_access:  read_only
        .address_space:  global
        .offset:         48
        .size:           8
        .value_kind:     global_buffer
      - .actual_access:  read_only
        .address_space:  global
        .offset:         56
        .size:           8
        .value_kind:     global_buffer
      - .actual_access:  read_only
        .address_space:  global
        .offset:         64
        .size:           8
        .value_kind:     global_buffer
      - .actual_access:  read_only
        .address_space:  global
        .offset:         72
        .size:           8
        .value_kind:     global_buffer
      - .offset:         80
        .size:           16
        .value_kind:     by_value
      - .address_space:  global
        .offset:         96
        .size:           8
        .value_kind:     global_buffer
      - .offset:         104
        .size:           4
        .value_kind:     by_value
      - .offset:         108
        .size:           1
        .value_kind:     by_value
    .group_segment_fixed_size: 26912
    .kernarg_segment_align: 8
    .kernarg_segment_size: 112
    .language:       OpenCL C
    .language_version:
      - 2
      - 0
    .max_flat_workgroup_size: 841
    .name:           _ZN9rocsparseL20bsrxmvn_17_32_kernelILj29E21rocsparse_complex_numIdEliS1_IfES2_S2_EEvT2_20rocsparse_direction_NS_24const_host_device_scalarIT0_EES4_PKS4_PKT1_SD_SA_PKT3_PKT4_S8_PT5_21rocsparse_index_base_b
    .private_segment_fixed_size: 0
    .sgpr_count:     24
    .sgpr_spill_count: 0
    .symbol:         _ZN9rocsparseL20bsrxmvn_17_32_kernelILj29E21rocsparse_complex_numIdEliS1_IfES2_S2_EEvT2_20rocsparse_direction_NS_24const_host_device_scalarIT0_EES4_PKS4_PKT1_SD_SA_PKT3_PKT4_S8_PT5_21rocsparse_index_base_b.kd
    .uniform_work_group_size: 1
    .uses_dynamic_stack: false
    .vgpr_count:     26
    .vgpr_spill_count: 0
    .wavefront_size: 32
    .workgroup_processor_mode: 1
  - .args:
      - .offset:         0
        .size:           4
        .value_kind:     by_value
      - .offset:         4
        .size:           4
        .value_kind:     by_value
      - .offset:         8
        .size:           16
        .value_kind:     by_value
      - .offset:         24
        .size:           4
        .value_kind:     by_value
      - .actual_access:  read_only
        .address_space:  global
        .offset:         32
        .size:           8
        .value_kind:     global_buffer
      - .actual_access:  read_only
        .address_space:  global
        .offset:         40
        .size:           8
        .value_kind:     global_buffer
      - .actual_access:  read_only
        .address_space:  global
        .offset:         48
        .size:           8
        .value_kind:     global_buffer
      - .actual_access:  read_only
        .address_space:  global
        .offset:         56
        .size:           8
        .value_kind:     global_buffer
      - .actual_access:  read_only
        .address_space:  global
        .offset:         64
        .size:           8
        .value_kind:     global_buffer
      - .actual_access:  read_only
        .address_space:  global
        .offset:         72
        .size:           8
        .value_kind:     global_buffer
      - .offset:         80
        .size:           16
        .value_kind:     by_value
      - .address_space:  global
        .offset:         96
        .size:           8
        .value_kind:     global_buffer
      - .offset:         104
        .size:           4
        .value_kind:     by_value
      - .offset:         108
        .size:           1
        .value_kind:     by_value
    .group_segment_fixed_size: 28800
    .kernarg_segment_align: 8
    .kernarg_segment_size: 112
    .language:       OpenCL C
    .language_version:
      - 2
      - 0
    .max_flat_workgroup_size: 900
    .name:           _ZN9rocsparseL20bsrxmvn_17_32_kernelILj30E21rocsparse_complex_numIdEliS1_IfES2_S2_EEvT2_20rocsparse_direction_NS_24const_host_device_scalarIT0_EES4_PKS4_PKT1_SD_SA_PKT3_PKT4_S8_PT5_21rocsparse_index_base_b
    .private_segment_fixed_size: 0
    .sgpr_count:     24
    .sgpr_spill_count: 0
    .symbol:         _ZN9rocsparseL20bsrxmvn_17_32_kernelILj30E21rocsparse_complex_numIdEliS1_IfES2_S2_EEvT2_20rocsparse_direction_NS_24const_host_device_scalarIT0_EES4_PKS4_PKT1_SD_SA_PKT3_PKT4_S8_PT5_21rocsparse_index_base_b.kd
    .uniform_work_group_size: 1
    .uses_dynamic_stack: false
    .vgpr_count:     26
    .vgpr_spill_count: 0
    .wavefront_size: 32
    .workgroup_processor_mode: 1
  - .args:
      - .offset:         0
        .size:           4
        .value_kind:     by_value
      - .offset:         4
        .size:           4
        .value_kind:     by_value
      - .offset:         8
        .size:           16
        .value_kind:     by_value
      - .offset:         24
        .size:           4
        .value_kind:     by_value
      - .actual_access:  read_only
        .address_space:  global
        .offset:         32
        .size:           8
        .value_kind:     global_buffer
      - .actual_access:  read_only
        .address_space:  global
        .offset:         40
        .size:           8
        .value_kind:     global_buffer
      - .actual_access:  read_only
        .address_space:  global
        .offset:         48
        .size:           8
        .value_kind:     global_buffer
      - .actual_access:  read_only
        .address_space:  global
        .offset:         56
        .size:           8
        .value_kind:     global_buffer
      - .actual_access:  read_only
        .address_space:  global
        .offset:         64
        .size:           8
        .value_kind:     global_buffer
      - .actual_access:  read_only
        .address_space:  global
        .offset:         72
        .size:           8
        .value_kind:     global_buffer
      - .offset:         80
        .size:           16
        .value_kind:     by_value
      - .address_space:  global
        .offset:         96
        .size:           8
        .value_kind:     global_buffer
      - .offset:         104
        .size:           4
        .value_kind:     by_value
      - .offset:         108
        .size:           1
        .value_kind:     by_value
    .group_segment_fixed_size: 30752
    .kernarg_segment_align: 8
    .kernarg_segment_size: 112
    .language:       OpenCL C
    .language_version:
      - 2
      - 0
    .max_flat_workgroup_size: 961
    .name:           _ZN9rocsparseL20bsrxmvn_17_32_kernelILj31E21rocsparse_complex_numIdEliS1_IfES2_S2_EEvT2_20rocsparse_direction_NS_24const_host_device_scalarIT0_EES4_PKS4_PKT1_SD_SA_PKT3_PKT4_S8_PT5_21rocsparse_index_base_b
    .private_segment_fixed_size: 0
    .sgpr_count:     24
    .sgpr_spill_count: 0
    .symbol:         _ZN9rocsparseL20bsrxmvn_17_32_kernelILj31E21rocsparse_complex_numIdEliS1_IfES2_S2_EEvT2_20rocsparse_direction_NS_24const_host_device_scalarIT0_EES4_PKS4_PKT1_SD_SA_PKT3_PKT4_S8_PT5_21rocsparse_index_base_b.kd
    .uniform_work_group_size: 1
    .uses_dynamic_stack: false
    .vgpr_count:     26
    .vgpr_spill_count: 0
    .wavefront_size: 32
    .workgroup_processor_mode: 1
  - .args:
      - .offset:         0
        .size:           4
        .value_kind:     by_value
      - .offset:         4
        .size:           4
        .value_kind:     by_value
      - .offset:         8
        .size:           16
        .value_kind:     by_value
      - .offset:         24
        .size:           4
        .value_kind:     by_value
      - .actual_access:  read_only
        .address_space:  global
        .offset:         32
        .size:           8
        .value_kind:     global_buffer
      - .actual_access:  read_only
        .address_space:  global
        .offset:         40
        .size:           8
        .value_kind:     global_buffer
      - .actual_access:  read_only
        .address_space:  global
        .offset:         48
        .size:           8
        .value_kind:     global_buffer
      - .actual_access:  read_only
        .address_space:  global
        .offset:         56
        .size:           8
        .value_kind:     global_buffer
      - .actual_access:  read_only
        .address_space:  global
        .offset:         64
        .size:           8
        .value_kind:     global_buffer
      - .actual_access:  read_only
        .address_space:  global
        .offset:         72
        .size:           8
        .value_kind:     global_buffer
      - .offset:         80
        .size:           16
        .value_kind:     by_value
      - .address_space:  global
        .offset:         96
        .size:           8
        .value_kind:     global_buffer
      - .offset:         104
        .size:           4
        .value_kind:     by_value
      - .offset:         108
        .size:           1
        .value_kind:     by_value
    .group_segment_fixed_size: 32768
    .kernarg_segment_align: 8
    .kernarg_segment_size: 112
    .language:       OpenCL C
    .language_version:
      - 2
      - 0
    .max_flat_workgroup_size: 1024
    .name:           _ZN9rocsparseL20bsrxmvn_17_32_kernelILj32E21rocsparse_complex_numIdEliS1_IfES2_S2_EEvT2_20rocsparse_direction_NS_24const_host_device_scalarIT0_EES4_PKS4_PKT1_SD_SA_PKT3_PKT4_S8_PT5_21rocsparse_index_base_b
    .private_segment_fixed_size: 0
    .sgpr_count:     28
    .sgpr_spill_count: 0
    .symbol:         _ZN9rocsparseL20bsrxmvn_17_32_kernelILj32E21rocsparse_complex_numIdEliS1_IfES2_S2_EEvT2_20rocsparse_direction_NS_24const_host_device_scalarIT0_EES4_PKS4_PKT1_SD_SA_PKT3_PKT4_S8_PT5_21rocsparse_index_base_b.kd
    .uniform_work_group_size: 1
    .uses_dynamic_stack: false
    .vgpr_count:     26
    .vgpr_spill_count: 0
    .wavefront_size: 32
    .workgroup_processor_mode: 1
  - .args:
      - .offset:         0
        .size:           8
        .value_kind:     by_value
      - .offset:         8
        .size:           4
        .value_kind:     by_value
      - .offset:         16
        .size:           16
        .value_kind:     by_value
      - .offset:         32
        .size:           8
        .value_kind:     by_value
      - .actual_access:  read_only
        .address_space:  global
        .offset:         40
        .size:           8
        .value_kind:     global_buffer
      - .actual_access:  read_only
        .address_space:  global
        .offset:         48
        .size:           8
        .value_kind:     global_buffer
      - .actual_access:  read_only
        .address_space:  global
        .offset:         56
        .size:           8
        .value_kind:     global_buffer
      - .actual_access:  read_only
        .address_space:  global
        .offset:         64
        .size:           8
        .value_kind:     global_buffer
      - .actual_access:  read_only
        .address_space:  global
        .offset:         72
        .size:           8
        .value_kind:     global_buffer
      - .actual_access:  read_only
        .address_space:  global
        .offset:         80
        .size:           8
        .value_kind:     global_buffer
      - .offset:         88
        .size:           16
        .value_kind:     by_value
      - .address_space:  global
        .offset:         104
        .size:           8
        .value_kind:     global_buffer
      - .offset:         112
        .size:           4
        .value_kind:     by_value
      - .offset:         116
        .size:           1
        .value_kind:     by_value
    .group_segment_fixed_size: 9248
    .kernarg_segment_align: 8
    .kernarg_segment_size: 120
    .language:       OpenCL C
    .language_version:
      - 2
      - 0
    .max_flat_workgroup_size: 289
    .name:           _ZN9rocsparseL20bsrxmvn_17_32_kernelILj17E21rocsparse_complex_numIdEllS1_IfES2_S2_EEvT2_20rocsparse_direction_NS_24const_host_device_scalarIT0_EES4_PKS4_PKT1_SD_SA_PKT3_PKT4_S8_PT5_21rocsparse_index_base_b
    .private_segment_fixed_size: 0
    .sgpr_count:     24
    .sgpr_spill_count: 0
    .symbol:         _ZN9rocsparseL20bsrxmvn_17_32_kernelILj17E21rocsparse_complex_numIdEllS1_IfES2_S2_EEvT2_20rocsparse_direction_NS_24const_host_device_scalarIT0_EES4_PKS4_PKT1_SD_SA_PKT3_PKT4_S8_PT5_21rocsparse_index_base_b.kd
    .uniform_work_group_size: 1
    .uses_dynamic_stack: false
    .vgpr_count:     29
    .vgpr_spill_count: 0
    .wavefront_size: 32
    .workgroup_processor_mode: 1
  - .args:
      - .offset:         0
        .size:           8
        .value_kind:     by_value
      - .offset:         8
        .size:           4
        .value_kind:     by_value
      - .offset:         16
        .size:           16
        .value_kind:     by_value
      - .offset:         32
        .size:           8
        .value_kind:     by_value
      - .actual_access:  read_only
        .address_space:  global
        .offset:         40
        .size:           8
        .value_kind:     global_buffer
      - .actual_access:  read_only
        .address_space:  global
        .offset:         48
        .size:           8
        .value_kind:     global_buffer
      - .actual_access:  read_only
        .address_space:  global
        .offset:         56
        .size:           8
        .value_kind:     global_buffer
      - .actual_access:  read_only
        .address_space:  global
        .offset:         64
        .size:           8
        .value_kind:     global_buffer
      - .actual_access:  read_only
        .address_space:  global
        .offset:         72
        .size:           8
        .value_kind:     global_buffer
      - .actual_access:  read_only
        .address_space:  global
        .offset:         80
        .size:           8
        .value_kind:     global_buffer
      - .offset:         88
        .size:           16
        .value_kind:     by_value
      - .address_space:  global
        .offset:         104
        .size:           8
        .value_kind:     global_buffer
      - .offset:         112
        .size:           4
        .value_kind:     by_value
      - .offset:         116
        .size:           1
        .value_kind:     by_value
    .group_segment_fixed_size: 10368
    .kernarg_segment_align: 8
    .kernarg_segment_size: 120
    .language:       OpenCL C
    .language_version:
      - 2
      - 0
    .max_flat_workgroup_size: 324
    .name:           _ZN9rocsparseL20bsrxmvn_17_32_kernelILj18E21rocsparse_complex_numIdEllS1_IfES2_S2_EEvT2_20rocsparse_direction_NS_24const_host_device_scalarIT0_EES4_PKS4_PKT1_SD_SA_PKT3_PKT4_S8_PT5_21rocsparse_index_base_b
    .private_segment_fixed_size: 0
    .sgpr_count:     24
    .sgpr_spill_count: 0
    .symbol:         _ZN9rocsparseL20bsrxmvn_17_32_kernelILj18E21rocsparse_complex_numIdEllS1_IfES2_S2_EEvT2_20rocsparse_direction_NS_24const_host_device_scalarIT0_EES4_PKS4_PKT1_SD_SA_PKT3_PKT4_S8_PT5_21rocsparse_index_base_b.kd
    .uniform_work_group_size: 1
    .uses_dynamic_stack: false
    .vgpr_count:     29
    .vgpr_spill_count: 0
    .wavefront_size: 32
    .workgroup_processor_mode: 1
  - .args:
      - .offset:         0
        .size:           8
        .value_kind:     by_value
      - .offset:         8
        .size:           4
        .value_kind:     by_value
      - .offset:         16
        .size:           16
        .value_kind:     by_value
      - .offset:         32
        .size:           8
        .value_kind:     by_value
      - .actual_access:  read_only
        .address_space:  global
        .offset:         40
        .size:           8
        .value_kind:     global_buffer
      - .actual_access:  read_only
        .address_space:  global
        .offset:         48
        .size:           8
        .value_kind:     global_buffer
      - .actual_access:  read_only
        .address_space:  global
        .offset:         56
        .size:           8
        .value_kind:     global_buffer
      - .actual_access:  read_only
        .address_space:  global
        .offset:         64
        .size:           8
        .value_kind:     global_buffer
      - .actual_access:  read_only
        .address_space:  global
        .offset:         72
        .size:           8
        .value_kind:     global_buffer
      - .actual_access:  read_only
        .address_space:  global
        .offset:         80
        .size:           8
        .value_kind:     global_buffer
      - .offset:         88
        .size:           16
        .value_kind:     by_value
      - .address_space:  global
        .offset:         104
        .size:           8
        .value_kind:     global_buffer
      - .offset:         112
        .size:           4
        .value_kind:     by_value
      - .offset:         116
        .size:           1
        .value_kind:     by_value
    .group_segment_fixed_size: 11552
    .kernarg_segment_align: 8
    .kernarg_segment_size: 120
    .language:       OpenCL C
    .language_version:
      - 2
      - 0
    .max_flat_workgroup_size: 361
    .name:           _ZN9rocsparseL20bsrxmvn_17_32_kernelILj19E21rocsparse_complex_numIdEllS1_IfES2_S2_EEvT2_20rocsparse_direction_NS_24const_host_device_scalarIT0_EES4_PKS4_PKT1_SD_SA_PKT3_PKT4_S8_PT5_21rocsparse_index_base_b
    .private_segment_fixed_size: 0
    .sgpr_count:     24
    .sgpr_spill_count: 0
    .symbol:         _ZN9rocsparseL20bsrxmvn_17_32_kernelILj19E21rocsparse_complex_numIdEllS1_IfES2_S2_EEvT2_20rocsparse_direction_NS_24const_host_device_scalarIT0_EES4_PKS4_PKT1_SD_SA_PKT3_PKT4_S8_PT5_21rocsparse_index_base_b.kd
    .uniform_work_group_size: 1
    .uses_dynamic_stack: false
    .vgpr_count:     29
    .vgpr_spill_count: 0
    .wavefront_size: 32
    .workgroup_processor_mode: 1
  - .args:
      - .offset:         0
        .size:           8
        .value_kind:     by_value
      - .offset:         8
        .size:           4
        .value_kind:     by_value
      - .offset:         16
        .size:           16
        .value_kind:     by_value
      - .offset:         32
        .size:           8
        .value_kind:     by_value
      - .actual_access:  read_only
        .address_space:  global
        .offset:         40
        .size:           8
        .value_kind:     global_buffer
      - .actual_access:  read_only
        .address_space:  global
        .offset:         48
        .size:           8
        .value_kind:     global_buffer
      - .actual_access:  read_only
        .address_space:  global
        .offset:         56
        .size:           8
        .value_kind:     global_buffer
      - .actual_access:  read_only
        .address_space:  global
        .offset:         64
        .size:           8
        .value_kind:     global_buffer
      - .actual_access:  read_only
        .address_space:  global
        .offset:         72
        .size:           8
        .value_kind:     global_buffer
      - .actual_access:  read_only
        .address_space:  global
        .offset:         80
        .size:           8
        .value_kind:     global_buffer
      - .offset:         88
        .size:           16
        .value_kind:     by_value
      - .address_space:  global
        .offset:         104
        .size:           8
        .value_kind:     global_buffer
      - .offset:         112
        .size:           4
        .value_kind:     by_value
      - .offset:         116
        .size:           1
        .value_kind:     by_value
    .group_segment_fixed_size: 12800
    .kernarg_segment_align: 8
    .kernarg_segment_size: 120
    .language:       OpenCL C
    .language_version:
      - 2
      - 0
    .max_flat_workgroup_size: 400
    .name:           _ZN9rocsparseL20bsrxmvn_17_32_kernelILj20E21rocsparse_complex_numIdEllS1_IfES2_S2_EEvT2_20rocsparse_direction_NS_24const_host_device_scalarIT0_EES4_PKS4_PKT1_SD_SA_PKT3_PKT4_S8_PT5_21rocsparse_index_base_b
    .private_segment_fixed_size: 0
    .sgpr_count:     24
    .sgpr_spill_count: 0
    .symbol:         _ZN9rocsparseL20bsrxmvn_17_32_kernelILj20E21rocsparse_complex_numIdEllS1_IfES2_S2_EEvT2_20rocsparse_direction_NS_24const_host_device_scalarIT0_EES4_PKS4_PKT1_SD_SA_PKT3_PKT4_S8_PT5_21rocsparse_index_base_b.kd
    .uniform_work_group_size: 1
    .uses_dynamic_stack: false
    .vgpr_count:     29
    .vgpr_spill_count: 0
    .wavefront_size: 32
    .workgroup_processor_mode: 1
  - .args:
      - .offset:         0
        .size:           8
        .value_kind:     by_value
      - .offset:         8
        .size:           4
        .value_kind:     by_value
      - .offset:         16
        .size:           16
        .value_kind:     by_value
      - .offset:         32
        .size:           8
        .value_kind:     by_value
      - .actual_access:  read_only
        .address_space:  global
        .offset:         40
        .size:           8
        .value_kind:     global_buffer
      - .actual_access:  read_only
        .address_space:  global
        .offset:         48
        .size:           8
        .value_kind:     global_buffer
      - .actual_access:  read_only
        .address_space:  global
        .offset:         56
        .size:           8
        .value_kind:     global_buffer
      - .actual_access:  read_only
        .address_space:  global
        .offset:         64
        .size:           8
        .value_kind:     global_buffer
      - .actual_access:  read_only
        .address_space:  global
        .offset:         72
        .size:           8
        .value_kind:     global_buffer
      - .actual_access:  read_only
        .address_space:  global
        .offset:         80
        .size:           8
        .value_kind:     global_buffer
      - .offset:         88
        .size:           16
        .value_kind:     by_value
      - .address_space:  global
        .offset:         104
        .size:           8
        .value_kind:     global_buffer
      - .offset:         112
        .size:           4
        .value_kind:     by_value
      - .offset:         116
        .size:           1
        .value_kind:     by_value
    .group_segment_fixed_size: 14112
    .kernarg_segment_align: 8
    .kernarg_segment_size: 120
    .language:       OpenCL C
    .language_version:
      - 2
      - 0
    .max_flat_workgroup_size: 441
    .name:           _ZN9rocsparseL20bsrxmvn_17_32_kernelILj21E21rocsparse_complex_numIdEllS1_IfES2_S2_EEvT2_20rocsparse_direction_NS_24const_host_device_scalarIT0_EES4_PKS4_PKT1_SD_SA_PKT3_PKT4_S8_PT5_21rocsparse_index_base_b
    .private_segment_fixed_size: 0
    .sgpr_count:     24
    .sgpr_spill_count: 0
    .symbol:         _ZN9rocsparseL20bsrxmvn_17_32_kernelILj21E21rocsparse_complex_numIdEllS1_IfES2_S2_EEvT2_20rocsparse_direction_NS_24const_host_device_scalarIT0_EES4_PKS4_PKT1_SD_SA_PKT3_PKT4_S8_PT5_21rocsparse_index_base_b.kd
    .uniform_work_group_size: 1
    .uses_dynamic_stack: false
    .vgpr_count:     29
    .vgpr_spill_count: 0
    .wavefront_size: 32
    .workgroup_processor_mode: 1
  - .args:
      - .offset:         0
        .size:           8
        .value_kind:     by_value
      - .offset:         8
        .size:           4
        .value_kind:     by_value
      - .offset:         16
        .size:           16
        .value_kind:     by_value
      - .offset:         32
        .size:           8
        .value_kind:     by_value
      - .actual_access:  read_only
        .address_space:  global
        .offset:         40
        .size:           8
        .value_kind:     global_buffer
      - .actual_access:  read_only
        .address_space:  global
        .offset:         48
        .size:           8
        .value_kind:     global_buffer
      - .actual_access:  read_only
        .address_space:  global
        .offset:         56
        .size:           8
        .value_kind:     global_buffer
      - .actual_access:  read_only
        .address_space:  global
        .offset:         64
        .size:           8
        .value_kind:     global_buffer
      - .actual_access:  read_only
        .address_space:  global
        .offset:         72
        .size:           8
        .value_kind:     global_buffer
      - .actual_access:  read_only
        .address_space:  global
        .offset:         80
        .size:           8
        .value_kind:     global_buffer
      - .offset:         88
        .size:           16
        .value_kind:     by_value
      - .address_space:  global
        .offset:         104
        .size:           8
        .value_kind:     global_buffer
      - .offset:         112
        .size:           4
        .value_kind:     by_value
      - .offset:         116
        .size:           1
        .value_kind:     by_value
    .group_segment_fixed_size: 15488
    .kernarg_segment_align: 8
    .kernarg_segment_size: 120
    .language:       OpenCL C
    .language_version:
      - 2
      - 0
    .max_flat_workgroup_size: 484
    .name:           _ZN9rocsparseL20bsrxmvn_17_32_kernelILj22E21rocsparse_complex_numIdEllS1_IfES2_S2_EEvT2_20rocsparse_direction_NS_24const_host_device_scalarIT0_EES4_PKS4_PKT1_SD_SA_PKT3_PKT4_S8_PT5_21rocsparse_index_base_b
    .private_segment_fixed_size: 0
    .sgpr_count:     24
    .sgpr_spill_count: 0
    .symbol:         _ZN9rocsparseL20bsrxmvn_17_32_kernelILj22E21rocsparse_complex_numIdEllS1_IfES2_S2_EEvT2_20rocsparse_direction_NS_24const_host_device_scalarIT0_EES4_PKS4_PKT1_SD_SA_PKT3_PKT4_S8_PT5_21rocsparse_index_base_b.kd
    .uniform_work_group_size: 1
    .uses_dynamic_stack: false
    .vgpr_count:     29
    .vgpr_spill_count: 0
    .wavefront_size: 32
    .workgroup_processor_mode: 1
  - .args:
      - .offset:         0
        .size:           8
        .value_kind:     by_value
      - .offset:         8
        .size:           4
        .value_kind:     by_value
      - .offset:         16
        .size:           16
        .value_kind:     by_value
      - .offset:         32
        .size:           8
        .value_kind:     by_value
      - .actual_access:  read_only
        .address_space:  global
        .offset:         40
        .size:           8
        .value_kind:     global_buffer
      - .actual_access:  read_only
        .address_space:  global
        .offset:         48
        .size:           8
        .value_kind:     global_buffer
      - .actual_access:  read_only
        .address_space:  global
        .offset:         56
        .size:           8
        .value_kind:     global_buffer
      - .actual_access:  read_only
        .address_space:  global
        .offset:         64
        .size:           8
        .value_kind:     global_buffer
      - .actual_access:  read_only
        .address_space:  global
        .offset:         72
        .size:           8
        .value_kind:     global_buffer
      - .actual_access:  read_only
        .address_space:  global
        .offset:         80
        .size:           8
        .value_kind:     global_buffer
      - .offset:         88
        .size:           16
        .value_kind:     by_value
      - .address_space:  global
        .offset:         104
        .size:           8
        .value_kind:     global_buffer
      - .offset:         112
        .size:           4
        .value_kind:     by_value
      - .offset:         116
        .size:           1
        .value_kind:     by_value
    .group_segment_fixed_size: 16928
    .kernarg_segment_align: 8
    .kernarg_segment_size: 120
    .language:       OpenCL C
    .language_version:
      - 2
      - 0
    .max_flat_workgroup_size: 529
    .name:           _ZN9rocsparseL20bsrxmvn_17_32_kernelILj23E21rocsparse_complex_numIdEllS1_IfES2_S2_EEvT2_20rocsparse_direction_NS_24const_host_device_scalarIT0_EES4_PKS4_PKT1_SD_SA_PKT3_PKT4_S8_PT5_21rocsparse_index_base_b
    .private_segment_fixed_size: 0
    .sgpr_count:     24
    .sgpr_spill_count: 0
    .symbol:         _ZN9rocsparseL20bsrxmvn_17_32_kernelILj23E21rocsparse_complex_numIdEllS1_IfES2_S2_EEvT2_20rocsparse_direction_NS_24const_host_device_scalarIT0_EES4_PKS4_PKT1_SD_SA_PKT3_PKT4_S8_PT5_21rocsparse_index_base_b.kd
    .uniform_work_group_size: 1
    .uses_dynamic_stack: false
    .vgpr_count:     27
    .vgpr_spill_count: 0
    .wavefront_size: 32
    .workgroup_processor_mode: 1
  - .args:
      - .offset:         0
        .size:           8
        .value_kind:     by_value
      - .offset:         8
        .size:           4
        .value_kind:     by_value
      - .offset:         16
        .size:           16
        .value_kind:     by_value
      - .offset:         32
        .size:           8
        .value_kind:     by_value
      - .actual_access:  read_only
        .address_space:  global
        .offset:         40
        .size:           8
        .value_kind:     global_buffer
      - .actual_access:  read_only
        .address_space:  global
        .offset:         48
        .size:           8
        .value_kind:     global_buffer
      - .actual_access:  read_only
        .address_space:  global
        .offset:         56
        .size:           8
        .value_kind:     global_buffer
      - .actual_access:  read_only
        .address_space:  global
        .offset:         64
        .size:           8
        .value_kind:     global_buffer
      - .actual_access:  read_only
        .address_space:  global
        .offset:         72
        .size:           8
        .value_kind:     global_buffer
      - .actual_access:  read_only
        .address_space:  global
        .offset:         80
        .size:           8
        .value_kind:     global_buffer
      - .offset:         88
        .size:           16
        .value_kind:     by_value
      - .address_space:  global
        .offset:         104
        .size:           8
        .value_kind:     global_buffer
      - .offset:         112
        .size:           4
        .value_kind:     by_value
      - .offset:         116
        .size:           1
        .value_kind:     by_value
    .group_segment_fixed_size: 18432
    .kernarg_segment_align: 8
    .kernarg_segment_size: 120
    .language:       OpenCL C
    .language_version:
      - 2
      - 0
    .max_flat_workgroup_size: 576
    .name:           _ZN9rocsparseL20bsrxmvn_17_32_kernelILj24E21rocsparse_complex_numIdEllS1_IfES2_S2_EEvT2_20rocsparse_direction_NS_24const_host_device_scalarIT0_EES4_PKS4_PKT1_SD_SA_PKT3_PKT4_S8_PT5_21rocsparse_index_base_b
    .private_segment_fixed_size: 0
    .sgpr_count:     24
    .sgpr_spill_count: 0
    .symbol:         _ZN9rocsparseL20bsrxmvn_17_32_kernelILj24E21rocsparse_complex_numIdEllS1_IfES2_S2_EEvT2_20rocsparse_direction_NS_24const_host_device_scalarIT0_EES4_PKS4_PKT1_SD_SA_PKT3_PKT4_S8_PT5_21rocsparse_index_base_b.kd
    .uniform_work_group_size: 1
    .uses_dynamic_stack: false
    .vgpr_count:     27
    .vgpr_spill_count: 0
    .wavefront_size: 32
    .workgroup_processor_mode: 1
  - .args:
      - .offset:         0
        .size:           8
        .value_kind:     by_value
      - .offset:         8
        .size:           4
        .value_kind:     by_value
      - .offset:         16
        .size:           16
        .value_kind:     by_value
      - .offset:         32
        .size:           8
        .value_kind:     by_value
      - .actual_access:  read_only
        .address_space:  global
        .offset:         40
        .size:           8
        .value_kind:     global_buffer
      - .actual_access:  read_only
        .address_space:  global
        .offset:         48
        .size:           8
        .value_kind:     global_buffer
      - .actual_access:  read_only
        .address_space:  global
        .offset:         56
        .size:           8
        .value_kind:     global_buffer
      - .actual_access:  read_only
        .address_space:  global
        .offset:         64
        .size:           8
        .value_kind:     global_buffer
      - .actual_access:  read_only
        .address_space:  global
        .offset:         72
        .size:           8
        .value_kind:     global_buffer
      - .actual_access:  read_only
        .address_space:  global
        .offset:         80
        .size:           8
        .value_kind:     global_buffer
      - .offset:         88
        .size:           16
        .value_kind:     by_value
      - .address_space:  global
        .offset:         104
        .size:           8
        .value_kind:     global_buffer
      - .offset:         112
        .size:           4
        .value_kind:     by_value
      - .offset:         116
        .size:           1
        .value_kind:     by_value
    .group_segment_fixed_size: 20000
    .kernarg_segment_align: 8
    .kernarg_segment_size: 120
    .language:       OpenCL C
    .language_version:
      - 2
      - 0
    .max_flat_workgroup_size: 625
    .name:           _ZN9rocsparseL20bsrxmvn_17_32_kernelILj25E21rocsparse_complex_numIdEllS1_IfES2_S2_EEvT2_20rocsparse_direction_NS_24const_host_device_scalarIT0_EES4_PKS4_PKT1_SD_SA_PKT3_PKT4_S8_PT5_21rocsparse_index_base_b
    .private_segment_fixed_size: 0
    .sgpr_count:     24
    .sgpr_spill_count: 0
    .symbol:         _ZN9rocsparseL20bsrxmvn_17_32_kernelILj25E21rocsparse_complex_numIdEllS1_IfES2_S2_EEvT2_20rocsparse_direction_NS_24const_host_device_scalarIT0_EES4_PKS4_PKT1_SD_SA_PKT3_PKT4_S8_PT5_21rocsparse_index_base_b.kd
    .uniform_work_group_size: 1
    .uses_dynamic_stack: false
    .vgpr_count:     27
    .vgpr_spill_count: 0
    .wavefront_size: 32
    .workgroup_processor_mode: 1
  - .args:
      - .offset:         0
        .size:           8
        .value_kind:     by_value
      - .offset:         8
        .size:           4
        .value_kind:     by_value
      - .offset:         16
        .size:           16
        .value_kind:     by_value
      - .offset:         32
        .size:           8
        .value_kind:     by_value
      - .actual_access:  read_only
        .address_space:  global
        .offset:         40
        .size:           8
        .value_kind:     global_buffer
      - .actual_access:  read_only
        .address_space:  global
        .offset:         48
        .size:           8
        .value_kind:     global_buffer
      - .actual_access:  read_only
        .address_space:  global
        .offset:         56
        .size:           8
        .value_kind:     global_buffer
      - .actual_access:  read_only
        .address_space:  global
        .offset:         64
        .size:           8
        .value_kind:     global_buffer
      - .actual_access:  read_only
        .address_space:  global
        .offset:         72
        .size:           8
        .value_kind:     global_buffer
      - .actual_access:  read_only
        .address_space:  global
        .offset:         80
        .size:           8
        .value_kind:     global_buffer
      - .offset:         88
        .size:           16
        .value_kind:     by_value
      - .address_space:  global
        .offset:         104
        .size:           8
        .value_kind:     global_buffer
      - .offset:         112
        .size:           4
        .value_kind:     by_value
      - .offset:         116
        .size:           1
        .value_kind:     by_value
    .group_segment_fixed_size: 21632
    .kernarg_segment_align: 8
    .kernarg_segment_size: 120
    .language:       OpenCL C
    .language_version:
      - 2
      - 0
    .max_flat_workgroup_size: 676
    .name:           _ZN9rocsparseL20bsrxmvn_17_32_kernelILj26E21rocsparse_complex_numIdEllS1_IfES2_S2_EEvT2_20rocsparse_direction_NS_24const_host_device_scalarIT0_EES4_PKS4_PKT1_SD_SA_PKT3_PKT4_S8_PT5_21rocsparse_index_base_b
    .private_segment_fixed_size: 0
    .sgpr_count:     24
    .sgpr_spill_count: 0
    .symbol:         _ZN9rocsparseL20bsrxmvn_17_32_kernelILj26E21rocsparse_complex_numIdEllS1_IfES2_S2_EEvT2_20rocsparse_direction_NS_24const_host_device_scalarIT0_EES4_PKS4_PKT1_SD_SA_PKT3_PKT4_S8_PT5_21rocsparse_index_base_b.kd
    .uniform_work_group_size: 1
    .uses_dynamic_stack: false
    .vgpr_count:     27
    .vgpr_spill_count: 0
    .wavefront_size: 32
    .workgroup_processor_mode: 1
  - .args:
      - .offset:         0
        .size:           8
        .value_kind:     by_value
      - .offset:         8
        .size:           4
        .value_kind:     by_value
      - .offset:         16
        .size:           16
        .value_kind:     by_value
      - .offset:         32
        .size:           8
        .value_kind:     by_value
      - .actual_access:  read_only
        .address_space:  global
        .offset:         40
        .size:           8
        .value_kind:     global_buffer
      - .actual_access:  read_only
        .address_space:  global
        .offset:         48
        .size:           8
        .value_kind:     global_buffer
      - .actual_access:  read_only
        .address_space:  global
        .offset:         56
        .size:           8
        .value_kind:     global_buffer
      - .actual_access:  read_only
        .address_space:  global
        .offset:         64
        .size:           8
        .value_kind:     global_buffer
      - .actual_access:  read_only
        .address_space:  global
        .offset:         72
        .size:           8
        .value_kind:     global_buffer
      - .actual_access:  read_only
        .address_space:  global
        .offset:         80
        .size:           8
        .value_kind:     global_buffer
      - .offset:         88
        .size:           16
        .value_kind:     by_value
      - .address_space:  global
        .offset:         104
        .size:           8
        .value_kind:     global_buffer
      - .offset:         112
        .size:           4
        .value_kind:     by_value
      - .offset:         116
        .size:           1
        .value_kind:     by_value
    .group_segment_fixed_size: 23328
    .kernarg_segment_align: 8
    .kernarg_segment_size: 120
    .language:       OpenCL C
    .language_version:
      - 2
      - 0
    .max_flat_workgroup_size: 729
    .name:           _ZN9rocsparseL20bsrxmvn_17_32_kernelILj27E21rocsparse_complex_numIdEllS1_IfES2_S2_EEvT2_20rocsparse_direction_NS_24const_host_device_scalarIT0_EES4_PKS4_PKT1_SD_SA_PKT3_PKT4_S8_PT5_21rocsparse_index_base_b
    .private_segment_fixed_size: 0
    .sgpr_count:     24
    .sgpr_spill_count: 0
    .symbol:         _ZN9rocsparseL20bsrxmvn_17_32_kernelILj27E21rocsparse_complex_numIdEllS1_IfES2_S2_EEvT2_20rocsparse_direction_NS_24const_host_device_scalarIT0_EES4_PKS4_PKT1_SD_SA_PKT3_PKT4_S8_PT5_21rocsparse_index_base_b.kd
    .uniform_work_group_size: 1
    .uses_dynamic_stack: false
    .vgpr_count:     27
    .vgpr_spill_count: 0
    .wavefront_size: 32
    .workgroup_processor_mode: 1
  - .args:
      - .offset:         0
        .size:           8
        .value_kind:     by_value
      - .offset:         8
        .size:           4
        .value_kind:     by_value
      - .offset:         16
        .size:           16
        .value_kind:     by_value
      - .offset:         32
        .size:           8
        .value_kind:     by_value
      - .actual_access:  read_only
        .address_space:  global
        .offset:         40
        .size:           8
        .value_kind:     global_buffer
      - .actual_access:  read_only
        .address_space:  global
        .offset:         48
        .size:           8
        .value_kind:     global_buffer
      - .actual_access:  read_only
        .address_space:  global
        .offset:         56
        .size:           8
        .value_kind:     global_buffer
      - .actual_access:  read_only
        .address_space:  global
        .offset:         64
        .size:           8
        .value_kind:     global_buffer
      - .actual_access:  read_only
        .address_space:  global
        .offset:         72
        .size:           8
        .value_kind:     global_buffer
      - .actual_access:  read_only
        .address_space:  global
        .offset:         80
        .size:           8
        .value_kind:     global_buffer
      - .offset:         88
        .size:           16
        .value_kind:     by_value
      - .address_space:  global
        .offset:         104
        .size:           8
        .value_kind:     global_buffer
      - .offset:         112
        .size:           4
        .value_kind:     by_value
      - .offset:         116
        .size:           1
        .value_kind:     by_value
    .group_segment_fixed_size: 25088
    .kernarg_segment_align: 8
    .kernarg_segment_size: 120
    .language:       OpenCL C
    .language_version:
      - 2
      - 0
    .max_flat_workgroup_size: 784
    .name:           _ZN9rocsparseL20bsrxmvn_17_32_kernelILj28E21rocsparse_complex_numIdEllS1_IfES2_S2_EEvT2_20rocsparse_direction_NS_24const_host_device_scalarIT0_EES4_PKS4_PKT1_SD_SA_PKT3_PKT4_S8_PT5_21rocsparse_index_base_b
    .private_segment_fixed_size: 0
    .sgpr_count:     24
    .sgpr_spill_count: 0
    .symbol:         _ZN9rocsparseL20bsrxmvn_17_32_kernelILj28E21rocsparse_complex_numIdEllS1_IfES2_S2_EEvT2_20rocsparse_direction_NS_24const_host_device_scalarIT0_EES4_PKS4_PKT1_SD_SA_PKT3_PKT4_S8_PT5_21rocsparse_index_base_b.kd
    .uniform_work_group_size: 1
    .uses_dynamic_stack: false
    .vgpr_count:     27
    .vgpr_spill_count: 0
    .wavefront_size: 32
    .workgroup_processor_mode: 1
  - .args:
      - .offset:         0
        .size:           8
        .value_kind:     by_value
      - .offset:         8
        .size:           4
        .value_kind:     by_value
      - .offset:         16
        .size:           16
        .value_kind:     by_value
      - .offset:         32
        .size:           8
        .value_kind:     by_value
      - .actual_access:  read_only
        .address_space:  global
        .offset:         40
        .size:           8
        .value_kind:     global_buffer
      - .actual_access:  read_only
        .address_space:  global
        .offset:         48
        .size:           8
        .value_kind:     global_buffer
      - .actual_access:  read_only
        .address_space:  global
        .offset:         56
        .size:           8
        .value_kind:     global_buffer
      - .actual_access:  read_only
        .address_space:  global
        .offset:         64
        .size:           8
        .value_kind:     global_buffer
      - .actual_access:  read_only
        .address_space:  global
        .offset:         72
        .size:           8
        .value_kind:     global_buffer
      - .actual_access:  read_only
        .address_space:  global
        .offset:         80
        .size:           8
        .value_kind:     global_buffer
      - .offset:         88
        .size:           16
        .value_kind:     by_value
      - .address_space:  global
        .offset:         104
        .size:           8
        .value_kind:     global_buffer
      - .offset:         112
        .size:           4
        .value_kind:     by_value
      - .offset:         116
        .size:           1
        .value_kind:     by_value
    .group_segment_fixed_size: 26912
    .kernarg_segment_align: 8
    .kernarg_segment_size: 120
    .language:       OpenCL C
    .language_version:
      - 2
      - 0
    .max_flat_workgroup_size: 841
    .name:           _ZN9rocsparseL20bsrxmvn_17_32_kernelILj29E21rocsparse_complex_numIdEllS1_IfES2_S2_EEvT2_20rocsparse_direction_NS_24const_host_device_scalarIT0_EES4_PKS4_PKT1_SD_SA_PKT3_PKT4_S8_PT5_21rocsparse_index_base_b
    .private_segment_fixed_size: 0
    .sgpr_count:     24
    .sgpr_spill_count: 0
    .symbol:         _ZN9rocsparseL20bsrxmvn_17_32_kernelILj29E21rocsparse_complex_numIdEllS1_IfES2_S2_EEvT2_20rocsparse_direction_NS_24const_host_device_scalarIT0_EES4_PKS4_PKT1_SD_SA_PKT3_PKT4_S8_PT5_21rocsparse_index_base_b.kd
    .uniform_work_group_size: 1
    .uses_dynamic_stack: false
    .vgpr_count:     27
    .vgpr_spill_count: 0
    .wavefront_size: 32
    .workgroup_processor_mode: 1
  - .args:
      - .offset:         0
        .size:           8
        .value_kind:     by_value
      - .offset:         8
        .size:           4
        .value_kind:     by_value
      - .offset:         16
        .size:           16
        .value_kind:     by_value
      - .offset:         32
        .size:           8
        .value_kind:     by_value
      - .actual_access:  read_only
        .address_space:  global
        .offset:         40
        .size:           8
        .value_kind:     global_buffer
      - .actual_access:  read_only
        .address_space:  global
        .offset:         48
        .size:           8
        .value_kind:     global_buffer
      - .actual_access:  read_only
        .address_space:  global
        .offset:         56
        .size:           8
        .value_kind:     global_buffer
      - .actual_access:  read_only
        .address_space:  global
        .offset:         64
        .size:           8
        .value_kind:     global_buffer
      - .actual_access:  read_only
        .address_space:  global
        .offset:         72
        .size:           8
        .value_kind:     global_buffer
      - .actual_access:  read_only
        .address_space:  global
        .offset:         80
        .size:           8
        .value_kind:     global_buffer
      - .offset:         88
        .size:           16
        .value_kind:     by_value
      - .address_space:  global
        .offset:         104
        .size:           8
        .value_kind:     global_buffer
      - .offset:         112
        .size:           4
        .value_kind:     by_value
      - .offset:         116
        .size:           1
        .value_kind:     by_value
    .group_segment_fixed_size: 28800
    .kernarg_segment_align: 8
    .kernarg_segment_size: 120
    .language:       OpenCL C
    .language_version:
      - 2
      - 0
    .max_flat_workgroup_size: 900
    .name:           _ZN9rocsparseL20bsrxmvn_17_32_kernelILj30E21rocsparse_complex_numIdEllS1_IfES2_S2_EEvT2_20rocsparse_direction_NS_24const_host_device_scalarIT0_EES4_PKS4_PKT1_SD_SA_PKT3_PKT4_S8_PT5_21rocsparse_index_base_b
    .private_segment_fixed_size: 0
    .sgpr_count:     24
    .sgpr_spill_count: 0
    .symbol:         _ZN9rocsparseL20bsrxmvn_17_32_kernelILj30E21rocsparse_complex_numIdEllS1_IfES2_S2_EEvT2_20rocsparse_direction_NS_24const_host_device_scalarIT0_EES4_PKS4_PKT1_SD_SA_PKT3_PKT4_S8_PT5_21rocsparse_index_base_b.kd
    .uniform_work_group_size: 1
    .uses_dynamic_stack: false
    .vgpr_count:     27
    .vgpr_spill_count: 0
    .wavefront_size: 32
    .workgroup_processor_mode: 1
  - .args:
      - .offset:         0
        .size:           8
        .value_kind:     by_value
      - .offset:         8
        .size:           4
        .value_kind:     by_value
      - .offset:         16
        .size:           16
        .value_kind:     by_value
      - .offset:         32
        .size:           8
        .value_kind:     by_value
      - .actual_access:  read_only
        .address_space:  global
        .offset:         40
        .size:           8
        .value_kind:     global_buffer
      - .actual_access:  read_only
        .address_space:  global
        .offset:         48
        .size:           8
        .value_kind:     global_buffer
      - .actual_access:  read_only
        .address_space:  global
        .offset:         56
        .size:           8
        .value_kind:     global_buffer
      - .actual_access:  read_only
        .address_space:  global
        .offset:         64
        .size:           8
        .value_kind:     global_buffer
      - .actual_access:  read_only
        .address_space:  global
        .offset:         72
        .size:           8
        .value_kind:     global_buffer
      - .actual_access:  read_only
        .address_space:  global
        .offset:         80
        .size:           8
        .value_kind:     global_buffer
      - .offset:         88
        .size:           16
        .value_kind:     by_value
      - .address_space:  global
        .offset:         104
        .size:           8
        .value_kind:     global_buffer
      - .offset:         112
        .size:           4
        .value_kind:     by_value
      - .offset:         116
        .size:           1
        .value_kind:     by_value
    .group_segment_fixed_size: 30752
    .kernarg_segment_align: 8
    .kernarg_segment_size: 120
    .language:       OpenCL C
    .language_version:
      - 2
      - 0
    .max_flat_workgroup_size: 961
    .name:           _ZN9rocsparseL20bsrxmvn_17_32_kernelILj31E21rocsparse_complex_numIdEllS1_IfES2_S2_EEvT2_20rocsparse_direction_NS_24const_host_device_scalarIT0_EES4_PKS4_PKT1_SD_SA_PKT3_PKT4_S8_PT5_21rocsparse_index_base_b
    .private_segment_fixed_size: 0
    .sgpr_count:     24
    .sgpr_spill_count: 0
    .symbol:         _ZN9rocsparseL20bsrxmvn_17_32_kernelILj31E21rocsparse_complex_numIdEllS1_IfES2_S2_EEvT2_20rocsparse_direction_NS_24const_host_device_scalarIT0_EES4_PKS4_PKT1_SD_SA_PKT3_PKT4_S8_PT5_21rocsparse_index_base_b.kd
    .uniform_work_group_size: 1
    .uses_dynamic_stack: false
    .vgpr_count:     27
    .vgpr_spill_count: 0
    .wavefront_size: 32
    .workgroup_processor_mode: 1
  - .args:
      - .offset:         0
        .size:           8
        .value_kind:     by_value
      - .offset:         8
        .size:           4
        .value_kind:     by_value
      - .offset:         16
        .size:           16
        .value_kind:     by_value
      - .offset:         32
        .size:           8
        .value_kind:     by_value
      - .actual_access:  read_only
        .address_space:  global
        .offset:         40
        .size:           8
        .value_kind:     global_buffer
      - .actual_access:  read_only
        .address_space:  global
        .offset:         48
        .size:           8
        .value_kind:     global_buffer
      - .actual_access:  read_only
        .address_space:  global
        .offset:         56
        .size:           8
        .value_kind:     global_buffer
      - .actual_access:  read_only
        .address_space:  global
        .offset:         64
        .size:           8
        .value_kind:     global_buffer
      - .actual_access:  read_only
        .address_space:  global
        .offset:         72
        .size:           8
        .value_kind:     global_buffer
      - .actual_access:  read_only
        .address_space:  global
        .offset:         80
        .size:           8
        .value_kind:     global_buffer
      - .offset:         88
        .size:           16
        .value_kind:     by_value
      - .address_space:  global
        .offset:         104
        .size:           8
        .value_kind:     global_buffer
      - .offset:         112
        .size:           4
        .value_kind:     by_value
      - .offset:         116
        .size:           1
        .value_kind:     by_value
    .group_segment_fixed_size: 32768
    .kernarg_segment_align: 8
    .kernarg_segment_size: 120
    .language:       OpenCL C
    .language_version:
      - 2
      - 0
    .max_flat_workgroup_size: 1024
    .name:           _ZN9rocsparseL20bsrxmvn_17_32_kernelILj32E21rocsparse_complex_numIdEllS1_IfES2_S2_EEvT2_20rocsparse_direction_NS_24const_host_device_scalarIT0_EES4_PKS4_PKT1_SD_SA_PKT3_PKT4_S8_PT5_21rocsparse_index_base_b
    .private_segment_fixed_size: 0
    .sgpr_count:     26
    .sgpr_spill_count: 0
    .symbol:         _ZN9rocsparseL20bsrxmvn_17_32_kernelILj32E21rocsparse_complex_numIdEllS1_IfES2_S2_EEvT2_20rocsparse_direction_NS_24const_host_device_scalarIT0_EES4_PKS4_PKT1_SD_SA_PKT3_PKT4_S8_PT5_21rocsparse_index_base_b.kd
    .uniform_work_group_size: 1
    .uses_dynamic_stack: false
    .vgpr_count:     26
    .vgpr_spill_count: 0
    .wavefront_size: 32
    .workgroup_processor_mode: 1
amdhsa.target:   amdgcn-amd-amdhsa--gfx1100
amdhsa.version:
  - 1
  - 2
...

	.end_amdgpu_metadata
